;; amdgpu-corpus repo=ROCm/rccl kind=compiled arch=gfx1100 opt=O3
	.text
	.amdgcn_target "amdgcn-amd-amdhsa--gfx1100"
	.amdhsa_code_object_version 6
	.p2align	2                               ; -- Begin function __ockl_fprintf_append_string_n
	.type	__ockl_fprintf_append_string_n,@function
__ockl_fprintf_append_string_n:         ; @__ockl_fprintf_append_string_n
; %bb.0:
	s_waitcnt vmcnt(0) expcnt(0) lgkmcnt(0)
	v_dual_mov_b32 v8, v3 :: v_dual_mov_b32 v7, v2
	v_or_b32_e32 v2, 2, v0
	v_cmp_eq_u32_e32 vcc_lo, 0, v6
	v_mbcnt_lo_u32_b32 v33, -1, 0
	s_mov_b32 s11, 0
	s_mov_b32 s0, exec_lo
	v_cndmask_b32_e32 v0, v2, v0, vcc_lo
	v_cmpx_ne_u64_e32 0, v[7:8]
	s_xor_b32 s10, exec_lo, s0
	s_cbranch_execz .LBB0_86
; %bb.1:
	s_load_b64 s[2:3], s[8:9], 0x50
	v_dual_mov_b32 v11, 2 :: v_dual_and_b32 v6, 2, v0
	v_mov_b32_e32 v10, 0
	v_and_b32_e32 v0, -3, v0
	v_mov_b32_e32 v12, 1
	s_mov_b32 s12, 0
	s_branch .LBB0_3
.LBB0_2:                                ;   in Loop: Header=BB0_3 Depth=1
	s_or_b32 exec_lo, exec_lo, s1
	v_sub_co_u32 v4, vcc_lo, v4, v29
	v_sub_co_ci_u32_e32 v5, vcc_lo, v5, v30, vcc_lo
	v_add_co_u32 v7, s0, v7, v29
	s_delay_alu instid0(VALU_DEP_1) | instskip(NEXT) | instid1(VALU_DEP_3)
	v_add_co_ci_u32_e64 v8, s0, v8, v30, s0
	v_cmp_eq_u64_e32 vcc_lo, 0, v[4:5]
	s_or_b32 s12, vcc_lo, s12
	s_delay_alu instid0(SALU_CYCLE_1)
	s_and_not1_b32 exec_lo, exec_lo, s12
	s_cbranch_execz .LBB0_85
.LBB0_3:                                ; =>This Loop Header: Depth=1
                                        ;     Child Loop BB0_6 Depth 2
                                        ;     Child Loop BB0_14 Depth 2
	;; [unrolled: 1-line block ×11, first 2 shown]
	v_cmp_gt_u64_e32 vcc_lo, 56, v[4:5]
	s_mov_b32 s1, exec_lo
                                        ; implicit-def: $vgpr2_vgpr3
                                        ; implicit-def: $sgpr4
	v_dual_cndmask_b32 v30, 0, v5 :: v_dual_cndmask_b32 v29, 56, v4
	v_cmpx_gt_u64_e32 8, v[4:5]
	s_xor_b32 s1, exec_lo, s1
	s_cbranch_execz .LBB0_9
; %bb.4:                                ;   in Loop: Header=BB0_3 Depth=1
	s_waitcnt vmcnt(0)
	v_mov_b32_e32 v2, 0
	v_mov_b32_e32 v3, 0
	s_mov_b64 s[4:5], 0
	s_mov_b32 s6, exec_lo
	v_cmpx_ne_u64_e32 0, v[4:5]
	s_cbranch_execz .LBB0_8
; %bb.5:                                ;   in Loop: Header=BB0_3 Depth=1
	v_lshlrev_b64 v[13:14], 3, v[29:30]
	v_dual_mov_b32 v2, 0 :: v_dual_mov_b32 v15, v8
	v_dual_mov_b32 v3, 0 :: v_dual_mov_b32 v14, v7
	s_mov_b32 s7, 0
	.p2align	6
.LBB0_6:                                ;   Parent Loop BB0_3 Depth=1
                                        ; =>  This Inner Loop Header: Depth=2
	flat_load_u8 v9, v[14:15]
	v_mov_b32_e32 v17, s11
	v_add_co_u32 v14, vcc_lo, v14, 1
	v_add_co_ci_u32_e32 v15, vcc_lo, 0, v15, vcc_lo
	s_waitcnt vmcnt(0) lgkmcnt(0)
	v_and_b32_e32 v16, 0xffff, v9
	s_delay_alu instid0(VALU_DEP_1) | instskip(SKIP_3) | instid1(VALU_DEP_2)
	v_lshlrev_b64 v[16:17], s4, v[16:17]
	s_add_u32 s4, s4, 8
	s_addc_u32 s5, s5, 0
	v_cmp_eq_u32_e64 s0, s4, v13
	v_or_b32_e32 v3, v17, v3
	s_delay_alu instid0(VALU_DEP_3) | instskip(NEXT) | instid1(VALU_DEP_3)
	v_or_b32_e32 v2, v16, v2
	s_or_b32 s7, s0, s7
	s_delay_alu instid0(SALU_CYCLE_1)
	s_and_not1_b32 exec_lo, exec_lo, s7
	s_cbranch_execnz .LBB0_6
; %bb.7:                                ;   in Loop: Header=BB0_3 Depth=1
	s_or_b32 exec_lo, exec_lo, s7
.LBB0_8:                                ;   in Loop: Header=BB0_3 Depth=1
	s_delay_alu instid0(SALU_CYCLE_1)
	s_or_b32 exec_lo, exec_lo, s6
	s_mov_b32 s4, 0
.LBB0_9:                                ;   in Loop: Header=BB0_3 Depth=1
	s_or_saveexec_b32 s0, s1
	v_dual_mov_b32 v9, s4 :: v_dual_mov_b32 v26, v8
	v_mov_b32_e32 v25, v7
	s_xor_b32 exec_lo, exec_lo, s0
	s_cbranch_execz .LBB0_11
; %bb.10:                               ;   in Loop: Header=BB0_3 Depth=1
	s_waitcnt vmcnt(0)
	flat_load_b64 v[2:3], v[7:8]
	v_add_co_u32 v25, vcc_lo, v7, 8
	v_add_co_ci_u32_e32 v26, vcc_lo, 0, v8, vcc_lo
	s_waitcnt vmcnt(0) lgkmcnt(0)
	v_and_b32_e32 v9, 0xff, v3
	v_and_b32_e32 v13, 0xff00, v3
	;; [unrolled: 1-line block ×4, first 2 shown]
	v_or3_b32 v2, v2, 0, 0
	s_delay_alu instid0(VALU_DEP_4) | instskip(SKIP_1) | instid1(VALU_DEP_2)
	v_or_b32_e32 v13, v9, v13
	v_add_nc_u32_e32 v9, -8, v29
	v_or3_b32 v3, v13, v14, v3
.LBB0_11:                               ;   in Loop: Header=BB0_3 Depth=1
	s_or_b32 exec_lo, exec_lo, s0
                                        ; implicit-def: $vgpr13_vgpr14
                                        ; implicit-def: $sgpr1
	s_delay_alu instid0(SALU_CYCLE_1) | instskip(NEXT) | instid1(VALU_DEP_2)
	s_mov_b32 s0, exec_lo
	v_cmpx_gt_u32_e32 8, v9
	s_xor_b32 s6, exec_lo, s0
	s_cbranch_execz .LBB0_17
; %bb.12:                               ;   in Loop: Header=BB0_3 Depth=1
	v_mov_b32_e32 v13, 0
	v_mov_b32_e32 v14, 0
	s_mov_b32 s7, exec_lo
	v_cmpx_ne_u32_e32 0, v9
	s_cbranch_execz .LBB0_16
; %bb.13:                               ;   in Loop: Header=BB0_3 Depth=1
	v_mov_b32_e32 v13, 0
	v_mov_b32_e32 v14, 0
	s_mov_b64 s[0:1], 0
	s_mov_b32 s13, 0
	s_mov_b64 s[4:5], 0
	.p2align	6
.LBB0_14:                               ;   Parent Loop BB0_3 Depth=1
                                        ; =>  This Inner Loop Header: Depth=2
	s_delay_alu instid0(SALU_CYCLE_1)
	v_add_co_u32 v15, vcc_lo, v25, s4
	v_add_co_ci_u32_e32 v16, vcc_lo, s5, v26, vcc_lo
	s_add_u32 s4, s4, 1
	s_addc_u32 s5, s5, 0
	v_cmp_eq_u32_e32 vcc_lo, s4, v9
	flat_load_u8 v15, v[15:16]
	s_waitcnt vmcnt(0) lgkmcnt(0)
	v_dual_mov_b32 v16, s11 :: v_dual_and_b32 v15, 0xffff, v15
	s_delay_alu instid0(VALU_DEP_1) | instskip(SKIP_3) | instid1(VALU_DEP_1)
	v_lshlrev_b64 v[15:16], s0, v[15:16]
	s_add_u32 s0, s0, 8
	s_addc_u32 s1, s1, 0
	s_or_b32 s13, vcc_lo, s13
	v_or_b32_e32 v14, v16, v14
	s_delay_alu instid0(VALU_DEP_2)
	v_or_b32_e32 v13, v15, v13
	s_and_not1_b32 exec_lo, exec_lo, s13
	s_cbranch_execnz .LBB0_14
; %bb.15:                               ;   in Loop: Header=BB0_3 Depth=1
	s_or_b32 exec_lo, exec_lo, s13
.LBB0_16:                               ;   in Loop: Header=BB0_3 Depth=1
	s_delay_alu instid0(SALU_CYCLE_1)
	s_or_b32 exec_lo, exec_lo, s7
	s_mov_b32 s1, 0
                                        ; implicit-def: $vgpr9
.LBB0_17:                               ;   in Loop: Header=BB0_3 Depth=1
	s_or_saveexec_b32 s0, s6
	v_mov_b32_e32 v17, s1
	s_xor_b32 exec_lo, exec_lo, s0
	s_cbranch_execz .LBB0_19
; %bb.18:                               ;   in Loop: Header=BB0_3 Depth=1
	flat_load_b64 v[13:14], v[25:26]
	v_add_co_u32 v25, vcc_lo, v25, 8
	v_add_nc_u32_e32 v17, -8, v9
	v_add_co_ci_u32_e32 v26, vcc_lo, 0, v26, vcc_lo
	s_waitcnt vmcnt(0) lgkmcnt(0)
	v_and_b32_e32 v15, 0xff, v14
	v_and_b32_e32 v16, 0xff00, v14
	;; [unrolled: 1-line block ×4, first 2 shown]
	v_or3_b32 v13, v13, 0, 0
	s_delay_alu instid0(VALU_DEP_4) | instskip(NEXT) | instid1(VALU_DEP_1)
	v_or_b32_e32 v15, v15, v16
	v_or3_b32 v14, v15, v18, v14
.LBB0_19:                               ;   in Loop: Header=BB0_3 Depth=1
	s_or_b32 exec_lo, exec_lo, s0
                                        ; implicit-def: $sgpr1
	s_delay_alu instid0(SALU_CYCLE_1)
	s_mov_b32 s0, exec_lo
	v_cmpx_gt_u32_e32 8, v17
	s_xor_b32 s6, exec_lo, s0
	s_cbranch_execz .LBB0_25
; %bb.20:                               ;   in Loop: Header=BB0_3 Depth=1
	v_mov_b32_e32 v15, 0
	v_mov_b32_e32 v16, 0
	s_mov_b32 s7, exec_lo
	v_cmpx_ne_u32_e32 0, v17
	s_cbranch_execz .LBB0_24
; %bb.21:                               ;   in Loop: Header=BB0_3 Depth=1
	v_mov_b32_e32 v15, 0
	v_mov_b32_e32 v16, 0
	s_mov_b64 s[0:1], 0
	s_mov_b32 s13, 0
	s_mov_b64 s[4:5], 0
	.p2align	6
.LBB0_22:                               ;   Parent Loop BB0_3 Depth=1
                                        ; =>  This Inner Loop Header: Depth=2
	s_delay_alu instid0(SALU_CYCLE_1)
	v_add_co_u32 v18, vcc_lo, v25, s4
	v_add_co_ci_u32_e32 v19, vcc_lo, s5, v26, vcc_lo
	s_add_u32 s4, s4, 1
	s_addc_u32 s5, s5, 0
	v_cmp_eq_u32_e32 vcc_lo, s4, v17
	flat_load_u8 v9, v[18:19]
	s_waitcnt vmcnt(0) lgkmcnt(0)
	v_dual_mov_b32 v19, s11 :: v_dual_and_b32 v18, 0xffff, v9
	s_delay_alu instid0(VALU_DEP_1) | instskip(SKIP_3) | instid1(VALU_DEP_1)
	v_lshlrev_b64 v[18:19], s0, v[18:19]
	s_add_u32 s0, s0, 8
	s_addc_u32 s1, s1, 0
	s_or_b32 s13, vcc_lo, s13
	v_or_b32_e32 v16, v19, v16
	s_delay_alu instid0(VALU_DEP_2)
	v_or_b32_e32 v15, v18, v15
	s_and_not1_b32 exec_lo, exec_lo, s13
	s_cbranch_execnz .LBB0_22
; %bb.23:                               ;   in Loop: Header=BB0_3 Depth=1
	s_or_b32 exec_lo, exec_lo, s13
.LBB0_24:                               ;   in Loop: Header=BB0_3 Depth=1
	s_delay_alu instid0(SALU_CYCLE_1)
	s_or_b32 exec_lo, exec_lo, s7
	s_mov_b32 s1, 0
                                        ; implicit-def: $vgpr17
.LBB0_25:                               ;   in Loop: Header=BB0_3 Depth=1
	s_or_saveexec_b32 s0, s6
	v_mov_b32_e32 v9, s1
	s_xor_b32 exec_lo, exec_lo, s0
	s_cbranch_execz .LBB0_27
; %bb.26:                               ;   in Loop: Header=BB0_3 Depth=1
	flat_load_b64 v[15:16], v[25:26]
	v_add_co_u32 v25, vcc_lo, v25, 8
	v_add_co_ci_u32_e32 v26, vcc_lo, 0, v26, vcc_lo
	s_waitcnt vmcnt(0) lgkmcnt(0)
	v_and_b32_e32 v9, 0xff, v16
	v_and_b32_e32 v18, 0xff00, v16
	;; [unrolled: 1-line block ×4, first 2 shown]
	v_or3_b32 v15, v15, 0, 0
	s_delay_alu instid0(VALU_DEP_4) | instskip(SKIP_1) | instid1(VALU_DEP_2)
	v_or_b32_e32 v18, v9, v18
	v_add_nc_u32_e32 v9, -8, v17
	v_or3_b32 v16, v18, v19, v16
.LBB0_27:                               ;   in Loop: Header=BB0_3 Depth=1
	s_or_b32 exec_lo, exec_lo, s0
                                        ; implicit-def: $vgpr17_vgpr18
                                        ; implicit-def: $sgpr1
	s_delay_alu instid0(SALU_CYCLE_1) | instskip(NEXT) | instid1(VALU_DEP_1)
	s_mov_b32 s0, exec_lo
	v_cmpx_gt_u32_e32 8, v9
	s_xor_b32 s6, exec_lo, s0
	s_cbranch_execz .LBB0_33
; %bb.28:                               ;   in Loop: Header=BB0_3 Depth=1
	v_mov_b32_e32 v17, 0
	v_mov_b32_e32 v18, 0
	s_mov_b32 s7, exec_lo
	v_cmpx_ne_u32_e32 0, v9
	s_cbranch_execz .LBB0_32
; %bb.29:                               ;   in Loop: Header=BB0_3 Depth=1
	v_mov_b32_e32 v17, 0
	v_mov_b32_e32 v18, 0
	s_mov_b64 s[0:1], 0
	s_mov_b32 s13, 0
	s_mov_b64 s[4:5], 0
	.p2align	6
.LBB0_30:                               ;   Parent Loop BB0_3 Depth=1
                                        ; =>  This Inner Loop Header: Depth=2
	s_delay_alu instid0(SALU_CYCLE_1)
	v_add_co_u32 v19, vcc_lo, v25, s4
	v_add_co_ci_u32_e32 v20, vcc_lo, s5, v26, vcc_lo
	s_add_u32 s4, s4, 1
	s_addc_u32 s5, s5, 0
	v_cmp_eq_u32_e32 vcc_lo, s4, v9
	flat_load_u8 v19, v[19:20]
	s_waitcnt vmcnt(0) lgkmcnt(0)
	v_dual_mov_b32 v20, s11 :: v_dual_and_b32 v19, 0xffff, v19
	s_delay_alu instid0(VALU_DEP_1) | instskip(SKIP_3) | instid1(VALU_DEP_1)
	v_lshlrev_b64 v[19:20], s0, v[19:20]
	s_add_u32 s0, s0, 8
	s_addc_u32 s1, s1, 0
	s_or_b32 s13, vcc_lo, s13
	v_or_b32_e32 v18, v20, v18
	s_delay_alu instid0(VALU_DEP_2)
	v_or_b32_e32 v17, v19, v17
	s_and_not1_b32 exec_lo, exec_lo, s13
	s_cbranch_execnz .LBB0_30
; %bb.31:                               ;   in Loop: Header=BB0_3 Depth=1
	s_or_b32 exec_lo, exec_lo, s13
.LBB0_32:                               ;   in Loop: Header=BB0_3 Depth=1
	s_delay_alu instid0(SALU_CYCLE_1)
	s_or_b32 exec_lo, exec_lo, s7
	s_mov_b32 s1, 0
                                        ; implicit-def: $vgpr9
.LBB0_33:                               ;   in Loop: Header=BB0_3 Depth=1
	s_or_saveexec_b32 s0, s6
	v_mov_b32_e32 v21, s1
	s_xor_b32 exec_lo, exec_lo, s0
	s_cbranch_execz .LBB0_35
; %bb.34:                               ;   in Loop: Header=BB0_3 Depth=1
	flat_load_b64 v[17:18], v[25:26]
	v_add_co_u32 v25, vcc_lo, v25, 8
	v_add_nc_u32_e32 v21, -8, v9
	v_add_co_ci_u32_e32 v26, vcc_lo, 0, v26, vcc_lo
	s_waitcnt vmcnt(0) lgkmcnt(0)
	v_and_b32_e32 v19, 0xff, v18
	v_and_b32_e32 v20, 0xff00, v18
	;; [unrolled: 1-line block ×4, first 2 shown]
	v_or3_b32 v17, v17, 0, 0
	s_delay_alu instid0(VALU_DEP_4) | instskip(NEXT) | instid1(VALU_DEP_1)
	v_or_b32_e32 v19, v19, v20
	v_or3_b32 v18, v19, v22, v18
.LBB0_35:                               ;   in Loop: Header=BB0_3 Depth=1
	s_or_b32 exec_lo, exec_lo, s0
                                        ; implicit-def: $sgpr1
	s_delay_alu instid0(SALU_CYCLE_1)
	s_mov_b32 s0, exec_lo
	v_cmpx_gt_u32_e32 8, v21
	s_xor_b32 s6, exec_lo, s0
	s_cbranch_execz .LBB0_41
; %bb.36:                               ;   in Loop: Header=BB0_3 Depth=1
	v_mov_b32_e32 v19, 0
	v_mov_b32_e32 v20, 0
	s_mov_b32 s7, exec_lo
	v_cmpx_ne_u32_e32 0, v21
	s_cbranch_execz .LBB0_40
; %bb.37:                               ;   in Loop: Header=BB0_3 Depth=1
	v_mov_b32_e32 v19, 0
	v_mov_b32_e32 v20, 0
	s_mov_b64 s[0:1], 0
	s_mov_b32 s13, 0
	s_mov_b64 s[4:5], 0
	.p2align	6
.LBB0_38:                               ;   Parent Loop BB0_3 Depth=1
                                        ; =>  This Inner Loop Header: Depth=2
	s_delay_alu instid0(SALU_CYCLE_1)
	v_add_co_u32 v22, vcc_lo, v25, s4
	v_add_co_ci_u32_e32 v23, vcc_lo, s5, v26, vcc_lo
	s_add_u32 s4, s4, 1
	s_addc_u32 s5, s5, 0
	v_cmp_eq_u32_e32 vcc_lo, s4, v21
	flat_load_u8 v9, v[22:23]
	s_waitcnt vmcnt(0) lgkmcnt(0)
	v_dual_mov_b32 v23, s11 :: v_dual_and_b32 v22, 0xffff, v9
	s_delay_alu instid0(VALU_DEP_1) | instskip(SKIP_3) | instid1(VALU_DEP_1)
	v_lshlrev_b64 v[22:23], s0, v[22:23]
	s_add_u32 s0, s0, 8
	s_addc_u32 s1, s1, 0
	s_or_b32 s13, vcc_lo, s13
	v_or_b32_e32 v20, v23, v20
	s_delay_alu instid0(VALU_DEP_2)
	v_or_b32_e32 v19, v22, v19
	s_and_not1_b32 exec_lo, exec_lo, s13
	s_cbranch_execnz .LBB0_38
; %bb.39:                               ;   in Loop: Header=BB0_3 Depth=1
	s_or_b32 exec_lo, exec_lo, s13
.LBB0_40:                               ;   in Loop: Header=BB0_3 Depth=1
	s_delay_alu instid0(SALU_CYCLE_1)
	s_or_b32 exec_lo, exec_lo, s7
	s_mov_b32 s1, 0
                                        ; implicit-def: $vgpr21
.LBB0_41:                               ;   in Loop: Header=BB0_3 Depth=1
	s_or_saveexec_b32 s0, s6
	v_mov_b32_e32 v9, s1
	s_xor_b32 exec_lo, exec_lo, s0
	s_cbranch_execz .LBB0_43
; %bb.42:                               ;   in Loop: Header=BB0_3 Depth=1
	flat_load_b64 v[19:20], v[25:26]
	v_add_co_u32 v25, vcc_lo, v25, 8
	v_add_co_ci_u32_e32 v26, vcc_lo, 0, v26, vcc_lo
	s_waitcnt vmcnt(0) lgkmcnt(0)
	v_and_b32_e32 v9, 0xff, v20
	v_and_b32_e32 v22, 0xff00, v20
	;; [unrolled: 1-line block ×4, first 2 shown]
	v_or3_b32 v19, v19, 0, 0
	s_delay_alu instid0(VALU_DEP_4) | instskip(SKIP_1) | instid1(VALU_DEP_2)
	v_or_b32_e32 v22, v9, v22
	v_add_nc_u32_e32 v9, -8, v21
	v_or3_b32 v20, v22, v23, v20
.LBB0_43:                               ;   in Loop: Header=BB0_3 Depth=1
	s_or_b32 exec_lo, exec_lo, s0
                                        ; implicit-def: $vgpr21_vgpr22
                                        ; implicit-def: $sgpr1
	s_delay_alu instid0(SALU_CYCLE_1) | instskip(NEXT) | instid1(VALU_DEP_1)
	s_mov_b32 s0, exec_lo
	v_cmpx_gt_u32_e32 8, v9
	s_xor_b32 s6, exec_lo, s0
	s_cbranch_execz .LBB0_49
; %bb.44:                               ;   in Loop: Header=BB0_3 Depth=1
	v_mov_b32_e32 v21, 0
	v_mov_b32_e32 v22, 0
	s_mov_b32 s7, exec_lo
	v_cmpx_ne_u32_e32 0, v9
	s_cbranch_execz .LBB0_48
; %bb.45:                               ;   in Loop: Header=BB0_3 Depth=1
	v_mov_b32_e32 v21, 0
	v_mov_b32_e32 v22, 0
	s_mov_b64 s[0:1], 0
	s_mov_b32 s13, 0
	s_mov_b64 s[4:5], 0
	.p2align	6
.LBB0_46:                               ;   Parent Loop BB0_3 Depth=1
                                        ; =>  This Inner Loop Header: Depth=2
	s_delay_alu instid0(SALU_CYCLE_1)
	v_add_co_u32 v23, vcc_lo, v25, s4
	v_add_co_ci_u32_e32 v24, vcc_lo, s5, v26, vcc_lo
	s_add_u32 s4, s4, 1
	s_addc_u32 s5, s5, 0
	v_cmp_eq_u32_e32 vcc_lo, s4, v9
	flat_load_u8 v23, v[23:24]
	s_waitcnt vmcnt(0) lgkmcnt(0)
	v_dual_mov_b32 v24, s11 :: v_dual_and_b32 v23, 0xffff, v23
	s_delay_alu instid0(VALU_DEP_1) | instskip(SKIP_3) | instid1(VALU_DEP_1)
	v_lshlrev_b64 v[23:24], s0, v[23:24]
	s_add_u32 s0, s0, 8
	s_addc_u32 s1, s1, 0
	s_or_b32 s13, vcc_lo, s13
	v_or_b32_e32 v22, v24, v22
	s_delay_alu instid0(VALU_DEP_2)
	v_or_b32_e32 v21, v23, v21
	s_and_not1_b32 exec_lo, exec_lo, s13
	s_cbranch_execnz .LBB0_46
; %bb.47:                               ;   in Loop: Header=BB0_3 Depth=1
	s_or_b32 exec_lo, exec_lo, s13
.LBB0_48:                               ;   in Loop: Header=BB0_3 Depth=1
	s_delay_alu instid0(SALU_CYCLE_1)
	s_or_b32 exec_lo, exec_lo, s7
	s_mov_b32 s1, 0
                                        ; implicit-def: $vgpr9
.LBB0_49:                               ;   in Loop: Header=BB0_3 Depth=1
	s_or_saveexec_b32 s0, s6
	v_mov_b32_e32 v27, s1
	s_xor_b32 exec_lo, exec_lo, s0
	s_cbranch_execz .LBB0_51
; %bb.50:                               ;   in Loop: Header=BB0_3 Depth=1
	flat_load_b64 v[21:22], v[25:26]
	v_add_co_u32 v25, vcc_lo, v25, 8
	v_add_nc_u32_e32 v27, -8, v9
	v_add_co_ci_u32_e32 v26, vcc_lo, 0, v26, vcc_lo
	s_waitcnt vmcnt(0) lgkmcnt(0)
	v_and_b32_e32 v23, 0xff, v22
	v_and_b32_e32 v24, 0xff00, v22
	;; [unrolled: 1-line block ×4, first 2 shown]
	v_or3_b32 v21, v21, 0, 0
	s_delay_alu instid0(VALU_DEP_4) | instskip(NEXT) | instid1(VALU_DEP_1)
	v_or_b32_e32 v23, v23, v24
	v_or3_b32 v22, v23, v28, v22
.LBB0_51:                               ;   in Loop: Header=BB0_3 Depth=1
	s_or_b32 exec_lo, exec_lo, s0
	s_delay_alu instid0(SALU_CYCLE_1)
	s_mov_b32 s0, exec_lo
	v_cmpx_gt_u32_e32 8, v27
	s_xor_b32 s4, exec_lo, s0
	s_cbranch_execz .LBB0_57
; %bb.52:                               ;   in Loop: Header=BB0_3 Depth=1
	v_mov_b32_e32 v23, 0
	v_mov_b32_e32 v24, 0
	s_mov_b32 s5, exec_lo
	v_cmpx_ne_u32_e32 0, v27
	s_cbranch_execz .LBB0_56
; %bb.53:                               ;   in Loop: Header=BB0_3 Depth=1
	v_mov_b32_e32 v23, 0
	v_mov_b32_e32 v24, 0
	s_mov_b64 s[0:1], 0
	s_mov_b32 s6, 0
	.p2align	6
.LBB0_54:                               ;   Parent Loop BB0_3 Depth=1
                                        ; =>  This Inner Loop Header: Depth=2
	flat_load_u8 v9, v[25:26]
	v_dual_mov_b32 v32, s11 :: v_dual_add_nc_u32 v27, -1, v27
	v_add_co_u32 v25, vcc_lo, v25, 1
	v_add_co_ci_u32_e32 v26, vcc_lo, 0, v26, vcc_lo
	s_delay_alu instid0(VALU_DEP_3) | instskip(SKIP_2) | instid1(VALU_DEP_1)
	v_cmp_eq_u32_e32 vcc_lo, 0, v27
	s_waitcnt vmcnt(0) lgkmcnt(0)
	v_and_b32_e32 v31, 0xffff, v9
	v_lshlrev_b64 v[31:32], s0, v[31:32]
	s_add_u32 s0, s0, 8
	s_addc_u32 s1, s1, 0
	s_or_b32 s6, vcc_lo, s6
	s_delay_alu instid0(VALU_DEP_1) | instskip(NEXT) | instid1(VALU_DEP_2)
	v_or_b32_e32 v24, v32, v24
	v_or_b32_e32 v23, v31, v23
	s_and_not1_b32 exec_lo, exec_lo, s6
	s_cbranch_execnz .LBB0_54
; %bb.55:                               ;   in Loop: Header=BB0_3 Depth=1
	s_or_b32 exec_lo, exec_lo, s6
.LBB0_56:                               ;   in Loop: Header=BB0_3 Depth=1
	s_delay_alu instid0(SALU_CYCLE_1)
	s_or_b32 exec_lo, exec_lo, s5
                                        ; implicit-def: $vgpr25_vgpr26
.LBB0_57:                               ;   in Loop: Header=BB0_3 Depth=1
	s_and_not1_saveexec_b32 s0, s4
	s_cbranch_execz .LBB0_59
; %bb.58:                               ;   in Loop: Header=BB0_3 Depth=1
	flat_load_b64 v[23:24], v[25:26]
	s_waitcnt vmcnt(0) lgkmcnt(0)
	v_and_b32_e32 v9, 0xff, v24
	v_and_b32_e32 v25, 0xff00, v24
	;; [unrolled: 1-line block ×4, first 2 shown]
	v_or3_b32 v23, v23, 0, 0
	s_delay_alu instid0(VALU_DEP_4) | instskip(NEXT) | instid1(VALU_DEP_1)
	v_or_b32_e32 v9, v9, v25
	v_or3_b32 v24, v9, v26, v24
.LBB0_59:                               ;   in Loop: Header=BB0_3 Depth=1
	s_or_b32 exec_lo, exec_lo, s0
	v_readfirstlane_b32 s0, v33
	v_mov_b32_e32 v31, 0
	v_mov_b32_e32 v32, 0
	s_delay_alu instid0(VALU_DEP_3) | instskip(NEXT) | instid1(VALU_DEP_1)
	v_cmp_eq_u32_e64 s0, s0, v33
	s_and_saveexec_b32 s1, s0
	s_cbranch_execz .LBB0_65
; %bb.60:                               ;   in Loop: Header=BB0_3 Depth=1
	s_waitcnt lgkmcnt(0)
	global_load_b64 v[27:28], v10, s[2:3] offset:24 glc
	s_waitcnt vmcnt(0)
	buffer_gl1_inv
	buffer_gl0_inv
	s_clause 0x1
	global_load_b64 v[25:26], v10, s[2:3] offset:40
	global_load_b64 v[31:32], v10, s[2:3]
	s_mov_b32 s4, exec_lo
	s_waitcnt vmcnt(1)
	v_and_b32_e32 v9, v26, v28
	v_and_b32_e32 v25, v25, v27
	s_delay_alu instid0(VALU_DEP_2) | instskip(NEXT) | instid1(VALU_DEP_2)
	v_mul_lo_u32 v9, v9, 24
	v_mul_hi_u32 v26, v25, 24
	v_mul_lo_u32 v25, v25, 24
	s_delay_alu instid0(VALU_DEP_2) | instskip(SKIP_1) | instid1(VALU_DEP_2)
	v_add_nc_u32_e32 v9, v26, v9
	s_waitcnt vmcnt(0)
	v_add_co_u32 v25, vcc_lo, v31, v25
	s_delay_alu instid0(VALU_DEP_2)
	v_add_co_ci_u32_e32 v26, vcc_lo, v32, v9, vcc_lo
	global_load_b64 v[25:26], v[25:26], off glc
	s_waitcnt vmcnt(0)
	global_atomic_cmpswap_b64 v[31:32], v10, v[25:28], s[2:3] offset:24 glc
	s_waitcnt vmcnt(0)
	buffer_gl1_inv
	buffer_gl0_inv
	v_cmpx_ne_u64_e64 v[31:32], v[27:28]
	s_cbranch_execz .LBB0_64
; %bb.61:                               ;   in Loop: Header=BB0_3 Depth=1
	s_mov_b32 s5, 0
	.p2align	6
.LBB0_62:                               ;   Parent Loop BB0_3 Depth=1
                                        ; =>  This Inner Loop Header: Depth=2
	s_sleep 1
	s_clause 0x1
	global_load_b64 v[25:26], v10, s[2:3] offset:40
	global_load_b64 v[34:35], v10, s[2:3]
	v_dual_mov_b32 v27, v31 :: v_dual_mov_b32 v28, v32
	s_waitcnt vmcnt(1)
	s_delay_alu instid0(VALU_DEP_1) | instskip(SKIP_1) | instid1(VALU_DEP_1)
	v_and_b32_e32 v9, v25, v27
	s_waitcnt vmcnt(0)
	v_mad_u64_u32 v[31:32], null, v9, 24, v[34:35]
	s_delay_alu instid0(VALU_DEP_1) | instskip(NEXT) | instid1(VALU_DEP_1)
	v_dual_mov_b32 v9, v32 :: v_dual_and_b32 v34, v26, v28
	v_mad_u64_u32 v[25:26], null, v34, 24, v[9:10]
	s_delay_alu instid0(VALU_DEP_1)
	v_mov_b32_e32 v32, v25
	global_load_b64 v[25:26], v[31:32], off glc
	s_waitcnt vmcnt(0)
	global_atomic_cmpswap_b64 v[31:32], v10, v[25:28], s[2:3] offset:24 glc
	s_waitcnt vmcnt(0)
	buffer_gl1_inv
	buffer_gl0_inv
	v_cmp_eq_u64_e32 vcc_lo, v[31:32], v[27:28]
	s_or_b32 s5, vcc_lo, s5
	s_delay_alu instid0(SALU_CYCLE_1)
	s_and_not1_b32 exec_lo, exec_lo, s5
	s_cbranch_execnz .LBB0_62
; %bb.63:                               ;   in Loop: Header=BB0_3 Depth=1
	s_or_b32 exec_lo, exec_lo, s5
.LBB0_64:                               ;   in Loop: Header=BB0_3 Depth=1
	s_delay_alu instid0(SALU_CYCLE_1)
	s_or_b32 exec_lo, exec_lo, s4
.LBB0_65:                               ;   in Loop: Header=BB0_3 Depth=1
	s_delay_alu instid0(SALU_CYCLE_1)
	s_or_b32 exec_lo, exec_lo, s1
	s_waitcnt lgkmcnt(0)
	s_clause 0x1
	global_load_b64 v[34:35], v10, s[2:3] offset:40
	global_load_b128 v[25:28], v10, s[2:3]
	v_readfirstlane_b32 s4, v31
	v_readfirstlane_b32 s5, v32
	s_mov_b32 s1, exec_lo
	s_waitcnt vmcnt(1)
	v_readfirstlane_b32 s6, v34
	v_readfirstlane_b32 s7, v35
	s_delay_alu instid0(VALU_DEP_1) | instskip(NEXT) | instid1(SALU_CYCLE_1)
	s_and_b64 s[6:7], s[4:5], s[6:7]
	s_mul_i32 s13, s7, 24
	s_mul_hi_u32 s14, s6, 24
	s_mul_i32 s15, s6, 24
	s_add_i32 s14, s14, s13
	s_waitcnt vmcnt(0)
	v_add_co_u32 v31, vcc_lo, v25, s15
	v_add_co_ci_u32_e32 v32, vcc_lo, s14, v26, vcc_lo
	s_and_saveexec_b32 s13, s0
	s_cbranch_execz .LBB0_67
; %bb.66:                               ;   in Loop: Header=BB0_3 Depth=1
	v_mov_b32_e32 v9, s1
	global_store_b128 v[31:32], v[9:12], off offset:8
.LBB0_67:                               ;   in Loop: Header=BB0_3 Depth=1
	s_or_b32 exec_lo, exec_lo, s13
	v_cmp_lt_u64_e32 vcc_lo, 56, v[4:5]
	v_or_b32_e32 v9, 0, v1
	v_or_b32_e32 v34, v0, v6
	v_lshl_add_u32 v35, v29, 2, 28
	s_lshl_b64 s[6:7], s[6:7], 12
	s_delay_alu instid0(SALU_CYCLE_1) | instskip(NEXT) | instid1(VALU_DEP_1)
	v_add_co_u32 v27, s1, v27, s6
	v_add_co_ci_u32_e64 v28, s1, s7, v28, s1
	v_dual_cndmask_b32 v1, v9, v1 :: v_dual_cndmask_b32 v0, v34, v0
	v_and_b32_e32 v9, 0x1e0, v35
	v_lshlrev_b32_e32 v34, 6, v33
	v_readfirstlane_b32 s6, v27
	v_readfirstlane_b32 s7, v28
	s_delay_alu instid0(VALU_DEP_4)
	v_and_or_b32 v0, 0xffffff1f, v0, v9
	s_clause 0x3
	global_store_b128 v34, v[0:3], s[6:7]
	global_store_b128 v34, v[13:16], s[6:7] offset:16
	global_store_b128 v34, v[17:20], s[6:7] offset:32
	;; [unrolled: 1-line block ×3, first 2 shown]
	s_and_saveexec_b32 s1, s0
	s_cbranch_execz .LBB0_75
; %bb.68:                               ;   in Loop: Header=BB0_3 Depth=1
	s_clause 0x1
	global_load_b64 v[17:18], v10, s[2:3] offset:32 glc
	global_load_b64 v[0:1], v10, s[2:3] offset:40
	v_dual_mov_b32 v15, s4 :: v_dual_mov_b32 v16, s5
	s_waitcnt vmcnt(0)
	v_readfirstlane_b32 s6, v0
	v_readfirstlane_b32 s7, v1
	s_delay_alu instid0(VALU_DEP_1) | instskip(NEXT) | instid1(SALU_CYCLE_1)
	s_and_b64 s[6:7], s[6:7], s[4:5]
	s_mul_i32 s7, s7, 24
	s_mul_hi_u32 s13, s6, 24
	s_mul_i32 s6, s6, 24
	s_add_i32 s13, s13, s7
	v_add_co_u32 v13, vcc_lo, v25, s6
	v_add_co_ci_u32_e32 v14, vcc_lo, s13, v26, vcc_lo
	s_mov_b32 s6, exec_lo
	global_store_b64 v[13:14], v[17:18], off
	s_waitcnt_vscnt null, 0x0
	global_atomic_cmpswap_b64 v[2:3], v10, v[15:18], s[2:3] offset:32 glc
	s_waitcnt vmcnt(0)
	v_cmpx_ne_u64_e64 v[2:3], v[17:18]
	s_cbranch_execz .LBB0_71
; %bb.69:                               ;   in Loop: Header=BB0_3 Depth=1
	s_mov_b32 s7, 0
.LBB0_70:                               ;   Parent Loop BB0_3 Depth=1
                                        ; =>  This Inner Loop Header: Depth=2
	v_dual_mov_b32 v0, s4 :: v_dual_mov_b32 v1, s5
	s_sleep 1
	global_store_b64 v[13:14], v[2:3], off
	s_waitcnt_vscnt null, 0x0
	global_atomic_cmpswap_b64 v[0:1], v10, v[0:3], s[2:3] offset:32 glc
	s_waitcnt vmcnt(0)
	v_cmp_eq_u64_e32 vcc_lo, v[0:1], v[2:3]
	v_dual_mov_b32 v3, v1 :: v_dual_mov_b32 v2, v0
	s_or_b32 s7, vcc_lo, s7
	s_delay_alu instid0(SALU_CYCLE_1)
	s_and_not1_b32 exec_lo, exec_lo, s7
	s_cbranch_execnz .LBB0_70
.LBB0_71:                               ;   in Loop: Header=BB0_3 Depth=1
	s_or_b32 exec_lo, exec_lo, s6
	global_load_b64 v[0:1], v10, s[2:3] offset:16
	s_mov_b32 s7, exec_lo
	s_mov_b32 s6, exec_lo
	v_mbcnt_lo_u32_b32 v2, s7, 0
	s_delay_alu instid0(VALU_DEP_1)
	v_cmpx_eq_u32_e32 0, v2
	s_cbranch_execz .LBB0_73
; %bb.72:                               ;   in Loop: Header=BB0_3 Depth=1
	s_bcnt1_i32_b32 s7, s7
	s_delay_alu instid0(SALU_CYCLE_1)
	v_mov_b32_e32 v9, s7
	s_waitcnt vmcnt(0)
	global_atomic_add_u64 v[0:1], v[9:10], off offset:8
.LBB0_73:                               ;   in Loop: Header=BB0_3 Depth=1
	s_or_b32 exec_lo, exec_lo, s6
	s_waitcnt vmcnt(0)
	global_load_b64 v[2:3], v[0:1], off offset:16
	s_waitcnt vmcnt(0)
	v_cmp_eq_u64_e32 vcc_lo, 0, v[2:3]
	s_cbranch_vccnz .LBB0_75
; %bb.74:                               ;   in Loop: Header=BB0_3 Depth=1
	global_load_b32 v9, v[0:1], off offset:24
	s_waitcnt vmcnt(0)
	v_and_b32_e32 v0, 0xffffff, v9
	s_waitcnt_vscnt null, 0x0
	global_store_b64 v[2:3], v[9:10], off
	v_readfirstlane_b32 m0, v0
	s_sendmsg sendmsg(MSG_INTERRUPT)
.LBB0_75:                               ;   in Loop: Header=BB0_3 Depth=1
	s_or_b32 exec_lo, exec_lo, s1
	v_add_co_u32 v0, vcc_lo, v27, v34
	v_add_co_ci_u32_e32 v1, vcc_lo, 0, v28, vcc_lo
	s_branch .LBB0_79
	.p2align	6
.LBB0_76:                               ;   in Loop: Header=BB0_79 Depth=2
	s_or_b32 exec_lo, exec_lo, s1
	s_delay_alu instid0(VALU_DEP_1) | instskip(NEXT) | instid1(VALU_DEP_1)
	v_readfirstlane_b32 s1, v2
	s_cmp_eq_u32 s1, 0
	s_cbranch_scc1 .LBB0_78
; %bb.77:                               ;   in Loop: Header=BB0_79 Depth=2
	s_sleep 1
	s_cbranch_execnz .LBB0_79
	s_branch .LBB0_81
	.p2align	6
.LBB0_78:                               ;   in Loop: Header=BB0_3 Depth=1
	s_branch .LBB0_81
.LBB0_79:                               ;   Parent Loop BB0_3 Depth=1
                                        ; =>  This Inner Loop Header: Depth=2
	v_mov_b32_e32 v2, 1
	s_and_saveexec_b32 s1, s0
	s_cbranch_execz .LBB0_76
; %bb.80:                               ;   in Loop: Header=BB0_79 Depth=2
	global_load_b32 v2, v[31:32], off offset:20 glc
	s_waitcnt vmcnt(0)
	buffer_gl1_inv
	buffer_gl0_inv
	v_and_b32_e32 v2, 1, v2
	s_branch .LBB0_76
.LBB0_81:                               ;   in Loop: Header=BB0_3 Depth=1
	global_load_b128 v[0:3], v[0:1], off
	s_and_saveexec_b32 s1, s0
	s_cbranch_execz .LBB0_2
; %bb.82:                               ;   in Loop: Header=BB0_3 Depth=1
	s_clause 0x2
	global_load_b64 v[2:3], v10, s[2:3] offset:40
	global_load_b64 v[17:18], v10, s[2:3] offset:24 glc
	global_load_b64 v[15:16], v10, s[2:3]
	s_waitcnt vmcnt(2)
	v_add_co_u32 v9, vcc_lo, v2, 1
	v_add_co_ci_u32_e32 v19, vcc_lo, 0, v3, vcc_lo
	s_delay_alu instid0(VALU_DEP_2) | instskip(NEXT) | instid1(VALU_DEP_2)
	v_add_co_u32 v13, vcc_lo, v9, s4
	v_add_co_ci_u32_e32 v14, vcc_lo, s5, v19, vcc_lo
	s_delay_alu instid0(VALU_DEP_1) | instskip(SKIP_1) | instid1(VALU_DEP_1)
	v_cmp_eq_u64_e32 vcc_lo, 0, v[13:14]
	v_dual_cndmask_b32 v14, v14, v19 :: v_dual_cndmask_b32 v13, v13, v9
	v_and_b32_e32 v3, v14, v3
	s_delay_alu instid0(VALU_DEP_2) | instskip(NEXT) | instid1(VALU_DEP_2)
	v_and_b32_e32 v2, v13, v2
	v_mul_lo_u32 v3, v3, 24
	s_delay_alu instid0(VALU_DEP_2) | instskip(SKIP_1) | instid1(VALU_DEP_2)
	v_mul_hi_u32 v9, v2, 24
	v_mul_lo_u32 v2, v2, 24
	v_add_nc_u32_e32 v3, v9, v3
	s_waitcnt vmcnt(0)
	s_delay_alu instid0(VALU_DEP_2) | instskip(SKIP_1) | instid1(VALU_DEP_3)
	v_add_co_u32 v2, vcc_lo, v15, v2
	v_mov_b32_e32 v15, v17
	v_add_co_ci_u32_e32 v3, vcc_lo, v16, v3, vcc_lo
	v_mov_b32_e32 v16, v18
	global_store_b64 v[2:3], v[17:18], off
	s_waitcnt_vscnt null, 0x0
	global_atomic_cmpswap_b64 v[15:16], v10, v[13:16], s[2:3] offset:24 glc
	s_waitcnt vmcnt(0)
	v_cmp_ne_u64_e32 vcc_lo, v[15:16], v[17:18]
	s_and_b32 exec_lo, exec_lo, vcc_lo
	s_cbranch_execz .LBB0_2
; %bb.83:                               ;   in Loop: Header=BB0_3 Depth=1
	s_mov_b32 s0, 0
.LBB0_84:                               ;   Parent Loop BB0_3 Depth=1
                                        ; =>  This Inner Loop Header: Depth=2
	s_sleep 1
	global_store_b64 v[2:3], v[15:16], off
	s_waitcnt_vscnt null, 0x0
	global_atomic_cmpswap_b64 v[17:18], v10, v[13:16], s[2:3] offset:24 glc
	s_waitcnt vmcnt(0)
	v_cmp_eq_u64_e32 vcc_lo, v[17:18], v[15:16]
	v_dual_mov_b32 v15, v17 :: v_dual_mov_b32 v16, v18
	s_or_b32 s0, vcc_lo, s0
	s_delay_alu instid0(SALU_CYCLE_1)
	s_and_not1_b32 exec_lo, exec_lo, s0
	s_cbranch_execnz .LBB0_84
	s_branch .LBB0_2
.LBB0_85:
	s_or_b32 exec_lo, exec_lo, s12
                                        ; implicit-def: $vgpr0
                                        ; implicit-def: $vgpr33
                                        ; implicit-def: $vgpr1
.LBB0_86:
	s_and_not1_saveexec_b32 s1, s10
	s_cbranch_execz .LBB0_108
; %bb.87:
	s_load_b64 s[2:3], s[8:9], 0x50
	v_readfirstlane_b32 s0, v33
	v_mov_b32_e32 v8, 0
	v_mov_b32_e32 v9, 0
	s_delay_alu instid0(VALU_DEP_3) | instskip(NEXT) | instid1(VALU_DEP_1)
	v_cmp_eq_u32_e64 s0, s0, v33
	s_and_saveexec_b32 s4, s0
	s_cbranch_execz .LBB0_93
; %bb.88:
	s_waitcnt vmcnt(0)
	v_mov_b32_e32 v2, 0
	s_mov_b32 s5, exec_lo
	s_waitcnt lgkmcnt(0)
	global_load_b64 v[5:6], v2, s[2:3] offset:24 glc
	s_waitcnt vmcnt(0)
	buffer_gl1_inv
	buffer_gl0_inv
	s_clause 0x1
	global_load_b64 v[3:4], v2, s[2:3] offset:40
	global_load_b64 v[7:8], v2, s[2:3]
	s_waitcnt vmcnt(1)
	v_and_b32_e32 v3, v3, v5
	v_and_b32_e32 v4, v4, v6
	s_delay_alu instid0(VALU_DEP_2) | instskip(NEXT) | instid1(VALU_DEP_2)
	v_mul_hi_u32 v9, v3, 24
	v_mul_lo_u32 v4, v4, 24
	v_mul_lo_u32 v3, v3, 24
	s_delay_alu instid0(VALU_DEP_2) | instskip(SKIP_1) | instid1(VALU_DEP_2)
	v_add_nc_u32_e32 v4, v9, v4
	s_waitcnt vmcnt(0)
	v_add_co_u32 v3, vcc_lo, v7, v3
	s_delay_alu instid0(VALU_DEP_2)
	v_add_co_ci_u32_e32 v4, vcc_lo, v8, v4, vcc_lo
	global_load_b64 v[3:4], v[3:4], off glc
	s_waitcnt vmcnt(0)
	global_atomic_cmpswap_b64 v[8:9], v2, v[3:6], s[2:3] offset:24 glc
	s_waitcnt vmcnt(0)
	buffer_gl1_inv
	buffer_gl0_inv
	v_cmpx_ne_u64_e64 v[8:9], v[5:6]
	s_cbranch_execz .LBB0_92
; %bb.89:
	s_mov_b32 s6, 0
	.p2align	6
.LBB0_90:                               ; =>This Inner Loop Header: Depth=1
	s_sleep 1
	s_clause 0x1
	global_load_b64 v[3:4], v2, s[2:3] offset:40
	global_load_b64 v[10:11], v2, s[2:3]
	v_dual_mov_b32 v5, v8 :: v_dual_mov_b32 v6, v9
	s_waitcnt vmcnt(1)
	s_delay_alu instid0(VALU_DEP_1) | instskip(NEXT) | instid1(VALU_DEP_2)
	v_and_b32_e32 v3, v3, v5
	v_and_b32_e32 v4, v4, v6
	s_waitcnt vmcnt(0)
	s_delay_alu instid0(VALU_DEP_2) | instskip(NEXT) | instid1(VALU_DEP_1)
	v_mad_u64_u32 v[7:8], null, v3, 24, v[10:11]
	v_mov_b32_e32 v3, v8
	s_delay_alu instid0(VALU_DEP_1)
	v_mad_u64_u32 v[8:9], null, v4, 24, v[3:4]
	global_load_b64 v[3:4], v[7:8], off glc
	s_waitcnt vmcnt(0)
	global_atomic_cmpswap_b64 v[8:9], v2, v[3:6], s[2:3] offset:24 glc
	s_waitcnt vmcnt(0)
	buffer_gl1_inv
	buffer_gl0_inv
	v_cmp_eq_u64_e32 vcc_lo, v[8:9], v[5:6]
	s_or_b32 s6, vcc_lo, s6
	s_delay_alu instid0(SALU_CYCLE_1)
	s_and_not1_b32 exec_lo, exec_lo, s6
	s_cbranch_execnz .LBB0_90
; %bb.91:
	s_or_b32 exec_lo, exec_lo, s6
.LBB0_92:
	s_delay_alu instid0(SALU_CYCLE_1)
	s_or_b32 exec_lo, exec_lo, s5
.LBB0_93:
	s_delay_alu instid0(SALU_CYCLE_1)
	s_or_b32 exec_lo, exec_lo, s4
	s_waitcnt vmcnt(0)
	v_mov_b32_e32 v2, 0
	v_readfirstlane_b32 s4, v8
	v_readfirstlane_b32 s5, v9
	s_mov_b32 s8, exec_lo
	s_waitcnt lgkmcnt(0)
	s_clause 0x1
	global_load_b64 v[10:11], v2, s[2:3] offset:40
	global_load_b128 v[4:7], v2, s[2:3]
	s_waitcnt vmcnt(1)
	v_readfirstlane_b32 s6, v10
	v_readfirstlane_b32 s7, v11
	s_delay_alu instid0(VALU_DEP_1) | instskip(NEXT) | instid1(SALU_CYCLE_1)
	s_and_b64 s[6:7], s[4:5], s[6:7]
	s_mul_i32 s9, s7, 24
	s_mul_hi_u32 s10, s6, 24
	s_mul_i32 s11, s6, 24
	s_add_i32 s10, s10, s9
	s_waitcnt vmcnt(0)
	v_add_co_u32 v8, vcc_lo, v4, s11
	v_add_co_ci_u32_e32 v9, vcc_lo, s10, v5, vcc_lo
	s_and_saveexec_b32 s9, s0
	s_cbranch_execz .LBB0_95
; %bb.94:
	v_dual_mov_b32 v10, s8 :: v_dual_mov_b32 v11, v2
	v_dual_mov_b32 v12, 2 :: v_dual_mov_b32 v13, 1
	global_store_b128 v[8:9], v[10:13], off offset:8
.LBB0_95:
	s_or_b32 exec_lo, exec_lo, s9
	s_lshl_b64 s[6:7], s[6:7], 12
	s_mov_b32 s8, 0
	v_add_co_u32 v6, vcc_lo, v6, s6
	v_add_co_ci_u32_e32 v7, vcc_lo, s7, v7, vcc_lo
	s_mov_b32 s11, s8
	s_mov_b32 s9, s8
	;; [unrolled: 1-line block ×3, first 2 shown]
	v_and_or_b32 v0, 0xffffff1f, v0, 32
	v_dual_mov_b32 v3, v2 :: v_dual_lshlrev_b32 v14, 6, v33
	v_readfirstlane_b32 s6, v6
	v_readfirstlane_b32 s7, v7
	v_dual_mov_b32 v13, s11 :: v_dual_mov_b32 v12, s10
	v_dual_mov_b32 v11, s9 :: v_dual_mov_b32 v10, s8
	s_clause 0x3
	global_store_b128 v14, v[0:3], s[6:7]
	global_store_b128 v14, v[10:13], s[6:7] offset:16
	global_store_b128 v14, v[10:13], s[6:7] offset:32
	;; [unrolled: 1-line block ×3, first 2 shown]
	s_and_saveexec_b32 s6, s0
	s_cbranch_execz .LBB0_102
; %bb.96:
	v_mov_b32_e32 v6, 0
	s_mov_b32 s7, exec_lo
	s_clause 0x1
	global_load_b64 v[12:13], v6, s[2:3] offset:32 glc
	global_load_b64 v[0:1], v6, s[2:3] offset:40
	v_dual_mov_b32 v11, s5 :: v_dual_mov_b32 v10, s4
	s_waitcnt vmcnt(0)
	v_and_b32_e32 v1, s5, v1
	v_and_b32_e32 v0, s4, v0
	s_delay_alu instid0(VALU_DEP_2) | instskip(NEXT) | instid1(VALU_DEP_2)
	v_mul_lo_u32 v1, v1, 24
	v_mul_hi_u32 v2, v0, 24
	v_mul_lo_u32 v0, v0, 24
	s_delay_alu instid0(VALU_DEP_2) | instskip(NEXT) | instid1(VALU_DEP_2)
	v_add_nc_u32_e32 v1, v2, v1
	v_add_co_u32 v4, vcc_lo, v4, v0
	s_delay_alu instid0(VALU_DEP_2)
	v_add_co_ci_u32_e32 v5, vcc_lo, v5, v1, vcc_lo
	global_store_b64 v[4:5], v[12:13], off
	s_waitcnt_vscnt null, 0x0
	global_atomic_cmpswap_b64 v[2:3], v6, v[10:13], s[2:3] offset:32 glc
	s_waitcnt vmcnt(0)
	v_cmpx_ne_u64_e64 v[2:3], v[12:13]
	s_cbranch_execz .LBB0_98
.LBB0_97:                               ; =>This Inner Loop Header: Depth=1
	v_dual_mov_b32 v0, s4 :: v_dual_mov_b32 v1, s5
	s_sleep 1
	global_store_b64 v[4:5], v[2:3], off
	s_waitcnt_vscnt null, 0x0
	global_atomic_cmpswap_b64 v[0:1], v6, v[0:3], s[2:3] offset:32 glc
	s_waitcnt vmcnt(0)
	v_cmp_eq_u64_e32 vcc_lo, v[0:1], v[2:3]
	v_dual_mov_b32 v3, v1 :: v_dual_mov_b32 v2, v0
	s_or_b32 s8, vcc_lo, s8
	s_delay_alu instid0(SALU_CYCLE_1)
	s_and_not1_b32 exec_lo, exec_lo, s8
	s_cbranch_execnz .LBB0_97
.LBB0_98:
	s_or_b32 exec_lo, exec_lo, s7
	v_mov_b32_e32 v3, 0
	s_mov_b32 s8, exec_lo
	s_mov_b32 s7, exec_lo
	v_mbcnt_lo_u32_b32 v2, s8, 0
	global_load_b64 v[0:1], v3, s[2:3] offset:16
	v_cmpx_eq_u32_e32 0, v2
	s_cbranch_execz .LBB0_100
; %bb.99:
	s_bcnt1_i32_b32 s8, s8
	s_delay_alu instid0(SALU_CYCLE_1)
	v_mov_b32_e32 v2, s8
	s_waitcnt vmcnt(0)
	global_atomic_add_u64 v[0:1], v[2:3], off offset:8
.LBB0_100:
	s_or_b32 exec_lo, exec_lo, s7
	s_waitcnt vmcnt(0)
	global_load_b64 v[2:3], v[0:1], off offset:16
	s_waitcnt vmcnt(0)
	v_cmp_eq_u64_e32 vcc_lo, 0, v[2:3]
	s_cbranch_vccnz .LBB0_102
; %bb.101:
	global_load_b32 v0, v[0:1], off offset:24
	s_waitcnt vmcnt(0)
	v_dual_mov_b32 v1, 0 :: v_dual_and_b32 v4, 0xffffff, v0
	s_waitcnt_vscnt null, 0x0
	global_store_b64 v[2:3], v[0:1], off
	v_readfirstlane_b32 m0, v4
	s_sendmsg sendmsg(MSG_INTERRUPT)
.LBB0_102:
	s_or_b32 exec_lo, exec_lo, s6
	s_branch .LBB0_106
	.p2align	6
.LBB0_103:                              ;   in Loop: Header=BB0_106 Depth=1
	s_or_b32 exec_lo, exec_lo, s6
	s_delay_alu instid0(VALU_DEP_1) | instskip(NEXT) | instid1(VALU_DEP_1)
	v_readfirstlane_b32 s6, v0
	s_cmp_eq_u32 s6, 0
	s_cbranch_scc1 .LBB0_105
; %bb.104:                              ;   in Loop: Header=BB0_106 Depth=1
	s_sleep 1
	s_cbranch_execnz .LBB0_106
	s_branch .LBB0_109
	.p2align	6
.LBB0_105:
	s_branch .LBB0_109
.LBB0_106:                              ; =>This Inner Loop Header: Depth=1
	v_mov_b32_e32 v0, 1
	s_and_saveexec_b32 s6, s0
	s_cbranch_execz .LBB0_103
; %bb.107:                              ;   in Loop: Header=BB0_106 Depth=1
	global_load_b32 v0, v[8:9], off offset:20 glc
	s_waitcnt vmcnt(0)
	buffer_gl1_inv
	buffer_gl0_inv
	v_and_b32_e32 v0, 1, v0
	s_branch .LBB0_103
.LBB0_108:
	s_or_b32 exec_lo, exec_lo, s1
	s_waitcnt vmcnt(0) lgkmcnt(0)
	s_setpc_b64 s[30:31]
.LBB0_109:
	s_and_saveexec_b32 s6, s0
	s_cbranch_execz .LBB0_113
; %bb.110:
	v_mov_b32_e32 v6, 0
	s_clause 0x2
	global_load_b64 v[2:3], v6, s[2:3] offset:40
	global_load_b64 v[7:8], v6, s[2:3] offset:24 glc
	global_load_b64 v[4:5], v6, s[2:3]
	s_waitcnt vmcnt(2)
	v_add_co_u32 v9, vcc_lo, v2, 1
	v_add_co_ci_u32_e32 v10, vcc_lo, 0, v3, vcc_lo
	s_delay_alu instid0(VALU_DEP_2) | instskip(NEXT) | instid1(VALU_DEP_2)
	v_add_co_u32 v0, vcc_lo, v9, s4
	v_add_co_ci_u32_e32 v1, vcc_lo, s5, v10, vcc_lo
	s_delay_alu instid0(VALU_DEP_1) | instskip(SKIP_1) | instid1(VALU_DEP_1)
	v_cmp_eq_u64_e32 vcc_lo, 0, v[0:1]
	v_dual_cndmask_b32 v1, v1, v10 :: v_dual_cndmask_b32 v0, v0, v9
	v_and_b32_e32 v3, v1, v3
	s_delay_alu instid0(VALU_DEP_2) | instskip(NEXT) | instid1(VALU_DEP_2)
	v_and_b32_e32 v2, v0, v2
	v_mul_lo_u32 v3, v3, 24
	s_delay_alu instid0(VALU_DEP_2) | instskip(SKIP_1) | instid1(VALU_DEP_2)
	v_mul_hi_u32 v9, v2, 24
	v_mul_lo_u32 v2, v2, 24
	v_add_nc_u32_e32 v3, v9, v3
	s_waitcnt vmcnt(0)
	s_delay_alu instid0(VALU_DEP_2) | instskip(SKIP_1) | instid1(VALU_DEP_3)
	v_add_co_u32 v4, vcc_lo, v4, v2
	v_mov_b32_e32 v2, v7
	v_add_co_ci_u32_e32 v5, vcc_lo, v5, v3, vcc_lo
	v_mov_b32_e32 v3, v8
	global_store_b64 v[4:5], v[7:8], off
	s_waitcnt_vscnt null, 0x0
	global_atomic_cmpswap_b64 v[2:3], v6, v[0:3], s[2:3] offset:24 glc
	s_waitcnt vmcnt(0)
	v_cmp_ne_u64_e32 vcc_lo, v[2:3], v[7:8]
	s_and_b32 exec_lo, exec_lo, vcc_lo
	s_cbranch_execz .LBB0_113
; %bb.111:
	s_mov_b32 s0, 0
.LBB0_112:                              ; =>This Inner Loop Header: Depth=1
	s_sleep 1
	global_store_b64 v[4:5], v[2:3], off
	s_waitcnt_vscnt null, 0x0
	global_atomic_cmpswap_b64 v[7:8], v6, v[0:3], s[2:3] offset:24 glc
	s_waitcnt vmcnt(0)
	v_cmp_eq_u64_e32 vcc_lo, v[7:8], v[2:3]
	v_dual_mov_b32 v2, v7 :: v_dual_mov_b32 v3, v8
	s_or_b32 s0, vcc_lo, s0
	s_delay_alu instid0(SALU_CYCLE_1)
	s_and_not1_b32 exec_lo, exec_lo, s0
	s_cbranch_execnz .LBB0_112
.LBB0_113:
	s_or_b32 exec_lo, exec_lo, s6
	s_delay_alu instid0(SALU_CYCLE_1)
	s_or_b32 exec_lo, exec_lo, s1
	s_waitcnt lgkmcnt(0)
	s_setpc_b64 s[30:31]
.Lfunc_end0:
	.size	__ockl_fprintf_append_string_n, .Lfunc_end0-__ockl_fprintf_append_string_n
                                        ; -- End function
	.section	.AMDGPU.csdata,"",@progbits
; Function info:
; codeLenInByte = 4740
; NumSgprs: 34
; NumVgprs: 36
; ScratchSize: 0
; MemoryBound: 0
	.text
	.p2align	2                               ; -- Begin function __assert_fail
	.type	__assert_fail,@function
__assert_fail:                          ; @__assert_fail
; %bb.0:
	s_waitcnt vmcnt(0) expcnt(0) lgkmcnt(0)
	s_mov_b32 s20, s33
	s_mov_b32 s33, s32
	s_or_saveexec_b32 s0, -1
	scratch_store_b32 off, v40, s33 offset:48 ; 4-byte Folded Spill
	s_mov_b32 exec_lo, s0
	v_writelane_b32 v40, s30, 0
	s_add_i32 s32, s32, 64
	v_writelane_b32 v40, s31, 1
	s_getpc_b64 s[0:1]
	s_add_u32 s0, s0, __const.__assert_fail.fmt@rel32@lo+4
	s_addc_u32 s1, s1, __const.__assert_fail.fmt@rel32@hi+12
	s_getpc_b64 s[2:3]
	s_add_u32 s2, s2, __const.__assert_fail.fmt@rel32@lo+20
	s_addc_u32 s3, s3, __const.__assert_fail.fmt@rel32@hi+28
	v_mbcnt_lo_u32_b32 v35, -1, 0
	s_clause 0x1
	s_load_b128 s[4:7], s[0:1], 0x0
	s_load_b128 s[12:15], s[2:3], 0x0
	s_load_b64 s[2:3], s[8:9], 0x50
	v_dual_mov_b32 v5, v1 :: v_dual_mov_b32 v4, v0
	v_mov_b32_e32 v14, 0x73256020
	v_readfirstlane_b32 s0, v35
	v_mov_b32_e32 v0, 0
	v_dual_mov_b32 v2, 0 :: v_dual_mov_b32 v3, 0xa2e
	v_mov_b32_e32 v15, 0x61662027
	v_dual_mov_b32 v16, 0x64656c69 :: v_dual_mov_b32 v1, 0
	v_cmp_eq_u32_e64 s0, s0, v35
	s_waitcnt lgkmcnt(0)
	v_dual_mov_b32 v9, s7 :: v_dual_mov_b32 v8, s6
	v_dual_mov_b32 v7, s5 :: v_dual_mov_b32 v6, s4
	;; [unrolled: 1-line block ×4, first 2 shown]
	s_clause 0x4
	scratch_store_b128 off, v[6:9], s33
	scratch_store_b128 off, v[10:13], s33 offset:16
	scratch_store_b8 off, v2, s33 offset:46
	scratch_store_b16 off, v3, s33 offset:44
	scratch_store_b96 off, v[14:16], s33 offset:32
	s_and_saveexec_b32 s1, s0
	s_cbranch_execz .LBB1_6
; %bb.1:
	global_load_b64 v[8:9], v2, s[2:3] offset:24 glc
	s_waitcnt vmcnt(0)
	buffer_gl1_inv
	buffer_gl0_inv
	s_clause 0x1
	global_load_b64 v[0:1], v2, s[2:3] offset:40
	global_load_b64 v[6:7], v2, s[2:3]
	s_mov_b32 s4, exec_lo
	s_waitcnt vmcnt(1)
	v_and_b32_e32 v1, v1, v9
	v_and_b32_e32 v0, v0, v8
	s_delay_alu instid0(VALU_DEP_2) | instskip(NEXT) | instid1(VALU_DEP_2)
	v_mul_lo_u32 v1, v1, 24
	v_mul_hi_u32 v3, v0, 24
	v_mul_lo_u32 v0, v0, 24
	s_delay_alu instid0(VALU_DEP_2) | instskip(SKIP_1) | instid1(VALU_DEP_2)
	v_add_nc_u32_e32 v1, v3, v1
	s_waitcnt vmcnt(0)
	v_add_co_u32 v0, vcc_lo, v6, v0
	s_delay_alu instid0(VALU_DEP_2)
	v_add_co_ci_u32_e32 v1, vcc_lo, v7, v1, vcc_lo
	global_load_b64 v[6:7], v[0:1], off glc
	s_waitcnt vmcnt(0)
	global_atomic_cmpswap_b64 v[0:1], v2, v[6:9], s[2:3] offset:24 glc
	s_waitcnt vmcnt(0)
	buffer_gl1_inv
	buffer_gl0_inv
	v_cmpx_ne_u64_e64 v[0:1], v[8:9]
	s_cbranch_execz .LBB1_5
; %bb.2:
	s_mov_b32 s5, 0
	.p2align	6
.LBB1_3:                                ; =>This Inner Loop Header: Depth=1
	s_sleep 1
	s_clause 0x1
	global_load_b64 v[6:7], v2, s[2:3] offset:40
	global_load_b64 v[10:11], v2, s[2:3]
	v_dual_mov_b32 v9, v1 :: v_dual_mov_b32 v8, v0
	s_waitcnt vmcnt(1)
	s_delay_alu instid0(VALU_DEP_1) | instskip(SKIP_1) | instid1(VALU_DEP_1)
	v_and_b32_e32 v3, v6, v8
	s_waitcnt vmcnt(0)
	v_mad_u64_u32 v[0:1], null, v3, 24, v[10:11]
	v_and_b32_e32 v3, v7, v9
	s_delay_alu instid0(VALU_DEP_1) | instskip(NEXT) | instid1(VALU_DEP_1)
	v_mad_u64_u32 v[6:7], null, v3, 24, v[1:2]
	v_mov_b32_e32 v1, v6
	global_load_b64 v[6:7], v[0:1], off glc
	s_waitcnt vmcnt(0)
	global_atomic_cmpswap_b64 v[0:1], v2, v[6:9], s[2:3] offset:24 glc
	s_waitcnt vmcnt(0)
	buffer_gl1_inv
	buffer_gl0_inv
	v_cmp_eq_u64_e32 vcc_lo, v[0:1], v[8:9]
	s_or_b32 s5, vcc_lo, s5
	s_delay_alu instid0(SALU_CYCLE_1)
	s_and_not1_b32 exec_lo, exec_lo, s5
	s_cbranch_execnz .LBB1_3
; %bb.4:
	s_or_b32 exec_lo, exec_lo, s5
.LBB1_5:
	s_delay_alu instid0(SALU_CYCLE_1)
	s_or_b32 exec_lo, exec_lo, s4
.LBB1_6:
	s_delay_alu instid0(SALU_CYCLE_1)
	s_or_b32 exec_lo, exec_lo, s1
	s_clause 0x1
	global_load_b64 v[10:11], v2, s[2:3] offset:40
	global_load_b128 v[6:9], v2, s[2:3]
	v_readfirstlane_b32 s4, v0
	v_readfirstlane_b32 s5, v1
	s_mov_b32 s1, exec_lo
	s_waitcnt vmcnt(1)
	v_readfirstlane_b32 s6, v10
	v_readfirstlane_b32 s7, v11
	s_delay_alu instid0(VALU_DEP_1) | instskip(NEXT) | instid1(SALU_CYCLE_1)
	s_and_b64 s[6:7], s[4:5], s[6:7]
	s_mul_i32 s10, s7, 24
	s_mul_hi_u32 s11, s6, 24
	s_mul_i32 s12, s6, 24
	s_add_i32 s11, s11, s10
	s_waitcnt vmcnt(0)
	v_add_co_u32 v10, vcc_lo, v6, s12
	v_add_co_ci_u32_e32 v11, vcc_lo, s11, v7, vcc_lo
	s_and_saveexec_b32 s10, s0
	s_cbranch_execz .LBB1_8
; %bb.7:
	v_dual_mov_b32 v0, s1 :: v_dual_mov_b32 v1, 0
	v_dual_mov_b32 v2, 2 :: v_dual_mov_b32 v3, 1
	global_store_b128 v[10:11], v[0:3], off offset:8
.LBB1_8:
	s_or_b32 exec_lo, exec_lo, s10
	s_lshl_b64 s[6:7], s[6:7], 12
	v_dual_mov_b32 v1, 0 :: v_dual_lshlrev_b32 v34, 6, v35
	v_add_co_u32 v8, vcc_lo, v8, s6
	v_add_co_ci_u32_e32 v9, vcc_lo, s7, v9, vcc_lo
	s_mov_b32 s12, 0
	s_delay_alu instid0(VALU_DEP_2)
	v_add_co_u32 v12, vcc_lo, v8, v34
	s_mov_b32 s15, s12
	s_mov_b32 s13, s12
	;; [unrolled: 1-line block ×3, first 2 shown]
	v_dual_mov_b32 v0, 33 :: v_dual_mov_b32 v3, v1
	v_dual_mov_b32 v2, 1 :: v_dual_mov_b32 v17, s15
	v_readfirstlane_b32 s6, v8
	v_readfirstlane_b32 s7, v9
	v_add_co_ci_u32_e32 v13, vcc_lo, 0, v9, vcc_lo
	v_dual_mov_b32 v16, s14 :: v_dual_mov_b32 v15, s13
	v_mov_b32_e32 v14, s12
	s_clause 0x3
	global_store_b128 v34, v[0:3], s[6:7]
	global_store_b128 v34, v[14:17], s[6:7] offset:16
	global_store_b128 v34, v[14:17], s[6:7] offset:32
	;; [unrolled: 1-line block ×3, first 2 shown]
	s_and_saveexec_b32 s1, s0
	s_cbranch_execz .LBB1_16
; %bb.9:
	s_clause 0x1
	global_load_b64 v[16:17], v1, s[2:3] offset:32 glc
	global_load_b64 v[2:3], v1, s[2:3] offset:40
	v_mov_b32_e32 v14, s4
	s_mov_b32 s6, exec_lo
	s_waitcnt vmcnt(0)
	v_dual_mov_b32 v15, s5 :: v_dual_and_b32 v0, s5, v3
	v_and_b32_e32 v2, s4, v2
	s_delay_alu instid0(VALU_DEP_2) | instskip(NEXT) | instid1(VALU_DEP_2)
	v_mul_lo_u32 v0, v0, 24
	v_mul_hi_u32 v3, v2, 24
	v_mul_lo_u32 v2, v2, 24
	s_delay_alu instid0(VALU_DEP_2) | instskip(NEXT) | instid1(VALU_DEP_2)
	v_add_nc_u32_e32 v0, v3, v0
	v_add_co_u32 v2, vcc_lo, v6, v2
	s_delay_alu instid0(VALU_DEP_2)
	v_add_co_ci_u32_e32 v3, vcc_lo, v7, v0, vcc_lo
	global_store_b64 v[2:3], v[16:17], off
	s_waitcnt_vscnt null, 0x0
	global_atomic_cmpswap_b64 v[8:9], v1, v[14:17], s[2:3] offset:32 glc
	s_waitcnt vmcnt(0)
	v_cmpx_ne_u64_e64 v[8:9], v[16:17]
	s_cbranch_execz .LBB1_12
; %bb.10:
	s_mov_b32 s7, 0
.LBB1_11:                               ; =>This Inner Loop Header: Depth=1
	v_dual_mov_b32 v6, s4 :: v_dual_mov_b32 v7, s5
	s_sleep 1
	global_store_b64 v[2:3], v[8:9], off
	s_waitcnt_vscnt null, 0x0
	global_atomic_cmpswap_b64 v[6:7], v1, v[6:9], s[2:3] offset:32 glc
	s_waitcnt vmcnt(0)
	v_cmp_eq_u64_e32 vcc_lo, v[6:7], v[8:9]
	v_dual_mov_b32 v9, v7 :: v_dual_mov_b32 v8, v6
	s_or_b32 s7, vcc_lo, s7
	s_delay_alu instid0(SALU_CYCLE_1)
	s_and_not1_b32 exec_lo, exec_lo, s7
	s_cbranch_execnz .LBB1_11
.LBB1_12:
	s_or_b32 exec_lo, exec_lo, s6
	v_mov_b32_e32 v3, 0
	s_mov_b32 s7, exec_lo
	s_mov_b32 s6, exec_lo
	v_mbcnt_lo_u32_b32 v2, s7, 0
	global_load_b64 v[0:1], v3, s[2:3] offset:16
	v_cmpx_eq_u32_e32 0, v2
	s_cbranch_execz .LBB1_14
; %bb.13:
	s_bcnt1_i32_b32 s7, s7
	s_delay_alu instid0(SALU_CYCLE_1)
	v_mov_b32_e32 v2, s7
	s_waitcnt vmcnt(0)
	global_atomic_add_u64 v[0:1], v[2:3], off offset:8
.LBB1_14:
	s_or_b32 exec_lo, exec_lo, s6
	s_waitcnt vmcnt(0)
	global_load_b64 v[2:3], v[0:1], off offset:16
	s_waitcnt vmcnt(0)
	v_cmp_eq_u64_e32 vcc_lo, 0, v[2:3]
	s_cbranch_vccnz .LBB1_16
; %bb.15:
	global_load_b32 v0, v[0:1], off offset:24
	s_waitcnt vmcnt(0)
	v_dual_mov_b32 v1, 0 :: v_dual_and_b32 v6, 0xffffff, v0
	s_waitcnt_vscnt null, 0x0
	global_store_b64 v[2:3], v[0:1], off
	v_readfirstlane_b32 m0, v6
	s_sendmsg sendmsg(MSG_INTERRUPT)
.LBB1_16:
	s_or_b32 exec_lo, exec_lo, s1
	s_branch .LBB1_20
	.p2align	6
.LBB1_17:                               ;   in Loop: Header=BB1_20 Depth=1
	s_or_b32 exec_lo, exec_lo, s1
	s_delay_alu instid0(VALU_DEP_1) | instskip(NEXT) | instid1(VALU_DEP_1)
	v_readfirstlane_b32 s1, v0
	s_cmp_eq_u32 s1, 0
	s_cbranch_scc1 .LBB1_19
; %bb.18:                               ;   in Loop: Header=BB1_20 Depth=1
	s_sleep 1
	s_cbranch_execnz .LBB1_20
	s_branch .LBB1_22
	.p2align	6
.LBB1_19:
	s_branch .LBB1_22
.LBB1_20:                               ; =>This Inner Loop Header: Depth=1
	v_mov_b32_e32 v0, 1
	s_and_saveexec_b32 s1, s0
	s_cbranch_execz .LBB1_17
; %bb.21:                               ;   in Loop: Header=BB1_20 Depth=1
	global_load_b32 v0, v[10:11], off offset:20 glc
	s_waitcnt vmcnt(0)
	buffer_gl1_inv
	buffer_gl0_inv
	v_and_b32_e32 v0, 1, v0
	s_branch .LBB1_17
.LBB1_22:
	global_load_b64 v[6:7], v[12:13], off
	s_and_saveexec_b32 s1, s0
	s_cbranch_execz .LBB1_26
; %bb.23:
	v_mov_b32_e32 v10, 0
	s_clause 0x2
	global_load_b64 v[2:3], v10, s[2:3] offset:40
	global_load_b64 v[11:12], v10, s[2:3] offset:24 glc
	global_load_b64 v[8:9], v10, s[2:3]
	s_waitcnt vmcnt(2)
	v_add_co_u32 v13, vcc_lo, v2, 1
	v_add_co_ci_u32_e32 v14, vcc_lo, 0, v3, vcc_lo
	s_delay_alu instid0(VALU_DEP_2) | instskip(NEXT) | instid1(VALU_DEP_2)
	v_add_co_u32 v0, vcc_lo, v13, s4
	v_add_co_ci_u32_e32 v1, vcc_lo, s5, v14, vcc_lo
	s_delay_alu instid0(VALU_DEP_1) | instskip(SKIP_1) | instid1(VALU_DEP_1)
	v_cmp_eq_u64_e32 vcc_lo, 0, v[0:1]
	v_dual_cndmask_b32 v1, v1, v14 :: v_dual_cndmask_b32 v0, v0, v13
	v_and_b32_e32 v3, v1, v3
	s_delay_alu instid0(VALU_DEP_2) | instskip(NEXT) | instid1(VALU_DEP_2)
	v_and_b32_e32 v2, v0, v2
	v_mul_lo_u32 v3, v3, 24
	s_delay_alu instid0(VALU_DEP_2) | instskip(SKIP_1) | instid1(VALU_DEP_2)
	v_mul_hi_u32 v13, v2, 24
	v_mul_lo_u32 v2, v2, 24
	v_add_nc_u32_e32 v3, v13, v3
	s_waitcnt vmcnt(0)
	s_delay_alu instid0(VALU_DEP_2) | instskip(SKIP_1) | instid1(VALU_DEP_3)
	v_add_co_u32 v8, vcc_lo, v8, v2
	v_mov_b32_e32 v2, v11
	v_add_co_ci_u32_e32 v9, vcc_lo, v9, v3, vcc_lo
	v_mov_b32_e32 v3, v12
	global_store_b64 v[8:9], v[11:12], off
	s_waitcnt_vscnt null, 0x0
	global_atomic_cmpswap_b64 v[2:3], v10, v[0:3], s[2:3] offset:24 glc
	s_waitcnt vmcnt(0)
	v_cmp_ne_u64_e32 vcc_lo, v[2:3], v[11:12]
	s_and_b32 exec_lo, exec_lo, vcc_lo
	s_cbranch_execz .LBB1_26
; %bb.24:
	s_mov_b32 s0, 0
.LBB1_25:                               ; =>This Inner Loop Header: Depth=1
	s_sleep 1
	global_store_b64 v[8:9], v[2:3], off
	s_waitcnt_vscnt null, 0x0
	global_atomic_cmpswap_b64 v[11:12], v10, v[0:3], s[2:3] offset:24 glc
	s_waitcnt vmcnt(0)
	v_cmp_eq_u64_e32 vcc_lo, v[11:12], v[2:3]
	v_dual_mov_b32 v2, v11 :: v_dual_mov_b32 v3, v12
	s_or_b32 s0, vcc_lo, s0
	s_delay_alu instid0(SALU_CYCLE_1)
	s_and_not1_b32 exec_lo, exec_lo, s0
	s_cbranch_execnz .LBB1_25
.LBB1_26:
	s_or_b32 exec_lo, exec_lo, s1
	v_mov_b32_e32 v1, s33
	s_mov_b32 s0, 0
.LBB1_27:                               ; =>This Inner Loop Header: Depth=1
	scratch_load_u8 v2, v1, off
	v_add_nc_u32_e32 v0, 1, v1
	s_delay_alu instid0(VALU_DEP_1) | instskip(SKIP_3) | instid1(SALU_CYCLE_1)
	v_mov_b32_e32 v1, v0
	s_waitcnt vmcnt(0)
	v_cmp_eq_u16_e32 vcc_lo, 0, v2
	s_or_b32 s0, vcc_lo, s0
	s_and_not1_b32 exec_lo, exec_lo, s0
	s_cbranch_execnz .LBB1_27
; %bb.28:
	s_or_b32 exec_lo, exec_lo, s0
	v_cmp_ne_u32_e64 s0, -1, s33
	s_delay_alu instid0(VALU_DEP_1)
	s_and_b32 vcc_lo, exec_lo, s0
	s_cbranch_vccz .LBB1_113
; %bb.29:
	v_subrev_nc_u32_e32 v28, s33, v0
	v_dual_mov_b32 v9, 0 :: v_dual_and_b32 v36, 2, v6
	v_dual_mov_b32 v1, v7 :: v_dual_and_b32 v0, -3, v6
	s_delay_alu instid0(VALU_DEP_3)
	v_ashrrev_i32_e32 v29, 31, v28
	v_dual_mov_b32 v37, s33 :: v_dual_mov_b32 v10, 2
	v_mov_b32_e32 v11, 1
	s_mov_b32 s11, 0
	s_mov_b32 s10, 0
	s_branch .LBB1_31
.LBB1_30:                               ;   in Loop: Header=BB1_31 Depth=1
	s_or_b32 exec_lo, exec_lo, s1
	v_sub_co_u32 v28, vcc_lo, v28, v30
	v_sub_co_ci_u32_e32 v29, vcc_lo, v29, v31, vcc_lo
	v_add_nc_u32_e32 v37, v37, v30
	s_delay_alu instid0(VALU_DEP_2) | instskip(SKIP_1) | instid1(SALU_CYCLE_1)
	v_cmp_eq_u64_e32 vcc_lo, 0, v[28:29]
	s_or_b32 s10, vcc_lo, s10
	s_and_not1_b32 exec_lo, exec_lo, s10
	s_cbranch_execz .LBB1_114
.LBB1_31:                               ; =>This Loop Header: Depth=1
                                        ;     Child Loop BB1_34 Depth 2
                                        ;     Child Loop BB1_42 Depth 2
	;; [unrolled: 1-line block ×11, first 2 shown]
	v_cmp_gt_u64_e32 vcc_lo, 56, v[28:29]
	s_mov_b32 s4, exec_lo
                                        ; implicit-def: $vgpr2_vgpr3
                                        ; implicit-def: $sgpr1
	v_dual_cndmask_b32 v31, 0, v29 :: v_dual_cndmask_b32 v30, 56, v28
	v_cmpx_gt_u64_e32 8, v[28:29]
	s_xor_b32 s4, exec_lo, s4
	s_cbranch_execz .LBB1_37
; %bb.32:                               ;   in Loop: Header=BB1_31 Depth=1
	s_waitcnt vmcnt(0)
	v_mov_b32_e32 v2, 0
	v_mov_b32_e32 v3, 0
	s_mov_b64 s[0:1], 0
	s_mov_b32 s5, exec_lo
	v_cmpx_ne_u64_e32 0, v[28:29]
	s_cbranch_execz .LBB1_36
; %bb.33:                               ;   in Loop: Header=BB1_31 Depth=1
	v_lshlrev_b64 v[12:13], 3, v[30:31]
	v_mov_b32_e32 v2, 0
	v_dual_mov_b32 v3, 0 :: v_dual_mov_b32 v8, v37
	s_mov_b32 s6, 0
.LBB1_34:                               ;   Parent Loop BB1_31 Depth=1
                                        ; =>  This Inner Loop Header: Depth=2
	scratch_load_u8 v13, v8, off
	v_mov_b32_e32 v14, s11
	v_add_nc_u32_e32 v8, 1, v8
	s_waitcnt vmcnt(0)
	v_and_b32_e32 v13, 0xffff, v13
	s_delay_alu instid0(VALU_DEP_1) | instskip(SKIP_3) | instid1(VALU_DEP_2)
	v_lshlrev_b64 v[13:14], s0, v[13:14]
	s_add_u32 s0, s0, 8
	s_addc_u32 s1, s1, 0
	v_cmp_eq_u32_e32 vcc_lo, s0, v12
	v_or_b32_e32 v3, v14, v3
	s_delay_alu instid0(VALU_DEP_3) | instskip(SKIP_1) | instid1(SALU_CYCLE_1)
	v_or_b32_e32 v2, v13, v2
	s_or_b32 s6, vcc_lo, s6
	s_and_not1_b32 exec_lo, exec_lo, s6
	s_cbranch_execnz .LBB1_34
; %bb.35:                               ;   in Loop: Header=BB1_31 Depth=1
	s_or_b32 exec_lo, exec_lo, s6
.LBB1_36:                               ;   in Loop: Header=BB1_31 Depth=1
	s_delay_alu instid0(SALU_CYCLE_1)
	s_or_b32 exec_lo, exec_lo, s5
	s_mov_b32 s1, 0
.LBB1_37:                               ;   in Loop: Header=BB1_31 Depth=1
	s_or_saveexec_b32 s0, s4
	v_mov_b32_e32 v14, s1
	v_mov_b32_e32 v8, v37
	s_xor_b32 exec_lo, exec_lo, s0
	s_cbranch_execz .LBB1_39
; %bb.38:                               ;   in Loop: Header=BB1_31 Depth=1
	scratch_load_b64 v[2:3], v37, off
	v_add_nc_u32_e32 v14, -8, v30
	s_waitcnt vmcnt(0)
	v_and_b32_e32 v8, 0xff, v3
	v_and_b32_e32 v12, 0xff00, v3
	;; [unrolled: 1-line block ×4, first 2 shown]
	v_or3_b32 v2, v2, 0, 0
	s_delay_alu instid0(VALU_DEP_4) | instskip(NEXT) | instid1(VALU_DEP_1)
	v_or_b32_e32 v8, v8, v12
	v_or3_b32 v3, v8, v13, v3
	v_add_nc_u32_e32 v8, 8, v37
.LBB1_39:                               ;   in Loop: Header=BB1_31 Depth=1
	s_or_b32 exec_lo, exec_lo, s0
                                        ; implicit-def: $vgpr12_vgpr13
                                        ; implicit-def: $sgpr1
	s_delay_alu instid0(SALU_CYCLE_1)
	s_mov_b32 s0, exec_lo
	v_cmpx_gt_u32_e32 8, v14
	s_xor_b32 s4, exec_lo, s0
	s_cbranch_execz .LBB1_45
; %bb.40:                               ;   in Loop: Header=BB1_31 Depth=1
	v_mov_b32_e32 v12, 0
	v_mov_b32_e32 v13, 0
	s_mov_b32 s5, exec_lo
	v_cmpx_ne_u32_e32 0, v14
	s_cbranch_execz .LBB1_44
; %bb.41:                               ;   in Loop: Header=BB1_31 Depth=1
	v_mov_b32_e32 v12, 0
	v_mov_b32_e32 v13, 0
	s_mov_b64 s[0:1], 0
	s_mov_b32 s6, 0
	s_mov_b32 s7, 0
	.p2align	6
.LBB1_42:                               ;   Parent Loop BB1_31 Depth=1
                                        ; =>  This Inner Loop Header: Depth=2
	s_delay_alu instid0(SALU_CYCLE_1) | instskip(SKIP_1) | instid1(SALU_CYCLE_1)
	v_dual_mov_b32 v16, s11 :: v_dual_add_nc_u32 v15, s7, v8
	s_add_i32 s7, s7, 1
	v_cmp_eq_u32_e32 vcc_lo, s7, v14
	scratch_load_u8 v15, v15, off
	s_waitcnt vmcnt(0)
	v_and_b32_e32 v15, 0xffff, v15
	s_delay_alu instid0(VALU_DEP_1) | instskip(SKIP_3) | instid1(VALU_DEP_1)
	v_lshlrev_b64 v[15:16], s0, v[15:16]
	s_add_u32 s0, s0, 8
	s_addc_u32 s1, s1, 0
	s_or_b32 s6, vcc_lo, s6
	v_or_b32_e32 v13, v16, v13
	s_delay_alu instid0(VALU_DEP_2)
	v_or_b32_e32 v12, v15, v12
	s_and_not1_b32 exec_lo, exec_lo, s6
	s_cbranch_execnz .LBB1_42
; %bb.43:                               ;   in Loop: Header=BB1_31 Depth=1
	s_or_b32 exec_lo, exec_lo, s6
.LBB1_44:                               ;   in Loop: Header=BB1_31 Depth=1
	s_delay_alu instid0(SALU_CYCLE_1)
	s_or_b32 exec_lo, exec_lo, s5
	s_mov_b32 s1, 0
                                        ; implicit-def: $vgpr14
.LBB1_45:                               ;   in Loop: Header=BB1_31 Depth=1
	s_or_saveexec_b32 s0, s4
	v_mov_b32_e32 v16, s1
	s_xor_b32 exec_lo, exec_lo, s0
	s_cbranch_execz .LBB1_47
; %bb.46:                               ;   in Loop: Header=BB1_31 Depth=1
	scratch_load_b64 v[12:13], v8, off
	v_add_nc_u32_e32 v8, 8, v8
	s_waitcnt vmcnt(0)
	v_and_b32_e32 v15, 0xff, v13
	v_and_b32_e32 v16, 0xff00, v13
	;; [unrolled: 1-line block ×4, first 2 shown]
	v_or3_b32 v12, v12, 0, 0
	s_delay_alu instid0(VALU_DEP_4) | instskip(SKIP_1) | instid1(VALU_DEP_2)
	v_or_b32_e32 v15, v15, v16
	v_add_nc_u32_e32 v16, -8, v14
	v_or3_b32 v13, v15, v17, v13
.LBB1_47:                               ;   in Loop: Header=BB1_31 Depth=1
	s_or_b32 exec_lo, exec_lo, s0
                                        ; implicit-def: $sgpr1
	s_delay_alu instid0(SALU_CYCLE_1) | instskip(NEXT) | instid1(VALU_DEP_1)
	s_mov_b32 s0, exec_lo
	v_cmpx_gt_u32_e32 8, v16
	s_xor_b32 s4, exec_lo, s0
	s_cbranch_execz .LBB1_53
; %bb.48:                               ;   in Loop: Header=BB1_31 Depth=1
	v_mov_b32_e32 v14, 0
	v_mov_b32_e32 v15, 0
	s_mov_b32 s5, exec_lo
	v_cmpx_ne_u32_e32 0, v16
	s_cbranch_execz .LBB1_52
; %bb.49:                               ;   in Loop: Header=BB1_31 Depth=1
	v_mov_b32_e32 v14, 0
	v_mov_b32_e32 v15, 0
	s_mov_b64 s[0:1], 0
	s_mov_b32 s6, 0
	s_mov_b32 s7, 0
	.p2align	6
.LBB1_50:                               ;   Parent Loop BB1_31 Depth=1
                                        ; =>  This Inner Loop Header: Depth=2
	s_delay_alu instid0(SALU_CYCLE_1) | instskip(SKIP_1) | instid1(SALU_CYCLE_1)
	v_dual_mov_b32 v18, s11 :: v_dual_add_nc_u32 v17, s7, v8
	s_add_i32 s7, s7, 1
	v_cmp_eq_u32_e32 vcc_lo, s7, v16
	scratch_load_u8 v17, v17, off
	s_waitcnt vmcnt(0)
	v_and_b32_e32 v17, 0xffff, v17
	s_delay_alu instid0(VALU_DEP_1) | instskip(SKIP_3) | instid1(VALU_DEP_1)
	v_lshlrev_b64 v[17:18], s0, v[17:18]
	s_add_u32 s0, s0, 8
	s_addc_u32 s1, s1, 0
	s_or_b32 s6, vcc_lo, s6
	v_or_b32_e32 v15, v18, v15
	s_delay_alu instid0(VALU_DEP_2)
	v_or_b32_e32 v14, v17, v14
	s_and_not1_b32 exec_lo, exec_lo, s6
	s_cbranch_execnz .LBB1_50
; %bb.51:                               ;   in Loop: Header=BB1_31 Depth=1
	s_or_b32 exec_lo, exec_lo, s6
.LBB1_52:                               ;   in Loop: Header=BB1_31 Depth=1
	s_delay_alu instid0(SALU_CYCLE_1)
	s_or_b32 exec_lo, exec_lo, s5
	s_mov_b32 s1, 0
                                        ; implicit-def: $vgpr16
.LBB1_53:                               ;   in Loop: Header=BB1_31 Depth=1
	s_or_saveexec_b32 s0, s4
	v_mov_b32_e32 v18, s1
	s_xor_b32 exec_lo, exec_lo, s0
	s_cbranch_execz .LBB1_55
; %bb.54:                               ;   in Loop: Header=BB1_31 Depth=1
	scratch_load_b64 v[14:15], v8, off
	v_add_nc_u32_e32 v8, 8, v8
	s_waitcnt vmcnt(0)
	v_and_b32_e32 v17, 0xff, v15
	v_and_b32_e32 v18, 0xff00, v15
	;; [unrolled: 1-line block ×4, first 2 shown]
	v_or3_b32 v14, v14, 0, 0
	s_delay_alu instid0(VALU_DEP_4) | instskip(SKIP_1) | instid1(VALU_DEP_2)
	v_or_b32_e32 v17, v17, v18
	v_add_nc_u32_e32 v18, -8, v16
	v_or3_b32 v15, v17, v19, v15
.LBB1_55:                               ;   in Loop: Header=BB1_31 Depth=1
	s_or_b32 exec_lo, exec_lo, s0
                                        ; implicit-def: $vgpr16_vgpr17
                                        ; implicit-def: $sgpr1
	s_delay_alu instid0(SALU_CYCLE_1) | instskip(NEXT) | instid1(VALU_DEP_1)
	s_mov_b32 s0, exec_lo
	v_cmpx_gt_u32_e32 8, v18
	s_xor_b32 s4, exec_lo, s0
	s_cbranch_execz .LBB1_61
; %bb.56:                               ;   in Loop: Header=BB1_31 Depth=1
	v_mov_b32_e32 v16, 0
	v_mov_b32_e32 v17, 0
	s_mov_b32 s5, exec_lo
	v_cmpx_ne_u32_e32 0, v18
	s_cbranch_execz .LBB1_60
; %bb.57:                               ;   in Loop: Header=BB1_31 Depth=1
	v_mov_b32_e32 v16, 0
	v_mov_b32_e32 v17, 0
	s_mov_b64 s[0:1], 0
	s_mov_b32 s6, 0
	s_mov_b32 s7, 0
	.p2align	6
.LBB1_58:                               ;   Parent Loop BB1_31 Depth=1
                                        ; =>  This Inner Loop Header: Depth=2
	s_delay_alu instid0(SALU_CYCLE_1) | instskip(SKIP_1) | instid1(SALU_CYCLE_1)
	v_dual_mov_b32 v20, s11 :: v_dual_add_nc_u32 v19, s7, v8
	s_add_i32 s7, s7, 1
	v_cmp_eq_u32_e32 vcc_lo, s7, v18
	scratch_load_u8 v19, v19, off
	s_waitcnt vmcnt(0)
	v_and_b32_e32 v19, 0xffff, v19
	s_delay_alu instid0(VALU_DEP_1) | instskip(SKIP_3) | instid1(VALU_DEP_1)
	v_lshlrev_b64 v[19:20], s0, v[19:20]
	s_add_u32 s0, s0, 8
	s_addc_u32 s1, s1, 0
	s_or_b32 s6, vcc_lo, s6
	v_or_b32_e32 v17, v20, v17
	s_delay_alu instid0(VALU_DEP_2)
	v_or_b32_e32 v16, v19, v16
	s_and_not1_b32 exec_lo, exec_lo, s6
	s_cbranch_execnz .LBB1_58
; %bb.59:                               ;   in Loop: Header=BB1_31 Depth=1
	s_or_b32 exec_lo, exec_lo, s6
.LBB1_60:                               ;   in Loop: Header=BB1_31 Depth=1
	s_delay_alu instid0(SALU_CYCLE_1)
	s_or_b32 exec_lo, exec_lo, s5
	s_mov_b32 s1, 0
                                        ; implicit-def: $vgpr18
.LBB1_61:                               ;   in Loop: Header=BB1_31 Depth=1
	s_or_saveexec_b32 s0, s4
	v_mov_b32_e32 v20, s1
	s_xor_b32 exec_lo, exec_lo, s0
	s_cbranch_execz .LBB1_63
; %bb.62:                               ;   in Loop: Header=BB1_31 Depth=1
	scratch_load_b64 v[16:17], v8, off
	v_add_nc_u32_e32 v8, 8, v8
	s_waitcnt vmcnt(0)
	v_and_b32_e32 v19, 0xff, v17
	v_and_b32_e32 v20, 0xff00, v17
	v_and_b32_e32 v21, 0xff0000, v17
	v_and_b32_e32 v17, 0xff000000, v17
	v_or3_b32 v16, v16, 0, 0
	s_delay_alu instid0(VALU_DEP_4) | instskip(SKIP_1) | instid1(VALU_DEP_2)
	v_or_b32_e32 v19, v19, v20
	v_add_nc_u32_e32 v20, -8, v18
	v_or3_b32 v17, v19, v21, v17
.LBB1_63:                               ;   in Loop: Header=BB1_31 Depth=1
	s_or_b32 exec_lo, exec_lo, s0
                                        ; implicit-def: $sgpr1
	s_delay_alu instid0(SALU_CYCLE_1) | instskip(NEXT) | instid1(VALU_DEP_1)
	s_mov_b32 s0, exec_lo
	v_cmpx_gt_u32_e32 8, v20
	s_xor_b32 s4, exec_lo, s0
	s_cbranch_execz .LBB1_69
; %bb.64:                               ;   in Loop: Header=BB1_31 Depth=1
	v_mov_b32_e32 v18, 0
	v_mov_b32_e32 v19, 0
	s_mov_b32 s5, exec_lo
	v_cmpx_ne_u32_e32 0, v20
	s_cbranch_execz .LBB1_68
; %bb.65:                               ;   in Loop: Header=BB1_31 Depth=1
	v_mov_b32_e32 v18, 0
	v_mov_b32_e32 v19, 0
	s_mov_b64 s[0:1], 0
	s_mov_b32 s6, 0
	s_mov_b32 s7, 0
	.p2align	6
.LBB1_66:                               ;   Parent Loop BB1_31 Depth=1
                                        ; =>  This Inner Loop Header: Depth=2
	s_delay_alu instid0(SALU_CYCLE_1) | instskip(SKIP_1) | instid1(SALU_CYCLE_1)
	v_dual_mov_b32 v22, s11 :: v_dual_add_nc_u32 v21, s7, v8
	s_add_i32 s7, s7, 1
	v_cmp_eq_u32_e32 vcc_lo, s7, v20
	scratch_load_u8 v21, v21, off
	s_waitcnt vmcnt(0)
	v_and_b32_e32 v21, 0xffff, v21
	s_delay_alu instid0(VALU_DEP_1) | instskip(SKIP_3) | instid1(VALU_DEP_1)
	v_lshlrev_b64 v[21:22], s0, v[21:22]
	s_add_u32 s0, s0, 8
	s_addc_u32 s1, s1, 0
	s_or_b32 s6, vcc_lo, s6
	v_or_b32_e32 v19, v22, v19
	s_delay_alu instid0(VALU_DEP_2)
	v_or_b32_e32 v18, v21, v18
	s_and_not1_b32 exec_lo, exec_lo, s6
	s_cbranch_execnz .LBB1_66
; %bb.67:                               ;   in Loop: Header=BB1_31 Depth=1
	s_or_b32 exec_lo, exec_lo, s6
.LBB1_68:                               ;   in Loop: Header=BB1_31 Depth=1
	s_delay_alu instid0(SALU_CYCLE_1)
	s_or_b32 exec_lo, exec_lo, s5
	s_mov_b32 s1, 0
                                        ; implicit-def: $vgpr20
.LBB1_69:                               ;   in Loop: Header=BB1_31 Depth=1
	s_or_saveexec_b32 s0, s4
	v_mov_b32_e32 v22, s1
	s_xor_b32 exec_lo, exec_lo, s0
	s_cbranch_execz .LBB1_71
; %bb.70:                               ;   in Loop: Header=BB1_31 Depth=1
	scratch_load_b64 v[18:19], v8, off
	v_add_nc_u32_e32 v8, 8, v8
	s_waitcnt vmcnt(0)
	v_and_b32_e32 v21, 0xff, v19
	v_and_b32_e32 v22, 0xff00, v19
	v_and_b32_e32 v23, 0xff0000, v19
	v_and_b32_e32 v19, 0xff000000, v19
	v_or3_b32 v18, v18, 0, 0
	s_delay_alu instid0(VALU_DEP_4) | instskip(SKIP_1) | instid1(VALU_DEP_2)
	v_or_b32_e32 v21, v21, v22
	v_add_nc_u32_e32 v22, -8, v20
	v_or3_b32 v19, v21, v23, v19
.LBB1_71:                               ;   in Loop: Header=BB1_31 Depth=1
	s_or_b32 exec_lo, exec_lo, s0
                                        ; implicit-def: $vgpr20_vgpr21
                                        ; implicit-def: $sgpr1
	s_delay_alu instid0(SALU_CYCLE_1) | instskip(NEXT) | instid1(VALU_DEP_1)
	s_mov_b32 s0, exec_lo
	v_cmpx_gt_u32_e32 8, v22
	s_xor_b32 s4, exec_lo, s0
	s_cbranch_execz .LBB1_77
; %bb.72:                               ;   in Loop: Header=BB1_31 Depth=1
	v_mov_b32_e32 v20, 0
	v_mov_b32_e32 v21, 0
	s_mov_b32 s5, exec_lo
	v_cmpx_ne_u32_e32 0, v22
	s_cbranch_execz .LBB1_76
; %bb.73:                               ;   in Loop: Header=BB1_31 Depth=1
	v_mov_b32_e32 v20, 0
	v_mov_b32_e32 v21, 0
	s_mov_b64 s[0:1], 0
	s_mov_b32 s6, 0
	s_mov_b32 s7, 0
	.p2align	6
.LBB1_74:                               ;   Parent Loop BB1_31 Depth=1
                                        ; =>  This Inner Loop Header: Depth=2
	s_delay_alu instid0(SALU_CYCLE_1) | instskip(SKIP_1) | instid1(SALU_CYCLE_1)
	v_dual_mov_b32 v24, s11 :: v_dual_add_nc_u32 v23, s7, v8
	s_add_i32 s7, s7, 1
	v_cmp_eq_u32_e32 vcc_lo, s7, v22
	scratch_load_u8 v23, v23, off
	s_waitcnt vmcnt(0)
	v_and_b32_e32 v23, 0xffff, v23
	s_delay_alu instid0(VALU_DEP_1) | instskip(SKIP_3) | instid1(VALU_DEP_1)
	v_lshlrev_b64 v[23:24], s0, v[23:24]
	s_add_u32 s0, s0, 8
	s_addc_u32 s1, s1, 0
	s_or_b32 s6, vcc_lo, s6
	v_or_b32_e32 v21, v24, v21
	s_delay_alu instid0(VALU_DEP_2)
	v_or_b32_e32 v20, v23, v20
	s_and_not1_b32 exec_lo, exec_lo, s6
	s_cbranch_execnz .LBB1_74
; %bb.75:                               ;   in Loop: Header=BB1_31 Depth=1
	s_or_b32 exec_lo, exec_lo, s6
.LBB1_76:                               ;   in Loop: Header=BB1_31 Depth=1
	s_delay_alu instid0(SALU_CYCLE_1)
	s_or_b32 exec_lo, exec_lo, s5
	s_mov_b32 s1, 0
                                        ; implicit-def: $vgpr22
.LBB1_77:                               ;   in Loop: Header=BB1_31 Depth=1
	s_or_saveexec_b32 s0, s4
	v_mov_b32_e32 v24, s1
	s_xor_b32 exec_lo, exec_lo, s0
	s_cbranch_execz .LBB1_79
; %bb.78:                               ;   in Loop: Header=BB1_31 Depth=1
	scratch_load_b64 v[20:21], v8, off
	v_add_nc_u32_e32 v8, 8, v8
	s_waitcnt vmcnt(0)
	v_and_b32_e32 v23, 0xff, v21
	v_and_b32_e32 v24, 0xff00, v21
	;; [unrolled: 1-line block ×4, first 2 shown]
	v_or3_b32 v20, v20, 0, 0
	s_delay_alu instid0(VALU_DEP_4) | instskip(SKIP_1) | instid1(VALU_DEP_2)
	v_or_b32_e32 v23, v23, v24
	v_add_nc_u32_e32 v24, -8, v22
	v_or3_b32 v21, v23, v25, v21
.LBB1_79:                               ;   in Loop: Header=BB1_31 Depth=1
	s_or_b32 exec_lo, exec_lo, s0
	s_delay_alu instid0(SALU_CYCLE_1) | instskip(NEXT) | instid1(VALU_DEP_1)
	s_mov_b32 s0, exec_lo
	v_cmpx_gt_u32_e32 8, v24
	s_xor_b32 s4, exec_lo, s0
	s_cbranch_execz .LBB1_85
; %bb.80:                               ;   in Loop: Header=BB1_31 Depth=1
	v_mov_b32_e32 v22, 0
	v_mov_b32_e32 v23, 0
	s_mov_b32 s5, exec_lo
	v_cmpx_ne_u32_e32 0, v24
	s_cbranch_execz .LBB1_84
; %bb.81:                               ;   in Loop: Header=BB1_31 Depth=1
	v_mov_b32_e32 v22, 0
	v_mov_b32_e32 v23, 0
	s_mov_b64 s[0:1], 0
	s_mov_b32 s6, 0
	.p2align	6
.LBB1_82:                               ;   Parent Loop BB1_31 Depth=1
                                        ; =>  This Inner Loop Header: Depth=2
	scratch_load_u8 v25, v8, off
	v_mov_b32_e32 v26, s11
	v_add_nc_u32_e32 v24, -1, v24
	v_add_nc_u32_e32 v8, 1, v8
	s_delay_alu instid0(VALU_DEP_2) | instskip(SKIP_2) | instid1(VALU_DEP_1)
	v_cmp_eq_u32_e32 vcc_lo, 0, v24
	s_waitcnt vmcnt(0)
	v_and_b32_e32 v25, 0xffff, v25
	v_lshlrev_b64 v[25:26], s0, v[25:26]
	s_add_u32 s0, s0, 8
	s_addc_u32 s1, s1, 0
	s_or_b32 s6, vcc_lo, s6
	s_delay_alu instid0(VALU_DEP_1) | instskip(NEXT) | instid1(VALU_DEP_2)
	v_or_b32_e32 v23, v26, v23
	v_or_b32_e32 v22, v25, v22
	s_and_not1_b32 exec_lo, exec_lo, s6
	s_cbranch_execnz .LBB1_82
; %bb.83:                               ;   in Loop: Header=BB1_31 Depth=1
	s_or_b32 exec_lo, exec_lo, s6
.LBB1_84:                               ;   in Loop: Header=BB1_31 Depth=1
	s_delay_alu instid0(SALU_CYCLE_1)
	s_or_b32 exec_lo, exec_lo, s5
                                        ; implicit-def: $vgpr8
.LBB1_85:                               ;   in Loop: Header=BB1_31 Depth=1
	s_and_not1_saveexec_b32 s0, s4
	s_cbranch_execz .LBB1_87
; %bb.86:                               ;   in Loop: Header=BB1_31 Depth=1
	scratch_load_b64 v[22:23], v8, off
	s_waitcnt vmcnt(0)
	v_and_b32_e32 v8, 0xff, v23
	v_and_b32_e32 v24, 0xff00, v23
	v_and_b32_e32 v25, 0xff0000, v23
	v_and_b32_e32 v23, 0xff000000, v23
	v_or3_b32 v22, v22, 0, 0
	s_delay_alu instid0(VALU_DEP_4) | instskip(NEXT) | instid1(VALU_DEP_1)
	v_or_b32_e32 v8, v8, v24
	v_or3_b32 v23, v8, v25, v23
.LBB1_87:                               ;   in Loop: Header=BB1_31 Depth=1
	s_or_b32 exec_lo, exec_lo, s0
	v_readfirstlane_b32 s0, v35
	v_mov_b32_e32 v32, 0
	v_mov_b32_e32 v33, 0
	s_delay_alu instid0(VALU_DEP_3) | instskip(NEXT) | instid1(VALU_DEP_1)
	v_cmp_eq_u32_e64 s0, s0, v35
	s_and_saveexec_b32 s1, s0
	s_cbranch_execz .LBB1_93
; %bb.88:                               ;   in Loop: Header=BB1_31 Depth=1
	global_load_b64 v[26:27], v9, s[2:3] offset:24 glc
	s_waitcnt vmcnt(0)
	buffer_gl1_inv
	buffer_gl0_inv
	s_clause 0x1
	global_load_b64 v[24:25], v9, s[2:3] offset:40
	global_load_b64 v[32:33], v9, s[2:3]
	s_mov_b32 s4, exec_lo
	s_waitcnt vmcnt(1)
	v_and_b32_e32 v8, v25, v27
	v_and_b32_e32 v24, v24, v26
	s_delay_alu instid0(VALU_DEP_2) | instskip(NEXT) | instid1(VALU_DEP_2)
	v_mul_lo_u32 v8, v8, 24
	v_mul_hi_u32 v25, v24, 24
	v_mul_lo_u32 v24, v24, 24
	s_delay_alu instid0(VALU_DEP_2) | instskip(SKIP_1) | instid1(VALU_DEP_2)
	v_add_nc_u32_e32 v8, v25, v8
	s_waitcnt vmcnt(0)
	v_add_co_u32 v24, vcc_lo, v32, v24
	s_delay_alu instid0(VALU_DEP_2)
	v_add_co_ci_u32_e32 v25, vcc_lo, v33, v8, vcc_lo
	global_load_b64 v[24:25], v[24:25], off glc
	s_waitcnt vmcnt(0)
	global_atomic_cmpswap_b64 v[32:33], v9, v[24:27], s[2:3] offset:24 glc
	s_waitcnt vmcnt(0)
	buffer_gl1_inv
	buffer_gl0_inv
	v_cmpx_ne_u64_e64 v[32:33], v[26:27]
	s_cbranch_execz .LBB1_92
; %bb.89:                               ;   in Loop: Header=BB1_31 Depth=1
	s_mov_b32 s5, 0
	.p2align	6
.LBB1_90:                               ;   Parent Loop BB1_31 Depth=1
                                        ; =>  This Inner Loop Header: Depth=2
	s_sleep 1
	s_clause 0x1
	global_load_b64 v[24:25], v9, s[2:3] offset:40
	global_load_b64 v[38:39], v9, s[2:3]
	v_dual_mov_b32 v26, v32 :: v_dual_mov_b32 v27, v33
	s_waitcnt vmcnt(1)
	s_delay_alu instid0(VALU_DEP_1) | instskip(SKIP_1) | instid1(VALU_DEP_1)
	v_and_b32_e32 v8, v24, v26
	s_waitcnt vmcnt(0)
	v_mad_u64_u32 v[32:33], null, v8, 24, v[38:39]
	v_and_b32_e32 v38, v25, v27
	s_delay_alu instid0(VALU_DEP_2) | instskip(NEXT) | instid1(VALU_DEP_1)
	v_mov_b32_e32 v8, v33
	v_mad_u64_u32 v[24:25], null, v38, 24, v[8:9]
	s_delay_alu instid0(VALU_DEP_1)
	v_mov_b32_e32 v33, v24
	global_load_b64 v[24:25], v[32:33], off glc
	s_waitcnt vmcnt(0)
	global_atomic_cmpswap_b64 v[32:33], v9, v[24:27], s[2:3] offset:24 glc
	s_waitcnt vmcnt(0)
	buffer_gl1_inv
	buffer_gl0_inv
	v_cmp_eq_u64_e32 vcc_lo, v[32:33], v[26:27]
	s_or_b32 s5, vcc_lo, s5
	s_delay_alu instid0(SALU_CYCLE_1)
	s_and_not1_b32 exec_lo, exec_lo, s5
	s_cbranch_execnz .LBB1_90
; %bb.91:                               ;   in Loop: Header=BB1_31 Depth=1
	s_or_b32 exec_lo, exec_lo, s5
.LBB1_92:                               ;   in Loop: Header=BB1_31 Depth=1
	s_delay_alu instid0(SALU_CYCLE_1)
	s_or_b32 exec_lo, exec_lo, s4
.LBB1_93:                               ;   in Loop: Header=BB1_31 Depth=1
	s_delay_alu instid0(SALU_CYCLE_1)
	s_or_b32 exec_lo, exec_lo, s1
	s_clause 0x1
	global_load_b64 v[38:39], v9, s[2:3] offset:40
	global_load_b128 v[24:27], v9, s[2:3]
	v_readfirstlane_b32 s4, v32
	v_readfirstlane_b32 s5, v33
	s_mov_b32 s1, exec_lo
	s_waitcnt vmcnt(1)
	v_readfirstlane_b32 s6, v38
	v_readfirstlane_b32 s7, v39
	s_delay_alu instid0(VALU_DEP_1) | instskip(NEXT) | instid1(SALU_CYCLE_1)
	s_and_b64 s[6:7], s[4:5], s[6:7]
	s_mul_i32 s12, s7, 24
	s_mul_hi_u32 s13, s6, 24
	s_mul_i32 s14, s6, 24
	s_add_i32 s13, s13, s12
	s_waitcnt vmcnt(0)
	v_add_co_u32 v32, vcc_lo, v24, s14
	v_add_co_ci_u32_e32 v33, vcc_lo, s13, v25, vcc_lo
	s_and_saveexec_b32 s12, s0
	s_cbranch_execz .LBB1_95
; %bb.94:                               ;   in Loop: Header=BB1_31 Depth=1
	v_mov_b32_e32 v8, s1
	global_store_b128 v[32:33], v[8:11], off offset:8
.LBB1_95:                               ;   in Loop: Header=BB1_31 Depth=1
	s_or_b32 exec_lo, exec_lo, s12
	v_cmp_lt_u64_e32 vcc_lo, 56, v[28:29]
	v_or_b32_e32 v8, 0, v1
	v_or_b32_e32 v38, v0, v36
	v_lshl_add_u32 v39, v30, 2, 28
	s_lshl_b64 s[6:7], s[6:7], 12
	s_delay_alu instid0(SALU_CYCLE_1) | instskip(NEXT) | instid1(VALU_DEP_1)
	v_add_co_u32 v26, s1, v26, s6
	v_add_co_ci_u32_e64 v27, s1, s7, v27, s1
	v_dual_cndmask_b32 v1, v8, v1 :: v_dual_cndmask_b32 v0, v38, v0
	v_and_b32_e32 v8, 0x1e0, v39
	s_delay_alu instid0(VALU_DEP_4) | instskip(NEXT) | instid1(VALU_DEP_4)
	v_readfirstlane_b32 s6, v26
	v_readfirstlane_b32 s7, v27
	s_delay_alu instid0(VALU_DEP_3)
	v_and_or_b32 v0, 0xffffff1f, v0, v8
	s_clause 0x3
	global_store_b128 v34, v[0:3], s[6:7]
	global_store_b128 v34, v[12:15], s[6:7] offset:16
	global_store_b128 v34, v[16:19], s[6:7] offset:32
	;; [unrolled: 1-line block ×3, first 2 shown]
	s_and_saveexec_b32 s1, s0
	s_cbranch_execz .LBB1_103
; %bb.96:                               ;   in Loop: Header=BB1_31 Depth=1
	s_clause 0x1
	global_load_b64 v[16:17], v9, s[2:3] offset:32 glc
	global_load_b64 v[0:1], v9, s[2:3] offset:40
	v_dual_mov_b32 v14, s4 :: v_dual_mov_b32 v15, s5
	s_waitcnt vmcnt(0)
	v_readfirstlane_b32 s6, v0
	v_readfirstlane_b32 s7, v1
	s_delay_alu instid0(VALU_DEP_1) | instskip(NEXT) | instid1(SALU_CYCLE_1)
	s_and_b64 s[6:7], s[6:7], s[4:5]
	s_mul_i32 s7, s7, 24
	s_mul_hi_u32 s12, s6, 24
	s_mul_i32 s6, s6, 24
	s_add_i32 s12, s12, s7
	v_add_co_u32 v12, vcc_lo, v24, s6
	v_add_co_ci_u32_e32 v13, vcc_lo, s12, v25, vcc_lo
	s_mov_b32 s6, exec_lo
	global_store_b64 v[12:13], v[16:17], off
	s_waitcnt_vscnt null, 0x0
	global_atomic_cmpswap_b64 v[2:3], v9, v[14:17], s[2:3] offset:32 glc
	s_waitcnt vmcnt(0)
	v_cmpx_ne_u64_e64 v[2:3], v[16:17]
	s_cbranch_execz .LBB1_99
; %bb.97:                               ;   in Loop: Header=BB1_31 Depth=1
	s_mov_b32 s7, 0
.LBB1_98:                               ;   Parent Loop BB1_31 Depth=1
                                        ; =>  This Inner Loop Header: Depth=2
	v_dual_mov_b32 v0, s4 :: v_dual_mov_b32 v1, s5
	s_sleep 1
	global_store_b64 v[12:13], v[2:3], off
	s_waitcnt_vscnt null, 0x0
	global_atomic_cmpswap_b64 v[0:1], v9, v[0:3], s[2:3] offset:32 glc
	s_waitcnt vmcnt(0)
	v_cmp_eq_u64_e32 vcc_lo, v[0:1], v[2:3]
	v_dual_mov_b32 v3, v1 :: v_dual_mov_b32 v2, v0
	s_or_b32 s7, vcc_lo, s7
	s_delay_alu instid0(SALU_CYCLE_1)
	s_and_not1_b32 exec_lo, exec_lo, s7
	s_cbranch_execnz .LBB1_98
.LBB1_99:                               ;   in Loop: Header=BB1_31 Depth=1
	s_or_b32 exec_lo, exec_lo, s6
	global_load_b64 v[0:1], v9, s[2:3] offset:16
	s_mov_b32 s7, exec_lo
	s_mov_b32 s6, exec_lo
	v_mbcnt_lo_u32_b32 v2, s7, 0
	s_delay_alu instid0(VALU_DEP_1)
	v_cmpx_eq_u32_e32 0, v2
	s_cbranch_execz .LBB1_101
; %bb.100:                              ;   in Loop: Header=BB1_31 Depth=1
	s_bcnt1_i32_b32 s7, s7
	s_delay_alu instid0(SALU_CYCLE_1)
	v_mov_b32_e32 v8, s7
	s_waitcnt vmcnt(0)
	global_atomic_add_u64 v[0:1], v[8:9], off offset:8
.LBB1_101:                              ;   in Loop: Header=BB1_31 Depth=1
	s_or_b32 exec_lo, exec_lo, s6
	s_waitcnt vmcnt(0)
	global_load_b64 v[2:3], v[0:1], off offset:16
	s_waitcnt vmcnt(0)
	v_cmp_eq_u64_e32 vcc_lo, 0, v[2:3]
	s_cbranch_vccnz .LBB1_103
; %bb.102:                              ;   in Loop: Header=BB1_31 Depth=1
	global_load_b32 v8, v[0:1], off offset:24
	s_waitcnt vmcnt(0)
	v_and_b32_e32 v0, 0xffffff, v8
	s_waitcnt_vscnt null, 0x0
	global_store_b64 v[2:3], v[8:9], off
	v_readfirstlane_b32 m0, v0
	s_sendmsg sendmsg(MSG_INTERRUPT)
.LBB1_103:                              ;   in Loop: Header=BB1_31 Depth=1
	s_or_b32 exec_lo, exec_lo, s1
	v_add_co_u32 v0, vcc_lo, v26, v34
	v_add_co_ci_u32_e32 v1, vcc_lo, 0, v27, vcc_lo
	s_branch .LBB1_107
	.p2align	6
.LBB1_104:                              ;   in Loop: Header=BB1_107 Depth=2
	s_or_b32 exec_lo, exec_lo, s1
	s_delay_alu instid0(VALU_DEP_1) | instskip(NEXT) | instid1(VALU_DEP_1)
	v_readfirstlane_b32 s1, v2
	s_cmp_eq_u32 s1, 0
	s_cbranch_scc1 .LBB1_106
; %bb.105:                              ;   in Loop: Header=BB1_107 Depth=2
	s_sleep 1
	s_cbranch_execnz .LBB1_107
	s_branch .LBB1_109
	.p2align	6
.LBB1_106:                              ;   in Loop: Header=BB1_31 Depth=1
	s_branch .LBB1_109
.LBB1_107:                              ;   Parent Loop BB1_31 Depth=1
                                        ; =>  This Inner Loop Header: Depth=2
	v_mov_b32_e32 v2, 1
	s_and_saveexec_b32 s1, s0
	s_cbranch_execz .LBB1_104
; %bb.108:                              ;   in Loop: Header=BB1_107 Depth=2
	global_load_b32 v2, v[32:33], off offset:20 glc
	s_waitcnt vmcnt(0)
	buffer_gl1_inv
	buffer_gl0_inv
	v_and_b32_e32 v2, 1, v2
	s_branch .LBB1_104
.LBB1_109:                              ;   in Loop: Header=BB1_31 Depth=1
	global_load_b128 v[0:3], v[0:1], off
	s_and_saveexec_b32 s1, s0
	s_cbranch_execz .LBB1_30
; %bb.110:                              ;   in Loop: Header=BB1_31 Depth=1
	s_clause 0x2
	global_load_b64 v[2:3], v9, s[2:3] offset:40
	global_load_b64 v[16:17], v9, s[2:3] offset:24 glc
	global_load_b64 v[14:15], v9, s[2:3]
	s_waitcnt vmcnt(2)
	v_add_co_u32 v8, vcc_lo, v2, 1
	v_add_co_ci_u32_e32 v18, vcc_lo, 0, v3, vcc_lo
	s_delay_alu instid0(VALU_DEP_2) | instskip(NEXT) | instid1(VALU_DEP_2)
	v_add_co_u32 v12, vcc_lo, v8, s4
	v_add_co_ci_u32_e32 v13, vcc_lo, s5, v18, vcc_lo
	s_delay_alu instid0(VALU_DEP_1) | instskip(SKIP_1) | instid1(VALU_DEP_1)
	v_cmp_eq_u64_e32 vcc_lo, 0, v[12:13]
	v_dual_cndmask_b32 v13, v13, v18 :: v_dual_cndmask_b32 v12, v12, v8
	v_and_b32_e32 v3, v13, v3
	s_delay_alu instid0(VALU_DEP_2) | instskip(NEXT) | instid1(VALU_DEP_1)
	v_and_b32_e32 v2, v12, v2
	v_mul_hi_u32 v8, v2, 24
	v_mul_lo_u32 v2, v2, 24
	s_waitcnt vmcnt(0)
	s_delay_alu instid0(VALU_DEP_1) | instskip(SKIP_2) | instid1(VALU_DEP_1)
	v_add_co_u32 v2, vcc_lo, v14, v2
	v_mov_b32_e32 v14, v16
	v_mul_lo_u32 v3, v3, 24
	v_add_nc_u32_e32 v3, v8, v3
	s_delay_alu instid0(VALU_DEP_1)
	v_add_co_ci_u32_e32 v3, vcc_lo, v15, v3, vcc_lo
	v_mov_b32_e32 v15, v17
	global_store_b64 v[2:3], v[16:17], off
	s_waitcnt_vscnt null, 0x0
	global_atomic_cmpswap_b64 v[14:15], v9, v[12:15], s[2:3] offset:24 glc
	s_waitcnt vmcnt(0)
	v_cmp_ne_u64_e32 vcc_lo, v[14:15], v[16:17]
	s_and_b32 exec_lo, exec_lo, vcc_lo
	s_cbranch_execz .LBB1_30
; %bb.111:                              ;   in Loop: Header=BB1_31 Depth=1
	s_mov_b32 s0, 0
.LBB1_112:                              ;   Parent Loop BB1_31 Depth=1
                                        ; =>  This Inner Loop Header: Depth=2
	s_sleep 1
	global_store_b64 v[2:3], v[14:15], off
	s_waitcnt_vscnt null, 0x0
	global_atomic_cmpswap_b64 v[16:17], v9, v[12:15], s[2:3] offset:24 glc
	s_waitcnt vmcnt(0)
	v_cmp_eq_u64_e32 vcc_lo, v[16:17], v[14:15]
	v_dual_mov_b32 v14, v16 :: v_dual_mov_b32 v15, v17
	s_or_b32 s0, vcc_lo, s0
	s_delay_alu instid0(SALU_CYCLE_1)
	s_and_not1_b32 exec_lo, exec_lo, s0
	s_cbranch_execnz .LBB1_112
	s_branch .LBB1_30
.LBB1_113:
                                        ; implicit-def: $vgpr0_vgpr1
	s_cbranch_execnz .LBB1_115
	s_branch .LBB1_142
.LBB1_114:
	s_or_b32 exec_lo, exec_lo, s10
	s_branch .LBB1_142
.LBB1_115:
	v_readfirstlane_b32 s0, v35
	v_mov_b32_e32 v9, 0
	v_mov_b32_e32 v10, 0
	s_delay_alu instid0(VALU_DEP_3) | instskip(NEXT) | instid1(VALU_DEP_1)
	v_cmp_eq_u32_e64 s0, s0, v35
	s_and_saveexec_b32 s1, s0
	s_cbranch_execz .LBB1_121
; %bb.116:
	s_waitcnt vmcnt(0)
	v_mov_b32_e32 v0, 0
	s_mov_b32 s4, exec_lo
	global_load_b64 v[11:12], v0, s[2:3] offset:24 glc
	s_waitcnt vmcnt(0)
	buffer_gl1_inv
	buffer_gl0_inv
	s_clause 0x1
	global_load_b64 v[1:2], v0, s[2:3] offset:40
	global_load_b64 v[8:9], v0, s[2:3]
	s_waitcnt vmcnt(1)
	v_and_b32_e32 v1, v1, v11
	v_and_b32_e32 v2, v2, v12
	s_delay_alu instid0(VALU_DEP_2) | instskip(NEXT) | instid1(VALU_DEP_2)
	v_mul_hi_u32 v3, v1, 24
	v_mul_lo_u32 v2, v2, 24
	v_mul_lo_u32 v1, v1, 24
	s_delay_alu instid0(VALU_DEP_2) | instskip(SKIP_1) | instid1(VALU_DEP_2)
	v_add_nc_u32_e32 v2, v3, v2
	s_waitcnt vmcnt(0)
	v_add_co_u32 v1, vcc_lo, v8, v1
	s_delay_alu instid0(VALU_DEP_2)
	v_add_co_ci_u32_e32 v2, vcc_lo, v9, v2, vcc_lo
	global_load_b64 v[9:10], v[1:2], off glc
	s_waitcnt vmcnt(0)
	global_atomic_cmpswap_b64 v[9:10], v0, v[9:12], s[2:3] offset:24 glc
	s_waitcnt vmcnt(0)
	buffer_gl1_inv
	buffer_gl0_inv
	v_cmpx_ne_u64_e64 v[9:10], v[11:12]
	s_cbranch_execz .LBB1_120
; %bb.117:
	s_mov_b32 s5, 0
	.p2align	6
.LBB1_118:                              ; =>This Inner Loop Header: Depth=1
	s_sleep 1
	s_clause 0x1
	global_load_b64 v[1:2], v0, s[2:3] offset:40
	global_load_b64 v[13:14], v0, s[2:3]
	v_dual_mov_b32 v12, v10 :: v_dual_mov_b32 v11, v9
	s_waitcnt vmcnt(1)
	s_delay_alu instid0(VALU_DEP_1) | instskip(SKIP_1) | instid1(VALU_DEP_1)
	v_and_b32_e32 v1, v1, v11
	s_waitcnt vmcnt(0)
	v_mad_u64_u32 v[8:9], null, v1, 24, v[13:14]
	s_delay_alu instid0(VALU_DEP_1) | instskip(NEXT) | instid1(VALU_DEP_1)
	v_dual_mov_b32 v1, v9 :: v_dual_and_b32 v10, v2, v12
	v_mad_u64_u32 v[2:3], null, v10, 24, v[1:2]
	s_delay_alu instid0(VALU_DEP_1)
	v_mov_b32_e32 v9, v2
	global_load_b64 v[9:10], v[8:9], off glc
	s_waitcnt vmcnt(0)
	global_atomic_cmpswap_b64 v[9:10], v0, v[9:12], s[2:3] offset:24 glc
	s_waitcnt vmcnt(0)
	buffer_gl1_inv
	buffer_gl0_inv
	v_cmp_eq_u64_e32 vcc_lo, v[9:10], v[11:12]
	s_or_b32 s5, vcc_lo, s5
	s_delay_alu instid0(SALU_CYCLE_1)
	s_and_not1_b32 exec_lo, exec_lo, s5
	s_cbranch_execnz .LBB1_118
; %bb.119:
	s_or_b32 exec_lo, exec_lo, s5
.LBB1_120:
	s_delay_alu instid0(SALU_CYCLE_1)
	s_or_b32 exec_lo, exec_lo, s4
.LBB1_121:
	s_delay_alu instid0(SALU_CYCLE_1)
	s_or_b32 exec_lo, exec_lo, s1
	v_mov_b32_e32 v8, 0
	v_readfirstlane_b32 s4, v9
	v_readfirstlane_b32 s5, v10
	s_mov_b32 s1, exec_lo
	s_clause 0x1
	global_load_b64 v[11:12], v8, s[2:3] offset:40
	global_load_b128 v[0:3], v8, s[2:3]
	s_waitcnt vmcnt(1)
	v_readfirstlane_b32 s6, v11
	v_readfirstlane_b32 s7, v12
	s_delay_alu instid0(VALU_DEP_1) | instskip(NEXT) | instid1(SALU_CYCLE_1)
	s_and_b64 s[6:7], s[4:5], s[6:7]
	s_mul_i32 s10, s7, 24
	s_mul_hi_u32 s11, s6, 24
	s_mul_i32 s12, s6, 24
	s_add_i32 s11, s11, s10
	s_waitcnt vmcnt(0)
	v_add_co_u32 v10, vcc_lo, v0, s12
	v_add_co_ci_u32_e32 v11, vcc_lo, s11, v1, vcc_lo
	s_and_saveexec_b32 s10, s0
	s_cbranch_execz .LBB1_123
; %bb.122:
	v_dual_mov_b32 v12, s1 :: v_dual_mov_b32 v13, v8
	v_dual_mov_b32 v14, 2 :: v_dual_mov_b32 v15, 1
	global_store_b128 v[10:11], v[12:15], off offset:8
.LBB1_123:
	s_or_b32 exec_lo, exec_lo, s10
	s_lshl_b64 s[6:7], s[6:7], 12
	s_mov_b32 s12, 0
	v_add_co_u32 v2, vcc_lo, v2, s6
	v_add_co_ci_u32_e32 v3, vcc_lo, s7, v3, vcc_lo
	s_mov_b32 s15, s12
	s_delay_alu instid0(VALU_DEP_2)
	v_add_co_u32 v12, vcc_lo, v2, v34
	s_mov_b32 s13, s12
	s_mov_b32 s14, s12
	v_and_or_b32 v6, 0xffffff1f, v6, 32
	v_mov_b32_e32 v9, v8
	v_readfirstlane_b32 s6, v2
	v_readfirstlane_b32 s7, v3
	v_dual_mov_b32 v17, s15 :: v_dual_mov_b32 v14, s12
	v_add_co_ci_u32_e32 v13, vcc_lo, 0, v3, vcc_lo
	v_dual_mov_b32 v16, s14 :: v_dual_mov_b32 v15, s13
	s_clause 0x3
	global_store_b128 v34, v[6:9], s[6:7]
	global_store_b128 v34, v[14:17], s[6:7] offset:16
	global_store_b128 v34, v[14:17], s[6:7] offset:32
	;; [unrolled: 1-line block ×3, first 2 shown]
	s_and_saveexec_b32 s1, s0
	s_cbranch_execz .LBB1_131
; %bb.124:
	v_dual_mov_b32 v8, 0 :: v_dual_mov_b32 v15, s5
	v_mov_b32_e32 v14, s4
	s_clause 0x1
	global_load_b64 v[16:17], v8, s[2:3] offset:32 glc
	global_load_b64 v[2:3], v8, s[2:3] offset:40
	s_waitcnt vmcnt(0)
	v_readfirstlane_b32 s6, v2
	v_readfirstlane_b32 s7, v3
	s_delay_alu instid0(VALU_DEP_1) | instskip(NEXT) | instid1(SALU_CYCLE_1)
	s_and_b64 s[6:7], s[6:7], s[4:5]
	s_mul_i32 s7, s7, 24
	s_mul_hi_u32 s10, s6, 24
	s_mul_i32 s6, s6, 24
	s_add_i32 s10, s10, s7
	v_add_co_u32 v6, vcc_lo, v0, s6
	v_add_co_ci_u32_e32 v7, vcc_lo, s10, v1, vcc_lo
	s_mov_b32 s6, exec_lo
	global_store_b64 v[6:7], v[16:17], off
	s_waitcnt_vscnt null, 0x0
	global_atomic_cmpswap_b64 v[2:3], v8, v[14:17], s[2:3] offset:32 glc
	s_waitcnt vmcnt(0)
	v_cmpx_ne_u64_e64 v[2:3], v[16:17]
	s_cbranch_execz .LBB1_127
; %bb.125:
	s_mov_b32 s7, 0
.LBB1_126:                              ; =>This Inner Loop Header: Depth=1
	v_dual_mov_b32 v0, s4 :: v_dual_mov_b32 v1, s5
	s_sleep 1
	global_store_b64 v[6:7], v[2:3], off
	s_waitcnt_vscnt null, 0x0
	global_atomic_cmpswap_b64 v[0:1], v8, v[0:3], s[2:3] offset:32 glc
	s_waitcnt vmcnt(0)
	v_cmp_eq_u64_e32 vcc_lo, v[0:1], v[2:3]
	v_dual_mov_b32 v3, v1 :: v_dual_mov_b32 v2, v0
	s_or_b32 s7, vcc_lo, s7
	s_delay_alu instid0(SALU_CYCLE_1)
	s_and_not1_b32 exec_lo, exec_lo, s7
	s_cbranch_execnz .LBB1_126
.LBB1_127:
	s_or_b32 exec_lo, exec_lo, s6
	v_mov_b32_e32 v3, 0
	s_mov_b32 s7, exec_lo
	s_mov_b32 s6, exec_lo
	v_mbcnt_lo_u32_b32 v2, s7, 0
	global_load_b64 v[0:1], v3, s[2:3] offset:16
	v_cmpx_eq_u32_e32 0, v2
	s_cbranch_execz .LBB1_129
; %bb.128:
	s_bcnt1_i32_b32 s7, s7
	s_delay_alu instid0(SALU_CYCLE_1)
	v_mov_b32_e32 v2, s7
	s_waitcnt vmcnt(0)
	global_atomic_add_u64 v[0:1], v[2:3], off offset:8
.LBB1_129:
	s_or_b32 exec_lo, exec_lo, s6
	s_waitcnt vmcnt(0)
	global_load_b64 v[2:3], v[0:1], off offset:16
	s_waitcnt vmcnt(0)
	v_cmp_eq_u64_e32 vcc_lo, 0, v[2:3]
	s_cbranch_vccnz .LBB1_131
; %bb.130:
	global_load_b32 v0, v[0:1], off offset:24
	s_waitcnt vmcnt(0)
	v_dual_mov_b32 v1, 0 :: v_dual_and_b32 v6, 0xffffff, v0
	s_waitcnt_vscnt null, 0x0
	global_store_b64 v[2:3], v[0:1], off
	v_readfirstlane_b32 m0, v6
	s_sendmsg sendmsg(MSG_INTERRUPT)
.LBB1_131:
	s_or_b32 exec_lo, exec_lo, s1
	s_branch .LBB1_135
	.p2align	6
.LBB1_132:                              ;   in Loop: Header=BB1_135 Depth=1
	s_or_b32 exec_lo, exec_lo, s1
	s_delay_alu instid0(VALU_DEP_1) | instskip(NEXT) | instid1(VALU_DEP_1)
	v_readfirstlane_b32 s1, v0
	s_cmp_eq_u32 s1, 0
	s_cbranch_scc1 .LBB1_134
; %bb.133:                              ;   in Loop: Header=BB1_135 Depth=1
	s_sleep 1
	s_cbranch_execnz .LBB1_135
	s_branch .LBB1_137
	.p2align	6
.LBB1_134:
	s_branch .LBB1_137
.LBB1_135:                              ; =>This Inner Loop Header: Depth=1
	v_mov_b32_e32 v0, 1
	s_and_saveexec_b32 s1, s0
	s_cbranch_execz .LBB1_132
; %bb.136:                              ;   in Loop: Header=BB1_135 Depth=1
	global_load_b32 v0, v[10:11], off offset:20 glc
	s_waitcnt vmcnt(0)
	buffer_gl1_inv
	buffer_gl0_inv
	v_and_b32_e32 v0, 1, v0
	s_branch .LBB1_132
.LBB1_137:
	global_load_b64 v[0:1], v[12:13], off
	s_and_saveexec_b32 s1, s0
	s_cbranch_execz .LBB1_141
; %bb.138:
	v_mov_b32_e32 v10, 0
	s_clause 0x2
	global_load_b64 v[2:3], v10, s[2:3] offset:40
	global_load_b64 v[11:12], v10, s[2:3] offset:24 glc
	global_load_b64 v[8:9], v10, s[2:3]
	s_waitcnt vmcnt(2)
	v_add_co_u32 v13, vcc_lo, v2, 1
	v_add_co_ci_u32_e32 v14, vcc_lo, 0, v3, vcc_lo
	s_delay_alu instid0(VALU_DEP_2) | instskip(NEXT) | instid1(VALU_DEP_2)
	v_add_co_u32 v6, vcc_lo, v13, s4
	v_add_co_ci_u32_e32 v7, vcc_lo, s5, v14, vcc_lo
	s_delay_alu instid0(VALU_DEP_1) | instskip(SKIP_1) | instid1(VALU_DEP_1)
	v_cmp_eq_u64_e32 vcc_lo, 0, v[6:7]
	v_dual_cndmask_b32 v7, v7, v14 :: v_dual_cndmask_b32 v6, v6, v13
	v_and_b32_e32 v3, v7, v3
	s_delay_alu instid0(VALU_DEP_2) | instskip(NEXT) | instid1(VALU_DEP_2)
	v_and_b32_e32 v2, v6, v2
	v_mul_lo_u32 v3, v3, 24
	s_delay_alu instid0(VALU_DEP_2) | instskip(SKIP_1) | instid1(VALU_DEP_2)
	v_mul_hi_u32 v13, v2, 24
	v_mul_lo_u32 v2, v2, 24
	v_add_nc_u32_e32 v3, v13, v3
	s_waitcnt vmcnt(0)
	s_delay_alu instid0(VALU_DEP_2) | instskip(SKIP_1) | instid1(VALU_DEP_3)
	v_add_co_u32 v2, vcc_lo, v8, v2
	v_mov_b32_e32 v8, v11
	v_add_co_ci_u32_e32 v3, vcc_lo, v9, v3, vcc_lo
	v_mov_b32_e32 v9, v12
	global_store_b64 v[2:3], v[11:12], off
	s_waitcnt_vscnt null, 0x0
	global_atomic_cmpswap_b64 v[8:9], v10, v[6:9], s[2:3] offset:24 glc
	s_waitcnt vmcnt(0)
	v_cmp_ne_u64_e32 vcc_lo, v[8:9], v[11:12]
	s_and_b32 exec_lo, exec_lo, vcc_lo
	s_cbranch_execz .LBB1_141
; %bb.139:
	s_mov_b32 s0, 0
.LBB1_140:                              ; =>This Inner Loop Header: Depth=1
	s_sleep 1
	global_store_b64 v[2:3], v[8:9], off
	s_waitcnt_vscnt null, 0x0
	global_atomic_cmpswap_b64 v[11:12], v10, v[6:9], s[2:3] offset:24 glc
	s_waitcnt vmcnt(0)
	v_cmp_eq_u64_e32 vcc_lo, v[11:12], v[8:9]
	v_dual_mov_b32 v8, v11 :: v_dual_mov_b32 v9, v12
	s_or_b32 s0, vcc_lo, s0
	s_delay_alu instid0(SALU_CYCLE_1)
	s_and_not1_b32 exec_lo, exec_lo, s0
	s_cbranch_execnz .LBB1_140
.LBB1_141:
	s_or_b32 exec_lo, exec_lo, s1
.LBB1_142:
	s_getpc_b64 s[4:5]
	s_add_u32 s4, s4, .str.2@rel32@lo+4
	s_addc_u32 s5, s5, .str.2@rel32@hi+12
	s_delay_alu instid0(SALU_CYCLE_1)
	s_cmp_lg_u64 s[4:5], 0
	s_cbranch_scc0 .LBB1_220
; %bb.143:
	s_getpc_b64 s[0:1]
	s_add_u32 s0, s0, .str.2@rel32@lo+80
	s_addc_u32 s1, s1, .str.2@rel32@hi+88
	s_waitcnt vmcnt(0)
	v_dual_mov_b32 v10, 0 :: v_dual_and_b32 v33, 2, v0
	v_dual_mov_b32 v7, v1 :: v_dual_and_b32 v6, -3, v0
	v_dual_mov_b32 v11, 2 :: v_dual_mov_b32 v12, 1
	s_sub_i32 s6, s0, s4
	s_delay_alu instid0(SALU_CYCLE_1)
	s_ashr_i32 s7, s6, 31
	s_branch .LBB1_145
.LBB1_144:                              ;   in Loop: Header=BB1_145 Depth=1
	s_or_b32 exec_lo, exec_lo, s1
	s_sub_u32 s6, s6, s10
	s_subb_u32 s7, s7, s11
	s_add_u32 s4, s4, s10
	s_addc_u32 s5, s5, s11
	s_cmp_lg_u64 s[6:7], 0
	s_cbranch_scc0 .LBB1_221
.LBB1_145:                              ; =>This Loop Header: Depth=1
                                        ;     Child Loop BB1_154 Depth 2
                                        ;     Child Loop BB1_150 Depth 2
                                        ;     Child Loop BB1_162 Depth 2
                                        ;     Child Loop BB1_169 Depth 2
                                        ;     Child Loop BB1_176 Depth 2
                                        ;     Child Loop BB1_183 Depth 2
                                        ;     Child Loop BB1_190 Depth 2
                                        ;     Child Loop BB1_197 Depth 2
                                        ;     Child Loop BB1_205 Depth 2
                                        ;     Child Loop BB1_214 Depth 2
                                        ;     Child Loop BB1_219 Depth 2
	v_cmp_lt_u64_e64 s0, s[6:7], 56
	v_cmp_gt_u64_e64 s1, s[6:7], 7
                                        ; implicit-def: $vgpr15_vgpr16
                                        ; implicit-def: $sgpr16
	s_delay_alu instid0(VALU_DEP_2) | instskip(SKIP_2) | instid1(VALU_DEP_1)
	s_and_b32 s0, s0, exec_lo
	s_cselect_b32 s11, s7, 0
	s_cselect_b32 s10, s6, 56
	s_and_b32 vcc_lo, exec_lo, s1
	s_mov_b32 s0, -1
	s_cbranch_vccz .LBB1_152
; %bb.146:                              ;   in Loop: Header=BB1_145 Depth=1
	s_and_not1_b32 vcc_lo, exec_lo, s0
	s_mov_b64 s[0:1], s[4:5]
	s_cbranch_vccz .LBB1_156
.LBB1_147:                              ;   in Loop: Header=BB1_145 Depth=1
	s_cmp_gt_u32 s16, 7
	s_cbranch_scc1 .LBB1_157
.LBB1_148:                              ;   in Loop: Header=BB1_145 Depth=1
	v_mov_b32_e32 v17, 0
	v_mov_b32_e32 v18, 0
	s_cmp_eq_u32 s16, 0
	s_cbranch_scc1 .LBB1_151
; %bb.149:                              ;   in Loop: Header=BB1_145 Depth=1
	s_mov_b64 s[12:13], 0
	s_mov_b64 s[14:15], 0
.LBB1_150:                              ;   Parent Loop BB1_145 Depth=1
                                        ; =>  This Inner Loop Header: Depth=2
	s_delay_alu instid0(SALU_CYCLE_1)
	s_add_u32 s18, s0, s14
	s_addc_u32 s19, s1, s15
	s_add_u32 s14, s14, 1
	global_load_u8 v2, v10, s[18:19]
	s_addc_u32 s15, s15, 0
	s_waitcnt vmcnt(0)
	v_and_b32_e32 v9, 0xffff, v2
	s_delay_alu instid0(VALU_DEP_1) | instskip(SKIP_3) | instid1(VALU_DEP_1)
	v_lshlrev_b64 v[2:3], s12, v[9:10]
	s_add_u32 s12, s12, 8
	s_addc_u32 s13, s13, 0
	s_cmp_lg_u32 s16, s14
	v_or_b32_e32 v17, v2, v17
	s_delay_alu instid0(VALU_DEP_2)
	v_or_b32_e32 v18, v3, v18
	s_cbranch_scc1 .LBB1_150
.LBB1_151:                              ;   in Loop: Header=BB1_145 Depth=1
	s_mov_b32 s17, 0
	s_cbranch_execz .LBB1_158
	s_branch .LBB1_159
.LBB1_152:                              ;   in Loop: Header=BB1_145 Depth=1
	v_mov_b32_e32 v15, 0
	v_mov_b32_e32 v16, 0
	s_cmp_eq_u64 s[6:7], 0
	s_mov_b64 s[0:1], 0
	s_cbranch_scc1 .LBB1_155
; %bb.153:                              ;   in Loop: Header=BB1_145 Depth=1
	v_mov_b32_e32 v15, 0
	v_mov_b32_e32 v16, 0
	s_lshl_b64 s[12:13], s[10:11], 3
	s_mov_b64 s[14:15], s[4:5]
.LBB1_154:                              ;   Parent Loop BB1_145 Depth=1
                                        ; =>  This Inner Loop Header: Depth=2
	global_load_u8 v2, v10, s[14:15]
	s_waitcnt vmcnt(0)
	v_and_b32_e32 v9, 0xffff, v2
	s_delay_alu instid0(VALU_DEP_1)
	v_lshlrev_b64 v[2:3], s0, v[9:10]
	s_add_u32 s0, s0, 8
	s_addc_u32 s1, s1, 0
	s_add_u32 s14, s14, 1
	s_addc_u32 s15, s15, 0
	s_cmp_lg_u32 s12, s0
	v_or_b32_e32 v15, v2, v15
	v_or_b32_e32 v16, v3, v16
	s_cbranch_scc1 .LBB1_154
.LBB1_155:                              ;   in Loop: Header=BB1_145 Depth=1
	s_mov_b32 s16, 0
	s_mov_b64 s[0:1], s[4:5]
	s_cbranch_execnz .LBB1_147
.LBB1_156:                              ;   in Loop: Header=BB1_145 Depth=1
	global_load_b64 v[15:16], v10, s[4:5]
	s_add_i32 s16, s10, -8
	s_add_u32 s0, s4, 8
	s_addc_u32 s1, s5, 0
	s_cmp_gt_u32 s16, 7
	s_cbranch_scc0 .LBB1_148
.LBB1_157:                              ;   in Loop: Header=BB1_145 Depth=1
                                        ; implicit-def: $vgpr17_vgpr18
                                        ; implicit-def: $sgpr17
.LBB1_158:                              ;   in Loop: Header=BB1_145 Depth=1
	global_load_b64 v[17:18], v10, s[0:1]
	s_add_i32 s17, s16, -8
	s_add_u32 s0, s0, 8
	s_addc_u32 s1, s1, 0
.LBB1_159:                              ;   in Loop: Header=BB1_145 Depth=1
	s_cmp_gt_u32 s17, 7
	s_cbranch_scc1 .LBB1_164
; %bb.160:                              ;   in Loop: Header=BB1_145 Depth=1
	v_mov_b32_e32 v19, 0
	v_mov_b32_e32 v20, 0
	s_cmp_eq_u32 s17, 0
	s_cbranch_scc1 .LBB1_163
; %bb.161:                              ;   in Loop: Header=BB1_145 Depth=1
	s_mov_b64 s[12:13], 0
	s_mov_b64 s[14:15], 0
.LBB1_162:                              ;   Parent Loop BB1_145 Depth=1
                                        ; =>  This Inner Loop Header: Depth=2
	s_delay_alu instid0(SALU_CYCLE_1)
	s_add_u32 s18, s0, s14
	s_addc_u32 s19, s1, s15
	s_add_u32 s14, s14, 1
	global_load_u8 v2, v10, s[18:19]
	s_addc_u32 s15, s15, 0
	s_waitcnt vmcnt(0)
	v_and_b32_e32 v9, 0xffff, v2
	s_delay_alu instid0(VALU_DEP_1) | instskip(SKIP_3) | instid1(VALU_DEP_1)
	v_lshlrev_b64 v[2:3], s12, v[9:10]
	s_add_u32 s12, s12, 8
	s_addc_u32 s13, s13, 0
	s_cmp_lg_u32 s17, s14
	v_or_b32_e32 v19, v2, v19
	s_delay_alu instid0(VALU_DEP_2)
	v_or_b32_e32 v20, v3, v20
	s_cbranch_scc1 .LBB1_162
.LBB1_163:                              ;   in Loop: Header=BB1_145 Depth=1
	s_mov_b32 s16, 0
	s_cbranch_execz .LBB1_165
	s_branch .LBB1_166
.LBB1_164:                              ;   in Loop: Header=BB1_145 Depth=1
                                        ; implicit-def: $sgpr16
.LBB1_165:                              ;   in Loop: Header=BB1_145 Depth=1
	global_load_b64 v[19:20], v10, s[0:1]
	s_add_i32 s16, s17, -8
	s_add_u32 s0, s0, 8
	s_addc_u32 s1, s1, 0
.LBB1_166:                              ;   in Loop: Header=BB1_145 Depth=1
	s_cmp_gt_u32 s16, 7
	s_cbranch_scc1 .LBB1_171
; %bb.167:                              ;   in Loop: Header=BB1_145 Depth=1
	v_mov_b32_e32 v21, 0
	v_mov_b32_e32 v22, 0
	s_cmp_eq_u32 s16, 0
	s_cbranch_scc1 .LBB1_170
; %bb.168:                              ;   in Loop: Header=BB1_145 Depth=1
	s_mov_b64 s[12:13], 0
	s_mov_b64 s[14:15], 0
.LBB1_169:                              ;   Parent Loop BB1_145 Depth=1
                                        ; =>  This Inner Loop Header: Depth=2
	s_delay_alu instid0(SALU_CYCLE_1)
	s_add_u32 s18, s0, s14
	s_addc_u32 s19, s1, s15
	s_add_u32 s14, s14, 1
	global_load_u8 v2, v10, s[18:19]
	s_addc_u32 s15, s15, 0
	s_waitcnt vmcnt(0)
	v_and_b32_e32 v9, 0xffff, v2
	s_delay_alu instid0(VALU_DEP_1) | instskip(SKIP_3) | instid1(VALU_DEP_1)
	v_lshlrev_b64 v[2:3], s12, v[9:10]
	s_add_u32 s12, s12, 8
	s_addc_u32 s13, s13, 0
	s_cmp_lg_u32 s16, s14
	v_or_b32_e32 v21, v2, v21
	s_delay_alu instid0(VALU_DEP_2)
	v_or_b32_e32 v22, v3, v22
	s_cbranch_scc1 .LBB1_169
.LBB1_170:                              ;   in Loop: Header=BB1_145 Depth=1
	s_mov_b32 s17, 0
	s_cbranch_execz .LBB1_172
	s_branch .LBB1_173
.LBB1_171:                              ;   in Loop: Header=BB1_145 Depth=1
                                        ; implicit-def: $vgpr21_vgpr22
                                        ; implicit-def: $sgpr17
.LBB1_172:                              ;   in Loop: Header=BB1_145 Depth=1
	global_load_b64 v[21:22], v10, s[0:1]
	s_add_i32 s17, s16, -8
	s_add_u32 s0, s0, 8
	s_addc_u32 s1, s1, 0
.LBB1_173:                              ;   in Loop: Header=BB1_145 Depth=1
	s_cmp_gt_u32 s17, 7
	s_cbranch_scc1 .LBB1_178
; %bb.174:                              ;   in Loop: Header=BB1_145 Depth=1
	v_mov_b32_e32 v23, 0
	v_mov_b32_e32 v24, 0
	s_cmp_eq_u32 s17, 0
	s_cbranch_scc1 .LBB1_177
; %bb.175:                              ;   in Loop: Header=BB1_145 Depth=1
	s_mov_b64 s[12:13], 0
	s_mov_b64 s[14:15], 0
.LBB1_176:                              ;   Parent Loop BB1_145 Depth=1
                                        ; =>  This Inner Loop Header: Depth=2
	s_delay_alu instid0(SALU_CYCLE_1)
	s_add_u32 s18, s0, s14
	s_addc_u32 s19, s1, s15
	s_add_u32 s14, s14, 1
	global_load_u8 v2, v10, s[18:19]
	s_addc_u32 s15, s15, 0
	s_waitcnt vmcnt(0)
	v_and_b32_e32 v9, 0xffff, v2
	s_delay_alu instid0(VALU_DEP_1) | instskip(SKIP_3) | instid1(VALU_DEP_1)
	v_lshlrev_b64 v[2:3], s12, v[9:10]
	s_add_u32 s12, s12, 8
	s_addc_u32 s13, s13, 0
	s_cmp_lg_u32 s17, s14
	v_or_b32_e32 v23, v2, v23
	s_delay_alu instid0(VALU_DEP_2)
	v_or_b32_e32 v24, v3, v24
	s_cbranch_scc1 .LBB1_176
.LBB1_177:                              ;   in Loop: Header=BB1_145 Depth=1
	s_mov_b32 s16, 0
	s_cbranch_execz .LBB1_179
	s_branch .LBB1_180
.LBB1_178:                              ;   in Loop: Header=BB1_145 Depth=1
                                        ; implicit-def: $sgpr16
.LBB1_179:                              ;   in Loop: Header=BB1_145 Depth=1
	global_load_b64 v[23:24], v10, s[0:1]
	s_add_i32 s16, s17, -8
	s_add_u32 s0, s0, 8
	s_addc_u32 s1, s1, 0
.LBB1_180:                              ;   in Loop: Header=BB1_145 Depth=1
	s_cmp_gt_u32 s16, 7
	s_cbranch_scc1 .LBB1_185
; %bb.181:                              ;   in Loop: Header=BB1_145 Depth=1
	v_mov_b32_e32 v25, 0
	v_mov_b32_e32 v26, 0
	s_cmp_eq_u32 s16, 0
	s_cbranch_scc1 .LBB1_184
; %bb.182:                              ;   in Loop: Header=BB1_145 Depth=1
	s_mov_b64 s[12:13], 0
	s_mov_b64 s[14:15], 0
.LBB1_183:                              ;   Parent Loop BB1_145 Depth=1
                                        ; =>  This Inner Loop Header: Depth=2
	s_delay_alu instid0(SALU_CYCLE_1)
	s_add_u32 s18, s0, s14
	s_addc_u32 s19, s1, s15
	s_add_u32 s14, s14, 1
	global_load_u8 v2, v10, s[18:19]
	s_addc_u32 s15, s15, 0
	s_waitcnt vmcnt(0)
	v_and_b32_e32 v9, 0xffff, v2
	s_delay_alu instid0(VALU_DEP_1) | instskip(SKIP_3) | instid1(VALU_DEP_1)
	v_lshlrev_b64 v[2:3], s12, v[9:10]
	s_add_u32 s12, s12, 8
	s_addc_u32 s13, s13, 0
	s_cmp_lg_u32 s16, s14
	v_or_b32_e32 v25, v2, v25
	s_delay_alu instid0(VALU_DEP_2)
	v_or_b32_e32 v26, v3, v26
	s_cbranch_scc1 .LBB1_183
.LBB1_184:                              ;   in Loop: Header=BB1_145 Depth=1
	s_mov_b32 s17, 0
	s_cbranch_execz .LBB1_186
	s_branch .LBB1_187
.LBB1_185:                              ;   in Loop: Header=BB1_145 Depth=1
                                        ; implicit-def: $vgpr25_vgpr26
                                        ; implicit-def: $sgpr17
.LBB1_186:                              ;   in Loop: Header=BB1_145 Depth=1
	global_load_b64 v[25:26], v10, s[0:1]
	s_add_i32 s17, s16, -8
	s_add_u32 s0, s0, 8
	s_addc_u32 s1, s1, 0
.LBB1_187:                              ;   in Loop: Header=BB1_145 Depth=1
	s_cmp_gt_u32 s17, 7
	s_cbranch_scc1 .LBB1_192
; %bb.188:                              ;   in Loop: Header=BB1_145 Depth=1
	v_mov_b32_e32 v27, 0
	v_mov_b32_e32 v28, 0
	s_cmp_eq_u32 s17, 0
	s_cbranch_scc1 .LBB1_191
; %bb.189:                              ;   in Loop: Header=BB1_145 Depth=1
	s_mov_b64 s[12:13], 0
	s_mov_b64 s[14:15], s[0:1]
.LBB1_190:                              ;   Parent Loop BB1_145 Depth=1
                                        ; =>  This Inner Loop Header: Depth=2
	global_load_u8 v2, v10, s[14:15]
	s_add_i32 s17, s17, -1
	s_waitcnt vmcnt(0)
	v_and_b32_e32 v9, 0xffff, v2
	s_delay_alu instid0(VALU_DEP_1)
	v_lshlrev_b64 v[2:3], s12, v[9:10]
	s_add_u32 s12, s12, 8
	s_addc_u32 s13, s13, 0
	s_add_u32 s14, s14, 1
	s_addc_u32 s15, s15, 0
	s_cmp_lg_u32 s17, 0
	v_or_b32_e32 v27, v2, v27
	v_or_b32_e32 v28, v3, v28
	s_cbranch_scc1 .LBB1_190
.LBB1_191:                              ;   in Loop: Header=BB1_145 Depth=1
	s_cbranch_execz .LBB1_193
	s_branch .LBB1_194
.LBB1_192:                              ;   in Loop: Header=BB1_145 Depth=1
.LBB1_193:                              ;   in Loop: Header=BB1_145 Depth=1
	global_load_b64 v[27:28], v10, s[0:1]
.LBB1_194:                              ;   in Loop: Header=BB1_145 Depth=1
	v_readfirstlane_b32 s0, v35
	v_mov_b32_e32 v2, 0
	v_mov_b32_e32 v3, 0
	s_delay_alu instid0(VALU_DEP_3) | instskip(NEXT) | instid1(VALU_DEP_1)
	v_cmp_eq_u32_e64 s0, s0, v35
	s_and_saveexec_b32 s1, s0
	s_cbranch_execz .LBB1_200
; %bb.195:                              ;   in Loop: Header=BB1_145 Depth=1
	global_load_b64 v[31:32], v10, s[2:3] offset:24 glc
	s_waitcnt vmcnt(0)
	buffer_gl1_inv
	buffer_gl0_inv
	s_clause 0x1
	global_load_b64 v[2:3], v10, s[2:3] offset:40
	global_load_b64 v[8:9], v10, s[2:3]
	s_mov_b32 s12, exec_lo
	s_waitcnt vmcnt(1)
	v_and_b32_e32 v3, v3, v32
	v_and_b32_e32 v2, v2, v31
	s_delay_alu instid0(VALU_DEP_2) | instskip(NEXT) | instid1(VALU_DEP_2)
	v_mul_lo_u32 v3, v3, 24
	v_mul_hi_u32 v13, v2, 24
	v_mul_lo_u32 v2, v2, 24
	s_delay_alu instid0(VALU_DEP_2) | instskip(SKIP_1) | instid1(VALU_DEP_2)
	v_add_nc_u32_e32 v3, v13, v3
	s_waitcnt vmcnt(0)
	v_add_co_u32 v2, vcc_lo, v8, v2
	s_delay_alu instid0(VALU_DEP_2)
	v_add_co_ci_u32_e32 v3, vcc_lo, v9, v3, vcc_lo
	global_load_b64 v[29:30], v[2:3], off glc
	s_waitcnt vmcnt(0)
	global_atomic_cmpswap_b64 v[2:3], v10, v[29:32], s[2:3] offset:24 glc
	s_waitcnt vmcnt(0)
	buffer_gl1_inv
	buffer_gl0_inv
	v_cmpx_ne_u64_e64 v[2:3], v[31:32]
	s_cbranch_execz .LBB1_199
; %bb.196:                              ;   in Loop: Header=BB1_145 Depth=1
	s_mov_b32 s13, 0
	.p2align	6
.LBB1_197:                              ;   Parent Loop BB1_145 Depth=1
                                        ; =>  This Inner Loop Header: Depth=2
	s_sleep 1
	s_clause 0x1
	global_load_b64 v[8:9], v10, s[2:3] offset:40
	global_load_b64 v[13:14], v10, s[2:3]
	v_dual_mov_b32 v32, v3 :: v_dual_mov_b32 v31, v2
	s_waitcnt vmcnt(1)
	s_delay_alu instid0(VALU_DEP_1) | instskip(SKIP_1) | instid1(VALU_DEP_1)
	v_and_b32_e32 v8, v8, v31
	s_waitcnt vmcnt(0)
	v_mad_u64_u32 v[2:3], null, v8, 24, v[13:14]
	v_and_b32_e32 v13, v9, v32
	s_delay_alu instid0(VALU_DEP_1) | instskip(NEXT) | instid1(VALU_DEP_1)
	v_mad_u64_u32 v[8:9], null, v13, 24, v[3:4]
	v_mov_b32_e32 v3, v8
	global_load_b64 v[29:30], v[2:3], off glc
	s_waitcnt vmcnt(0)
	global_atomic_cmpswap_b64 v[2:3], v10, v[29:32], s[2:3] offset:24 glc
	s_waitcnt vmcnt(0)
	buffer_gl1_inv
	buffer_gl0_inv
	v_cmp_eq_u64_e32 vcc_lo, v[2:3], v[31:32]
	s_or_b32 s13, vcc_lo, s13
	s_delay_alu instid0(SALU_CYCLE_1)
	s_and_not1_b32 exec_lo, exec_lo, s13
	s_cbranch_execnz .LBB1_197
; %bb.198:                              ;   in Loop: Header=BB1_145 Depth=1
	s_or_b32 exec_lo, exec_lo, s13
.LBB1_199:                              ;   in Loop: Header=BB1_145 Depth=1
	s_delay_alu instid0(SALU_CYCLE_1)
	s_or_b32 exec_lo, exec_lo, s12
.LBB1_200:                              ;   in Loop: Header=BB1_145 Depth=1
	s_delay_alu instid0(SALU_CYCLE_1)
	s_or_b32 exec_lo, exec_lo, s1
	s_clause 0x1
	global_load_b64 v[8:9], v10, s[2:3] offset:40
	global_load_b128 v[29:32], v10, s[2:3]
	v_readfirstlane_b32 s12, v2
	v_readfirstlane_b32 s13, v3
	s_mov_b32 s1, exec_lo
	s_waitcnt vmcnt(1)
	v_readfirstlane_b32 s14, v8
	v_readfirstlane_b32 s15, v9
	s_delay_alu instid0(VALU_DEP_1) | instskip(NEXT) | instid1(SALU_CYCLE_1)
	s_and_b64 s[14:15], s[12:13], s[14:15]
	s_mul_i32 s16, s15, 24
	s_mul_hi_u32 s17, s14, 24
	s_mul_i32 s18, s14, 24
	s_add_i32 s17, s17, s16
	s_waitcnt vmcnt(0)
	v_add_co_u32 v2, vcc_lo, v29, s18
	v_add_co_ci_u32_e32 v3, vcc_lo, s17, v30, vcc_lo
	s_and_saveexec_b32 s16, s0
	s_cbranch_execz .LBB1_202
; %bb.201:                              ;   in Loop: Header=BB1_145 Depth=1
	v_mov_b32_e32 v9, s1
	global_store_b128 v[2:3], v[9:12], off offset:8
.LBB1_202:                              ;   in Loop: Header=BB1_145 Depth=1
	s_or_b32 exec_lo, exec_lo, s16
	s_lshl_b64 s[14:15], s[14:15], 12
	v_cmp_gt_u64_e64 vcc_lo, s[6:7], 56
	v_or_b32_e32 v9, v6, v33
	v_add_co_u32 v31, s1, v31, s14
	s_delay_alu instid0(VALU_DEP_1)
	v_add_co_ci_u32_e64 v32, s1, s15, v32, s1
	s_lshl_b32 s1, s10, 2
	v_or_b32_e32 v8, 0, v7
	v_cndmask_b32_e32 v6, v9, v6, vcc_lo
	s_add_i32 s1, s1, 28
	v_readfirstlane_b32 s14, v31
	s_and_b32 s1, s1, 0x1e0
	v_cndmask_b32_e32 v14, v8, v7, vcc_lo
	v_readfirstlane_b32 s15, v32
	v_and_or_b32 v13, 0xffffff1f, v6, s1
	s_clause 0x3
	global_store_b128 v34, v[13:16], s[14:15]
	global_store_b128 v34, v[17:20], s[14:15] offset:16
	global_store_b128 v34, v[21:24], s[14:15] offset:32
	;; [unrolled: 1-line block ×3, first 2 shown]
	s_and_saveexec_b32 s1, s0
	s_cbranch_execz .LBB1_210
; %bb.203:                              ;   in Loop: Header=BB1_145 Depth=1
	s_clause 0x1
	global_load_b64 v[17:18], v10, s[2:3] offset:32 glc
	global_load_b64 v[6:7], v10, s[2:3] offset:40
	v_dual_mov_b32 v15, s12 :: v_dual_mov_b32 v16, s13
	s_waitcnt vmcnt(0)
	v_readfirstlane_b32 s14, v6
	v_readfirstlane_b32 s15, v7
	s_delay_alu instid0(VALU_DEP_1) | instskip(NEXT) | instid1(SALU_CYCLE_1)
	s_and_b64 s[14:15], s[14:15], s[12:13]
	s_mul_i32 s15, s15, 24
	s_mul_hi_u32 s16, s14, 24
	s_mul_i32 s14, s14, 24
	s_add_i32 s16, s16, s15
	v_add_co_u32 v13, vcc_lo, v29, s14
	v_add_co_ci_u32_e32 v14, vcc_lo, s16, v30, vcc_lo
	s_mov_b32 s14, exec_lo
	global_store_b64 v[13:14], v[17:18], off
	s_waitcnt_vscnt null, 0x0
	global_atomic_cmpswap_b64 v[8:9], v10, v[15:18], s[2:3] offset:32 glc
	s_waitcnt vmcnt(0)
	v_cmpx_ne_u64_e64 v[8:9], v[17:18]
	s_cbranch_execz .LBB1_206
; %bb.204:                              ;   in Loop: Header=BB1_145 Depth=1
	s_mov_b32 s15, 0
.LBB1_205:                              ;   Parent Loop BB1_145 Depth=1
                                        ; =>  This Inner Loop Header: Depth=2
	v_dual_mov_b32 v6, s12 :: v_dual_mov_b32 v7, s13
	s_sleep 1
	global_store_b64 v[13:14], v[8:9], off
	s_waitcnt_vscnt null, 0x0
	global_atomic_cmpswap_b64 v[6:7], v10, v[6:9], s[2:3] offset:32 glc
	s_waitcnt vmcnt(0)
	v_cmp_eq_u64_e32 vcc_lo, v[6:7], v[8:9]
	v_dual_mov_b32 v9, v7 :: v_dual_mov_b32 v8, v6
	s_or_b32 s15, vcc_lo, s15
	s_delay_alu instid0(SALU_CYCLE_1)
	s_and_not1_b32 exec_lo, exec_lo, s15
	s_cbranch_execnz .LBB1_205
.LBB1_206:                              ;   in Loop: Header=BB1_145 Depth=1
	s_or_b32 exec_lo, exec_lo, s14
	global_load_b64 v[6:7], v10, s[2:3] offset:16
	s_mov_b32 s15, exec_lo
	s_mov_b32 s14, exec_lo
	v_mbcnt_lo_u32_b32 v8, s15, 0
	s_delay_alu instid0(VALU_DEP_1)
	v_cmpx_eq_u32_e32 0, v8
	s_cbranch_execz .LBB1_208
; %bb.207:                              ;   in Loop: Header=BB1_145 Depth=1
	s_bcnt1_i32_b32 s15, s15
	s_delay_alu instid0(SALU_CYCLE_1)
	v_mov_b32_e32 v9, s15
	s_waitcnt vmcnt(0)
	global_atomic_add_u64 v[6:7], v[9:10], off offset:8
.LBB1_208:                              ;   in Loop: Header=BB1_145 Depth=1
	s_or_b32 exec_lo, exec_lo, s14
	s_waitcnt vmcnt(0)
	global_load_b64 v[13:14], v[6:7], off offset:16
	s_waitcnt vmcnt(0)
	v_cmp_eq_u64_e32 vcc_lo, 0, v[13:14]
	s_cbranch_vccnz .LBB1_210
; %bb.209:                              ;   in Loop: Header=BB1_145 Depth=1
	global_load_b32 v9, v[6:7], off offset:24
	s_waitcnt vmcnt(0)
	v_and_b32_e32 v6, 0xffffff, v9
	s_waitcnt_vscnt null, 0x0
	global_store_b64 v[13:14], v[9:10], off
	v_readfirstlane_b32 m0, v6
	s_sendmsg sendmsg(MSG_INTERRUPT)
.LBB1_210:                              ;   in Loop: Header=BB1_145 Depth=1
	s_or_b32 exec_lo, exec_lo, s1
	v_add_co_u32 v6, vcc_lo, v31, v34
	v_add_co_ci_u32_e32 v7, vcc_lo, 0, v32, vcc_lo
	s_branch .LBB1_214
	.p2align	6
.LBB1_211:                              ;   in Loop: Header=BB1_214 Depth=2
	s_or_b32 exec_lo, exec_lo, s1
	s_delay_alu instid0(VALU_DEP_1) | instskip(NEXT) | instid1(VALU_DEP_1)
	v_readfirstlane_b32 s1, v8
	s_cmp_eq_u32 s1, 0
	s_cbranch_scc1 .LBB1_213
; %bb.212:                              ;   in Loop: Header=BB1_214 Depth=2
	s_sleep 1
	s_cbranch_execnz .LBB1_214
	s_branch .LBB1_216
	.p2align	6
.LBB1_213:                              ;   in Loop: Header=BB1_145 Depth=1
	s_branch .LBB1_216
.LBB1_214:                              ;   Parent Loop BB1_145 Depth=1
                                        ; =>  This Inner Loop Header: Depth=2
	v_mov_b32_e32 v8, 1
	s_and_saveexec_b32 s1, s0
	s_cbranch_execz .LBB1_211
; %bb.215:                              ;   in Loop: Header=BB1_214 Depth=2
	global_load_b32 v8, v[2:3], off offset:20 glc
	s_waitcnt vmcnt(0)
	buffer_gl1_inv
	buffer_gl0_inv
	v_and_b32_e32 v8, 1, v8
	s_branch .LBB1_211
.LBB1_216:                              ;   in Loop: Header=BB1_145 Depth=1
	global_load_b128 v[6:9], v[6:7], off
	s_and_saveexec_b32 s1, s0
	s_cbranch_execz .LBB1_144
; %bb.217:                              ;   in Loop: Header=BB1_145 Depth=1
	s_clause 0x2
	global_load_b64 v[2:3], v10, s[2:3] offset:40
	global_load_b64 v[8:9], v10, s[2:3] offset:24 glc
	global_load_b64 v[15:16], v10, s[2:3]
	s_waitcnt vmcnt(2)
	v_add_co_u32 v17, vcc_lo, v2, 1
	v_add_co_ci_u32_e32 v18, vcc_lo, 0, v3, vcc_lo
	s_delay_alu instid0(VALU_DEP_2) | instskip(NEXT) | instid1(VALU_DEP_2)
	v_add_co_u32 v13, vcc_lo, v17, s12
	v_add_co_ci_u32_e32 v14, vcc_lo, s13, v18, vcc_lo
	s_delay_alu instid0(VALU_DEP_1) | instskip(SKIP_1) | instid1(VALU_DEP_1)
	v_cmp_eq_u64_e32 vcc_lo, 0, v[13:14]
	v_dual_cndmask_b32 v14, v14, v18 :: v_dual_cndmask_b32 v13, v13, v17
	v_and_b32_e32 v3, v14, v3
	s_delay_alu instid0(VALU_DEP_2) | instskip(NEXT) | instid1(VALU_DEP_2)
	v_and_b32_e32 v2, v13, v2
	v_mul_lo_u32 v3, v3, 24
	s_delay_alu instid0(VALU_DEP_2) | instskip(SKIP_1) | instid1(VALU_DEP_2)
	v_mul_hi_u32 v17, v2, 24
	v_mul_lo_u32 v2, v2, 24
	v_add_nc_u32_e32 v3, v17, v3
	s_waitcnt vmcnt(0)
	s_delay_alu instid0(VALU_DEP_2) | instskip(SKIP_1) | instid1(VALU_DEP_3)
	v_add_co_u32 v2, vcc_lo, v15, v2
	v_mov_b32_e32 v15, v8
	v_add_co_ci_u32_e32 v3, vcc_lo, v16, v3, vcc_lo
	v_mov_b32_e32 v16, v9
	global_store_b64 v[2:3], v[8:9], off
	s_waitcnt_vscnt null, 0x0
	global_atomic_cmpswap_b64 v[15:16], v10, v[13:16], s[2:3] offset:24 glc
	s_waitcnt vmcnt(0)
	v_cmp_ne_u64_e32 vcc_lo, v[15:16], v[8:9]
	s_and_b32 exec_lo, exec_lo, vcc_lo
	s_cbranch_execz .LBB1_144
; %bb.218:                              ;   in Loop: Header=BB1_145 Depth=1
	s_mov_b32 s0, 0
.LBB1_219:                              ;   Parent Loop BB1_145 Depth=1
                                        ; =>  This Inner Loop Header: Depth=2
	s_sleep 1
	global_store_b64 v[2:3], v[15:16], off
	s_waitcnt_vscnt null, 0x0
	global_atomic_cmpswap_b64 v[8:9], v10, v[13:16], s[2:3] offset:24 glc
	s_waitcnt vmcnt(0)
	v_cmp_eq_u64_e32 vcc_lo, v[8:9], v[15:16]
	v_dual_mov_b32 v16, v9 :: v_dual_mov_b32 v15, v8
	s_or_b32 s0, vcc_lo, s0
	s_delay_alu instid0(SALU_CYCLE_1)
	s_and_not1_b32 exec_lo, exec_lo, s0
	s_cbranch_execnz .LBB1_219
	s_branch .LBB1_144
.LBB1_220:
                                        ; implicit-def: $vgpr6_vgpr7
	s_cbranch_execnz .LBB1_222
	s_branch .LBB1_249
.LBB1_221:
	s_branch .LBB1_249
.LBB1_222:
	v_readfirstlane_b32 s0, v35
	v_mov_b32_e32 v10, 0
	v_mov_b32_e32 v11, 0
	s_delay_alu instid0(VALU_DEP_3) | instskip(NEXT) | instid1(VALU_DEP_1)
	v_cmp_eq_u32_e64 s0, s0, v35
	s_and_saveexec_b32 s1, s0
	s_cbranch_execz .LBB1_228
; %bb.223:
	s_waitcnt vmcnt(0)
	v_mov_b32_e32 v2, 0
	s_mov_b32 s4, exec_lo
	global_load_b64 v[8:9], v2, s[2:3] offset:24 glc
	s_waitcnt vmcnt(0)
	buffer_gl1_inv
	buffer_gl0_inv
	s_clause 0x1
	global_load_b64 v[6:7], v2, s[2:3] offset:40
	global_load_b64 v[10:11], v2, s[2:3]
	s_waitcnt vmcnt(1)
	v_and_b32_e32 v3, v7, v9
	v_and_b32_e32 v6, v6, v8
	s_delay_alu instid0(VALU_DEP_2) | instskip(NEXT) | instid1(VALU_DEP_2)
	v_mul_lo_u32 v3, v3, 24
	v_mul_hi_u32 v7, v6, 24
	v_mul_lo_u32 v6, v6, 24
	s_delay_alu instid0(VALU_DEP_2) | instskip(SKIP_1) | instid1(VALU_DEP_2)
	v_add_nc_u32_e32 v3, v7, v3
	s_waitcnt vmcnt(0)
	v_add_co_u32 v6, vcc_lo, v10, v6
	s_delay_alu instid0(VALU_DEP_2)
	v_add_co_ci_u32_e32 v7, vcc_lo, v11, v3, vcc_lo
	global_load_b64 v[6:7], v[6:7], off glc
	s_waitcnt vmcnt(0)
	global_atomic_cmpswap_b64 v[10:11], v2, v[6:9], s[2:3] offset:24 glc
	s_waitcnt vmcnt(0)
	buffer_gl1_inv
	buffer_gl0_inv
	v_cmpx_ne_u64_e64 v[10:11], v[8:9]
	s_cbranch_execz .LBB1_227
; %bb.224:
	s_mov_b32 s5, 0
	.p2align	6
.LBB1_225:                              ; =>This Inner Loop Header: Depth=1
	s_sleep 1
	s_clause 0x1
	global_load_b64 v[6:7], v2, s[2:3] offset:40
	global_load_b64 v[12:13], v2, s[2:3]
	v_dual_mov_b32 v8, v10 :: v_dual_mov_b32 v9, v11
	s_waitcnt vmcnt(1)
	s_delay_alu instid0(VALU_DEP_1) | instskip(SKIP_1) | instid1(VALU_DEP_1)
	v_and_b32_e32 v3, v6, v8
	s_waitcnt vmcnt(0)
	v_mad_u64_u32 v[10:11], null, v3, 24, v[12:13]
	v_and_b32_e32 v12, v7, v9
	s_delay_alu instid0(VALU_DEP_2) | instskip(NEXT) | instid1(VALU_DEP_1)
	v_mov_b32_e32 v3, v11
	v_mad_u64_u32 v[6:7], null, v12, 24, v[3:4]
	s_delay_alu instid0(VALU_DEP_1)
	v_mov_b32_e32 v11, v6
	global_load_b64 v[6:7], v[10:11], off glc
	s_waitcnt vmcnt(0)
	global_atomic_cmpswap_b64 v[10:11], v2, v[6:9], s[2:3] offset:24 glc
	s_waitcnt vmcnt(0)
	buffer_gl1_inv
	buffer_gl0_inv
	v_cmp_eq_u64_e32 vcc_lo, v[10:11], v[8:9]
	s_or_b32 s5, vcc_lo, s5
	s_delay_alu instid0(SALU_CYCLE_1)
	s_and_not1_b32 exec_lo, exec_lo, s5
	s_cbranch_execnz .LBB1_225
; %bb.226:
	s_or_b32 exec_lo, exec_lo, s5
.LBB1_227:
	s_delay_alu instid0(SALU_CYCLE_1)
	s_or_b32 exec_lo, exec_lo, s4
.LBB1_228:
	s_delay_alu instid0(SALU_CYCLE_1)
	s_or_b32 exec_lo, exec_lo, s1
	s_waitcnt vmcnt(0)
	v_mov_b32_e32 v2, 0
	v_readfirstlane_b32 s4, v10
	v_readfirstlane_b32 s5, v11
	s_mov_b32 s1, exec_lo
	s_clause 0x1
	global_load_b64 v[12:13], v2, s[2:3] offset:40
	global_load_b128 v[6:9], v2, s[2:3]
	s_waitcnt vmcnt(1)
	v_readfirstlane_b32 s6, v12
	v_readfirstlane_b32 s7, v13
	s_delay_alu instid0(VALU_DEP_1) | instskip(NEXT) | instid1(SALU_CYCLE_1)
	s_and_b64 s[6:7], s[4:5], s[6:7]
	s_mul_i32 s10, s7, 24
	s_mul_hi_u32 s11, s6, 24
	s_mul_i32 s12, s6, 24
	s_add_i32 s11, s11, s10
	s_waitcnt vmcnt(0)
	v_add_co_u32 v10, vcc_lo, v6, s12
	v_add_co_ci_u32_e32 v11, vcc_lo, s11, v7, vcc_lo
	s_and_saveexec_b32 s10, s0
	s_cbranch_execz .LBB1_230
; %bb.229:
	v_dual_mov_b32 v12, s1 :: v_dual_mov_b32 v13, v2
	v_dual_mov_b32 v14, 2 :: v_dual_mov_b32 v15, 1
	global_store_b128 v[10:11], v[12:15], off offset:8
.LBB1_230:
	s_or_b32 exec_lo, exec_lo, s10
	s_lshl_b64 s[6:7], s[6:7], 12
	s_mov_b32 s12, 0
	v_add_co_u32 v8, vcc_lo, v8, s6
	v_add_co_ci_u32_e32 v9, vcc_lo, s7, v9, vcc_lo
	s_mov_b32 s13, s12
	s_delay_alu instid0(VALU_DEP_2)
	v_readfirstlane_b32 s6, v8
	v_add_co_u32 v8, vcc_lo, v8, v34
	s_mov_b32 s14, s12
	s_mov_b32 s15, s12
	v_and_or_b32 v0, 0xffffff1f, v0, 32
	v_dual_mov_b32 v3, v2 :: v_dual_mov_b32 v12, s12
	v_readfirstlane_b32 s7, v9
	v_add_co_ci_u32_e32 v9, vcc_lo, 0, v9, vcc_lo
	v_dual_mov_b32 v13, s13 :: v_dual_mov_b32 v14, s14
	v_mov_b32_e32 v15, s15
	s_clause 0x3
	global_store_b128 v34, v[0:3], s[6:7]
	global_store_b128 v34, v[12:15], s[6:7] offset:16
	global_store_b128 v34, v[12:15], s[6:7] offset:32
	;; [unrolled: 1-line block ×3, first 2 shown]
	s_and_saveexec_b32 s1, s0
	s_cbranch_execz .LBB1_238
; %bb.231:
	v_dual_mov_b32 v12, 0 :: v_dual_mov_b32 v13, s4
	v_mov_b32_e32 v14, s5
	s_clause 0x1
	global_load_b64 v[15:16], v12, s[2:3] offset:32 glc
	global_load_b64 v[0:1], v12, s[2:3] offset:40
	s_waitcnt vmcnt(0)
	v_readfirstlane_b32 s6, v0
	v_readfirstlane_b32 s7, v1
	s_delay_alu instid0(VALU_DEP_1) | instskip(NEXT) | instid1(SALU_CYCLE_1)
	s_and_b64 s[6:7], s[6:7], s[4:5]
	s_mul_i32 s7, s7, 24
	s_mul_hi_u32 s10, s6, 24
	s_mul_i32 s6, s6, 24
	s_add_i32 s10, s10, s7
	v_add_co_u32 v6, vcc_lo, v6, s6
	v_add_co_ci_u32_e32 v7, vcc_lo, s10, v7, vcc_lo
	s_mov_b32 s6, exec_lo
	global_store_b64 v[6:7], v[15:16], off
	s_waitcnt_vscnt null, 0x0
	global_atomic_cmpswap_b64 v[2:3], v12, v[13:16], s[2:3] offset:32 glc
	s_waitcnt vmcnt(0)
	v_cmpx_ne_u64_e64 v[2:3], v[15:16]
	s_cbranch_execz .LBB1_234
; %bb.232:
	s_mov_b32 s7, 0
.LBB1_233:                              ; =>This Inner Loop Header: Depth=1
	v_dual_mov_b32 v0, s4 :: v_dual_mov_b32 v1, s5
	s_sleep 1
	global_store_b64 v[6:7], v[2:3], off
	s_waitcnt_vscnt null, 0x0
	global_atomic_cmpswap_b64 v[0:1], v12, v[0:3], s[2:3] offset:32 glc
	s_waitcnt vmcnt(0)
	v_cmp_eq_u64_e32 vcc_lo, v[0:1], v[2:3]
	v_dual_mov_b32 v3, v1 :: v_dual_mov_b32 v2, v0
	s_or_b32 s7, vcc_lo, s7
	s_delay_alu instid0(SALU_CYCLE_1)
	s_and_not1_b32 exec_lo, exec_lo, s7
	s_cbranch_execnz .LBB1_233
.LBB1_234:
	s_or_b32 exec_lo, exec_lo, s6
	v_mov_b32_e32 v3, 0
	s_mov_b32 s7, exec_lo
	s_mov_b32 s6, exec_lo
	v_mbcnt_lo_u32_b32 v2, s7, 0
	global_load_b64 v[0:1], v3, s[2:3] offset:16
	v_cmpx_eq_u32_e32 0, v2
	s_cbranch_execz .LBB1_236
; %bb.235:
	s_bcnt1_i32_b32 s7, s7
	s_delay_alu instid0(SALU_CYCLE_1)
	v_mov_b32_e32 v2, s7
	s_waitcnt vmcnt(0)
	global_atomic_add_u64 v[0:1], v[2:3], off offset:8
.LBB1_236:
	s_or_b32 exec_lo, exec_lo, s6
	s_waitcnt vmcnt(0)
	global_load_b64 v[2:3], v[0:1], off offset:16
	s_waitcnt vmcnt(0)
	v_cmp_eq_u64_e32 vcc_lo, 0, v[2:3]
	s_cbranch_vccnz .LBB1_238
; %bb.237:
	global_load_b32 v0, v[0:1], off offset:24
	s_waitcnt vmcnt(0)
	v_dual_mov_b32 v1, 0 :: v_dual_and_b32 v6, 0xffffff, v0
	s_waitcnt_vscnt null, 0x0
	global_store_b64 v[2:3], v[0:1], off
	v_readfirstlane_b32 m0, v6
	s_sendmsg sendmsg(MSG_INTERRUPT)
.LBB1_238:
	s_or_b32 exec_lo, exec_lo, s1
	s_branch .LBB1_242
	.p2align	6
.LBB1_239:                              ;   in Loop: Header=BB1_242 Depth=1
	s_or_b32 exec_lo, exec_lo, s1
	s_delay_alu instid0(VALU_DEP_1) | instskip(NEXT) | instid1(VALU_DEP_1)
	v_readfirstlane_b32 s1, v0
	s_cmp_eq_u32 s1, 0
	s_cbranch_scc1 .LBB1_241
; %bb.240:                              ;   in Loop: Header=BB1_242 Depth=1
	s_sleep 1
	s_cbranch_execnz .LBB1_242
	s_branch .LBB1_244
	.p2align	6
.LBB1_241:
	s_branch .LBB1_244
.LBB1_242:                              ; =>This Inner Loop Header: Depth=1
	v_mov_b32_e32 v0, 1
	s_and_saveexec_b32 s1, s0
	s_cbranch_execz .LBB1_239
; %bb.243:                              ;   in Loop: Header=BB1_242 Depth=1
	global_load_b32 v0, v[10:11], off offset:20 glc
	s_waitcnt vmcnt(0)
	buffer_gl1_inv
	buffer_gl0_inv
	v_and_b32_e32 v0, 1, v0
	s_branch .LBB1_239
.LBB1_244:
	global_load_b64 v[6:7], v[8:9], off
	s_and_saveexec_b32 s1, s0
	s_cbranch_execz .LBB1_248
; %bb.245:
	v_mov_b32_e32 v10, 0
	s_clause 0x2
	global_load_b64 v[2:3], v10, s[2:3] offset:40
	global_load_b64 v[11:12], v10, s[2:3] offset:24 glc
	global_load_b64 v[8:9], v10, s[2:3]
	s_waitcnt vmcnt(2)
	v_add_co_u32 v13, vcc_lo, v2, 1
	v_add_co_ci_u32_e32 v14, vcc_lo, 0, v3, vcc_lo
	s_delay_alu instid0(VALU_DEP_2) | instskip(NEXT) | instid1(VALU_DEP_2)
	v_add_co_u32 v0, vcc_lo, v13, s4
	v_add_co_ci_u32_e32 v1, vcc_lo, s5, v14, vcc_lo
	s_delay_alu instid0(VALU_DEP_1) | instskip(SKIP_1) | instid1(VALU_DEP_1)
	v_cmp_eq_u64_e32 vcc_lo, 0, v[0:1]
	v_dual_cndmask_b32 v1, v1, v14 :: v_dual_cndmask_b32 v0, v0, v13
	v_and_b32_e32 v3, v1, v3
	s_delay_alu instid0(VALU_DEP_2) | instskip(NEXT) | instid1(VALU_DEP_2)
	v_and_b32_e32 v2, v0, v2
	v_mul_lo_u32 v3, v3, 24
	s_delay_alu instid0(VALU_DEP_2) | instskip(SKIP_1) | instid1(VALU_DEP_2)
	v_mul_hi_u32 v13, v2, 24
	v_mul_lo_u32 v2, v2, 24
	v_add_nc_u32_e32 v3, v13, v3
	s_waitcnt vmcnt(0)
	s_delay_alu instid0(VALU_DEP_2) | instskip(SKIP_1) | instid1(VALU_DEP_3)
	v_add_co_u32 v8, vcc_lo, v8, v2
	v_mov_b32_e32 v2, v11
	v_add_co_ci_u32_e32 v9, vcc_lo, v9, v3, vcc_lo
	v_mov_b32_e32 v3, v12
	global_store_b64 v[8:9], v[11:12], off
	s_waitcnt_vscnt null, 0x0
	global_atomic_cmpswap_b64 v[2:3], v10, v[0:3], s[2:3] offset:24 glc
	s_waitcnt vmcnt(0)
	v_cmp_ne_u64_e32 vcc_lo, v[2:3], v[11:12]
	s_and_b32 exec_lo, exec_lo, vcc_lo
	s_cbranch_execz .LBB1_248
; %bb.246:
	s_mov_b32 s0, 0
.LBB1_247:                              ; =>This Inner Loop Header: Depth=1
	s_sleep 1
	global_store_b64 v[8:9], v[2:3], off
	s_waitcnt_vscnt null, 0x0
	global_atomic_cmpswap_b64 v[11:12], v10, v[0:3], s[2:3] offset:24 glc
	s_waitcnt vmcnt(0)
	v_cmp_eq_u64_e32 vcc_lo, v[11:12], v[2:3]
	v_dual_mov_b32 v2, v11 :: v_dual_mov_b32 v3, v12
	s_or_b32 s0, vcc_lo, s0
	s_delay_alu instid0(SALU_CYCLE_1)
	s_and_not1_b32 exec_lo, exec_lo, s0
	s_cbranch_execnz .LBB1_247
.LBB1_248:
	s_or_b32 exec_lo, exec_lo, s1
.LBB1_249:
	v_readfirstlane_b32 s0, v35
	v_mov_b32_e32 v10, 0
	v_mov_b32_e32 v11, 0
	s_delay_alu instid0(VALU_DEP_3) | instskip(NEXT) | instid1(VALU_DEP_1)
	v_cmp_eq_u32_e64 s0, s0, v35
	s_and_saveexec_b32 s1, s0
	s_cbranch_execz .LBB1_255
; %bb.250:
	s_waitcnt vmcnt(0)
	v_mov_b32_e32 v0, 0
	s_mov_b32 s4, exec_lo
	global_load_b64 v[12:13], v0, s[2:3] offset:24 glc
	s_waitcnt vmcnt(0)
	buffer_gl1_inv
	buffer_gl0_inv
	s_clause 0x1
	global_load_b64 v[1:2], v0, s[2:3] offset:40
	global_load_b64 v[8:9], v0, s[2:3]
	s_waitcnt vmcnt(1)
	v_and_b32_e32 v1, v1, v12
	v_and_b32_e32 v2, v2, v13
	s_delay_alu instid0(VALU_DEP_2) | instskip(NEXT) | instid1(VALU_DEP_2)
	v_mul_hi_u32 v3, v1, 24
	v_mul_lo_u32 v2, v2, 24
	v_mul_lo_u32 v1, v1, 24
	s_delay_alu instid0(VALU_DEP_2) | instskip(SKIP_1) | instid1(VALU_DEP_2)
	v_add_nc_u32_e32 v2, v3, v2
	s_waitcnt vmcnt(0)
	v_add_co_u32 v1, vcc_lo, v8, v1
	s_delay_alu instid0(VALU_DEP_2)
	v_add_co_ci_u32_e32 v2, vcc_lo, v9, v2, vcc_lo
	global_load_b64 v[10:11], v[1:2], off glc
	s_waitcnt vmcnt(0)
	global_atomic_cmpswap_b64 v[10:11], v0, v[10:13], s[2:3] offset:24 glc
	s_waitcnt vmcnt(0)
	buffer_gl1_inv
	buffer_gl0_inv
	v_cmpx_ne_u64_e64 v[10:11], v[12:13]
	s_cbranch_execz .LBB1_254
; %bb.251:
	s_mov_b32 s5, 0
	.p2align	6
.LBB1_252:                              ; =>This Inner Loop Header: Depth=1
	s_sleep 1
	s_clause 0x1
	global_load_b64 v[1:2], v0, s[2:3] offset:40
	global_load_b64 v[8:9], v0, s[2:3]
	v_dual_mov_b32 v13, v11 :: v_dual_mov_b32 v12, v10
	s_waitcnt vmcnt(1)
	s_delay_alu instid0(VALU_DEP_1) | instskip(SKIP_1) | instid1(VALU_DEP_1)
	v_and_b32_e32 v1, v1, v12
	s_waitcnt vmcnt(0)
	v_mad_u64_u32 v[10:11], null, v1, 24, v[8:9]
	s_delay_alu instid0(VALU_DEP_1) | instskip(NEXT) | instid1(VALU_DEP_1)
	v_dual_mov_b32 v1, v11 :: v_dual_and_b32 v8, v2, v13
	v_mad_u64_u32 v[2:3], null, v8, 24, v[1:2]
	s_delay_alu instid0(VALU_DEP_1)
	v_mov_b32_e32 v11, v2
	global_load_b64 v[10:11], v[10:11], off glc
	s_waitcnt vmcnt(0)
	global_atomic_cmpswap_b64 v[10:11], v0, v[10:13], s[2:3] offset:24 glc
	s_waitcnt vmcnt(0)
	buffer_gl1_inv
	buffer_gl0_inv
	v_cmp_eq_u64_e32 vcc_lo, v[10:11], v[12:13]
	s_or_b32 s5, vcc_lo, s5
	s_delay_alu instid0(SALU_CYCLE_1)
	s_and_not1_b32 exec_lo, exec_lo, s5
	s_cbranch_execnz .LBB1_252
; %bb.253:
	s_or_b32 exec_lo, exec_lo, s5
.LBB1_254:
	s_delay_alu instid0(SALU_CYCLE_1)
	s_or_b32 exec_lo, exec_lo, s4
.LBB1_255:
	s_delay_alu instid0(SALU_CYCLE_1)
	s_or_b32 exec_lo, exec_lo, s1
	s_waitcnt vmcnt(0)
	v_mov_b32_e32 v9, 0
	v_readfirstlane_b32 s4, v10
	v_readfirstlane_b32 s5, v11
	s_mov_b32 s1, exec_lo
	s_clause 0x1
	global_load_b64 v[12:13], v9, s[2:3] offset:40
	global_load_b128 v[0:3], v9, s[2:3]
	s_waitcnt vmcnt(1)
	v_readfirstlane_b32 s6, v12
	v_readfirstlane_b32 s7, v13
	s_delay_alu instid0(VALU_DEP_1) | instskip(NEXT) | instid1(SALU_CYCLE_1)
	s_and_b64 s[6:7], s[4:5], s[6:7]
	s_mul_i32 s10, s7, 24
	s_mul_hi_u32 s11, s6, 24
	s_mul_i32 s12, s6, 24
	s_add_i32 s11, s11, s10
	s_waitcnt vmcnt(0)
	v_add_co_u32 v10, vcc_lo, v0, s12
	v_add_co_ci_u32_e32 v11, vcc_lo, s11, v1, vcc_lo
	s_and_saveexec_b32 s10, s0
	s_cbranch_execz .LBB1_257
; %bb.256:
	v_dual_mov_b32 v8, s1 :: v_dual_mov_b32 v15, 1
	v_dual_mov_b32 v14, 2 :: v_dual_mov_b32 v13, v9
	s_delay_alu instid0(VALU_DEP_2)
	v_mov_b32_e32 v12, v8
	global_store_b128 v[10:11], v[12:15], off offset:8
.LBB1_257:
	s_or_b32 exec_lo, exec_lo, s10
	s_lshl_b64 s[6:7], s[6:7], 12
	s_mov_b32 s12, 0
	v_add_co_u32 v2, vcc_lo, v2, s6
	v_add_co_ci_u32_e32 v3, vcc_lo, s7, v3, vcc_lo
	s_mov_b32 s15, s12
	s_delay_alu instid0(VALU_DEP_2)
	v_add_co_u32 v12, vcc_lo, v2, v34
	s_mov_b32 s13, s12
	s_mov_b32 s14, s12
	v_and_or_b32 v6, 0xffffff1f, v6, 32
	v_dual_mov_b32 v8, 0x331 :: v_dual_mov_b32 v17, s15
	v_readfirstlane_b32 s6, v2
	v_readfirstlane_b32 s7, v3
	v_add_co_ci_u32_e32 v13, vcc_lo, 0, v3, vcc_lo
	v_dual_mov_b32 v16, s14 :: v_dual_mov_b32 v15, s13
	v_mov_b32_e32 v14, s12
	s_clause 0x3
	global_store_b128 v34, v[6:9], s[6:7]
	global_store_b128 v34, v[14:17], s[6:7] offset:16
	global_store_b128 v34, v[14:17], s[6:7] offset:32
	;; [unrolled: 1-line block ×3, first 2 shown]
	s_and_saveexec_b32 s1, s0
	s_cbranch_execz .LBB1_265
; %bb.258:
	v_dual_mov_b32 v8, 0 :: v_dual_mov_b32 v15, s5
	v_mov_b32_e32 v14, s4
	s_clause 0x1
	global_load_b64 v[16:17], v8, s[2:3] offset:32 glc
	global_load_b64 v[2:3], v8, s[2:3] offset:40
	s_waitcnt vmcnt(0)
	v_readfirstlane_b32 s6, v2
	v_readfirstlane_b32 s7, v3
	s_delay_alu instid0(VALU_DEP_1) | instskip(NEXT) | instid1(SALU_CYCLE_1)
	s_and_b64 s[6:7], s[6:7], s[4:5]
	s_mul_i32 s7, s7, 24
	s_mul_hi_u32 s10, s6, 24
	s_mul_i32 s6, s6, 24
	s_add_i32 s10, s10, s7
	v_add_co_u32 v6, vcc_lo, v0, s6
	v_add_co_ci_u32_e32 v7, vcc_lo, s10, v1, vcc_lo
	s_mov_b32 s6, exec_lo
	global_store_b64 v[6:7], v[16:17], off
	s_waitcnt_vscnt null, 0x0
	global_atomic_cmpswap_b64 v[2:3], v8, v[14:17], s[2:3] offset:32 glc
	s_waitcnt vmcnt(0)
	v_cmpx_ne_u64_e64 v[2:3], v[16:17]
	s_cbranch_execz .LBB1_261
; %bb.259:
	s_mov_b32 s7, 0
.LBB1_260:                              ; =>This Inner Loop Header: Depth=1
	v_dual_mov_b32 v0, s4 :: v_dual_mov_b32 v1, s5
	s_sleep 1
	global_store_b64 v[6:7], v[2:3], off
	s_waitcnt_vscnt null, 0x0
	global_atomic_cmpswap_b64 v[0:1], v8, v[0:3], s[2:3] offset:32 glc
	s_waitcnt vmcnt(0)
	v_cmp_eq_u64_e32 vcc_lo, v[0:1], v[2:3]
	v_dual_mov_b32 v3, v1 :: v_dual_mov_b32 v2, v0
	s_or_b32 s7, vcc_lo, s7
	s_delay_alu instid0(SALU_CYCLE_1)
	s_and_not1_b32 exec_lo, exec_lo, s7
	s_cbranch_execnz .LBB1_260
.LBB1_261:
	s_or_b32 exec_lo, exec_lo, s6
	v_mov_b32_e32 v3, 0
	s_mov_b32 s7, exec_lo
	s_mov_b32 s6, exec_lo
	v_mbcnt_lo_u32_b32 v2, s7, 0
	global_load_b64 v[0:1], v3, s[2:3] offset:16
	v_cmpx_eq_u32_e32 0, v2
	s_cbranch_execz .LBB1_263
; %bb.262:
	s_bcnt1_i32_b32 s7, s7
	s_delay_alu instid0(SALU_CYCLE_1)
	v_mov_b32_e32 v2, s7
	s_waitcnt vmcnt(0)
	global_atomic_add_u64 v[0:1], v[2:3], off offset:8
.LBB1_263:
	s_or_b32 exec_lo, exec_lo, s6
	s_waitcnt vmcnt(0)
	global_load_b64 v[2:3], v[0:1], off offset:16
	s_waitcnt vmcnt(0)
	v_cmp_eq_u64_e32 vcc_lo, 0, v[2:3]
	s_cbranch_vccnz .LBB1_265
; %bb.264:
	global_load_b32 v0, v[0:1], off offset:24
	s_waitcnt vmcnt(0)
	v_dual_mov_b32 v1, 0 :: v_dual_and_b32 v6, 0xffffff, v0
	s_waitcnt_vscnt null, 0x0
	global_store_b64 v[2:3], v[0:1], off
	v_readfirstlane_b32 m0, v6
	s_sendmsg sendmsg(MSG_INTERRUPT)
.LBB1_265:
	s_or_b32 exec_lo, exec_lo, s1
	s_branch .LBB1_269
	.p2align	6
.LBB1_266:                              ;   in Loop: Header=BB1_269 Depth=1
	s_or_b32 exec_lo, exec_lo, s1
	s_delay_alu instid0(VALU_DEP_1) | instskip(NEXT) | instid1(VALU_DEP_1)
	v_readfirstlane_b32 s1, v0
	s_cmp_eq_u32 s1, 0
	s_cbranch_scc1 .LBB1_268
; %bb.267:                              ;   in Loop: Header=BB1_269 Depth=1
	s_sleep 1
	s_cbranch_execnz .LBB1_269
	s_branch .LBB1_271
	.p2align	6
.LBB1_268:
	s_branch .LBB1_271
.LBB1_269:                              ; =>This Inner Loop Header: Depth=1
	v_mov_b32_e32 v0, 1
	s_and_saveexec_b32 s1, s0
	s_cbranch_execz .LBB1_266
; %bb.270:                              ;   in Loop: Header=BB1_269 Depth=1
	global_load_b32 v0, v[10:11], off offset:20 glc
	s_waitcnt vmcnt(0)
	buffer_gl1_inv
	buffer_gl0_inv
	v_and_b32_e32 v0, 1, v0
	s_branch .LBB1_266
.LBB1_271:
	global_load_b64 v[0:1], v[12:13], off
	s_and_saveexec_b32 s1, s0
	s_cbranch_execz .LBB1_275
; %bb.272:
	v_mov_b32_e32 v10, 0
	s_clause 0x2
	global_load_b64 v[2:3], v10, s[2:3] offset:40
	global_load_b64 v[11:12], v10, s[2:3] offset:24 glc
	global_load_b64 v[8:9], v10, s[2:3]
	s_waitcnt vmcnt(2)
	v_add_co_u32 v13, vcc_lo, v2, 1
	v_add_co_ci_u32_e32 v14, vcc_lo, 0, v3, vcc_lo
	s_delay_alu instid0(VALU_DEP_2) | instskip(NEXT) | instid1(VALU_DEP_2)
	v_add_co_u32 v6, vcc_lo, v13, s4
	v_add_co_ci_u32_e32 v7, vcc_lo, s5, v14, vcc_lo
	s_delay_alu instid0(VALU_DEP_1) | instskip(SKIP_1) | instid1(VALU_DEP_1)
	v_cmp_eq_u64_e32 vcc_lo, 0, v[6:7]
	v_dual_cndmask_b32 v7, v7, v14 :: v_dual_cndmask_b32 v6, v6, v13
	v_and_b32_e32 v3, v7, v3
	s_delay_alu instid0(VALU_DEP_2) | instskip(NEXT) | instid1(VALU_DEP_2)
	v_and_b32_e32 v2, v6, v2
	v_mul_lo_u32 v3, v3, 24
	s_delay_alu instid0(VALU_DEP_2) | instskip(SKIP_1) | instid1(VALU_DEP_2)
	v_mul_hi_u32 v13, v2, 24
	v_mul_lo_u32 v2, v2, 24
	v_add_nc_u32_e32 v3, v13, v3
	s_waitcnt vmcnt(0)
	s_delay_alu instid0(VALU_DEP_2) | instskip(SKIP_1) | instid1(VALU_DEP_3)
	v_add_co_u32 v2, vcc_lo, v8, v2
	v_mov_b32_e32 v8, v11
	v_add_co_ci_u32_e32 v3, vcc_lo, v9, v3, vcc_lo
	v_mov_b32_e32 v9, v12
	global_store_b64 v[2:3], v[11:12], off
	s_waitcnt_vscnt null, 0x0
	global_atomic_cmpswap_b64 v[8:9], v10, v[6:9], s[2:3] offset:24 glc
	s_waitcnt vmcnt(0)
	v_cmp_ne_u64_e32 vcc_lo, v[8:9], v[11:12]
	s_and_b32 exec_lo, exec_lo, vcc_lo
	s_cbranch_execz .LBB1_275
; %bb.273:
	s_mov_b32 s0, 0
.LBB1_274:                              ; =>This Inner Loop Header: Depth=1
	s_sleep 1
	global_store_b64 v[2:3], v[8:9], off
	s_waitcnt_vscnt null, 0x0
	global_atomic_cmpswap_b64 v[11:12], v10, v[6:9], s[2:3] offset:24 glc
	s_waitcnt vmcnt(0)
	v_cmp_eq_u64_e32 vcc_lo, v[11:12], v[8:9]
	v_dual_mov_b32 v8, v11 :: v_dual_mov_b32 v9, v12
	s_or_b32 s0, vcc_lo, s0
	s_delay_alu instid0(SALU_CYCLE_1)
	s_and_not1_b32 exec_lo, exec_lo, s0
	s_cbranch_execnz .LBB1_274
.LBB1_275:
	s_or_b32 exec_lo, exec_lo, s1
	v_dual_mov_b32 v7, v5 :: v_dual_mov_b32 v6, v4
	s_mov_b32 s0, 0
.LBB1_276:                              ; =>This Inner Loop Header: Depth=1
	flat_load_u8 v8, v[6:7]
	v_add_co_u32 v2, vcc_lo, v6, 1
	v_add_co_ci_u32_e32 v3, vcc_lo, 0, v7, vcc_lo
	s_delay_alu instid0(VALU_DEP_1) | instskip(SKIP_3) | instid1(SALU_CYCLE_1)
	v_dual_mov_b32 v7, v3 :: v_dual_mov_b32 v6, v2
	s_waitcnt vmcnt(0) lgkmcnt(0)
	v_cmp_eq_u16_e32 vcc_lo, 0, v8
	s_or_b32 s0, vcc_lo, s0
	s_and_not1_b32 exec_lo, exec_lo, s0
	s_cbranch_execnz .LBB1_276
; %bb.277:
	s_or_b32 exec_lo, exec_lo, s0
	s_delay_alu instid0(SALU_CYCLE_1)
	s_mov_b32 s0, exec_lo
	v_cmpx_ne_u64_e32 0, v[4:5]
	s_xor_b32 s10, exec_lo, s0
	s_cbranch_execz .LBB1_363
; %bb.278:
	v_sub_nc_u32_e32 v26, v2, v4
	v_dual_mov_b32 v7, 0 :: v_dual_and_b32 v32, 2, v0
	v_dual_mov_b32 v9, 1 :: v_dual_and_b32 v0, -3, v0
	v_mov_b32_e32 v8, 2
	s_delay_alu instid0(VALU_DEP_4)
	v_ashrrev_i32_e32 v27, 31, v26
	s_mov_b32 s12, 0
	s_mov_b32 s11, 0
	s_branch .LBB1_280
.LBB1_279:                              ;   in Loop: Header=BB1_280 Depth=1
	s_or_b32 exec_lo, exec_lo, s1
	v_sub_co_u32 v26, vcc_lo, v26, v28
	v_sub_co_ci_u32_e32 v27, vcc_lo, v27, v29, vcc_lo
	v_add_co_u32 v4, s0, v4, v28
	s_delay_alu instid0(VALU_DEP_1) | instskip(NEXT) | instid1(VALU_DEP_3)
	v_add_co_ci_u32_e64 v5, s0, v5, v29, s0
	v_cmp_eq_u64_e32 vcc_lo, 0, v[26:27]
	s_or_b32 s11, vcc_lo, s11
	s_delay_alu instid0(SALU_CYCLE_1)
	s_and_not1_b32 exec_lo, exec_lo, s11
	s_cbranch_execz .LBB1_362
.LBB1_280:                              ; =>This Loop Header: Depth=1
                                        ;     Child Loop BB1_283 Depth 2
                                        ;     Child Loop BB1_291 Depth 2
	;; [unrolled: 1-line block ×11, first 2 shown]
	s_delay_alu instid0(VALU_DEP_1)
	v_cmp_gt_u64_e32 vcc_lo, 56, v[26:27]
	s_mov_b32 s1, exec_lo
                                        ; implicit-def: $vgpr2_vgpr3
                                        ; implicit-def: $sgpr4
	v_dual_cndmask_b32 v29, 0, v27 :: v_dual_cndmask_b32 v28, 56, v26
	v_cmpx_gt_u64_e32 8, v[26:27]
	s_xor_b32 s1, exec_lo, s1
	s_cbranch_execz .LBB1_286
; %bb.281:                              ;   in Loop: Header=BB1_280 Depth=1
	s_waitcnt vmcnt(0)
	v_mov_b32_e32 v2, 0
	v_mov_b32_e32 v3, 0
	s_mov_b64 s[4:5], 0
	s_mov_b32 s6, exec_lo
	v_cmpx_ne_u64_e32 0, v[26:27]
	s_cbranch_execz .LBB1_285
; %bb.282:                              ;   in Loop: Header=BB1_280 Depth=1
	v_lshlrev_b64 v[10:11], 3, v[28:29]
	v_mov_b32_e32 v2, 0
	v_dual_mov_b32 v3, 0 :: v_dual_mov_b32 v12, v5
	v_mov_b32_e32 v11, v4
	s_mov_b32 s7, 0
	.p2align	6
.LBB1_283:                              ;   Parent Loop BB1_280 Depth=1
                                        ; =>  This Inner Loop Header: Depth=2
	flat_load_u8 v6, v[11:12]
	v_mov_b32_e32 v14, s12
	v_add_co_u32 v11, vcc_lo, v11, 1
	v_add_co_ci_u32_e32 v12, vcc_lo, 0, v12, vcc_lo
	s_waitcnt vmcnt(0) lgkmcnt(0)
	v_and_b32_e32 v13, 0xffff, v6
	s_delay_alu instid0(VALU_DEP_1) | instskip(SKIP_3) | instid1(VALU_DEP_2)
	v_lshlrev_b64 v[13:14], s4, v[13:14]
	s_add_u32 s4, s4, 8
	s_addc_u32 s5, s5, 0
	v_cmp_eq_u32_e64 s0, s4, v10
	v_or_b32_e32 v3, v14, v3
	s_delay_alu instid0(VALU_DEP_3) | instskip(NEXT) | instid1(VALU_DEP_3)
	v_or_b32_e32 v2, v13, v2
	s_or_b32 s7, s0, s7
	s_delay_alu instid0(SALU_CYCLE_1)
	s_and_not1_b32 exec_lo, exec_lo, s7
	s_cbranch_execnz .LBB1_283
; %bb.284:                              ;   in Loop: Header=BB1_280 Depth=1
	s_or_b32 exec_lo, exec_lo, s7
.LBB1_285:                              ;   in Loop: Header=BB1_280 Depth=1
	s_delay_alu instid0(SALU_CYCLE_1)
	s_or_b32 exec_lo, exec_lo, s6
	s_mov_b32 s4, 0
.LBB1_286:                              ;   in Loop: Header=BB1_280 Depth=1
	s_or_saveexec_b32 s0, s1
	v_dual_mov_b32 v6, s4 :: v_dual_mov_b32 v23, v5
	v_mov_b32_e32 v22, v4
	s_xor_b32 exec_lo, exec_lo, s0
	s_cbranch_execz .LBB1_288
; %bb.287:                              ;   in Loop: Header=BB1_280 Depth=1
	s_waitcnt vmcnt(0)
	flat_load_b64 v[2:3], v[4:5]
	v_add_co_u32 v22, vcc_lo, v4, 8
	v_add_co_ci_u32_e32 v23, vcc_lo, 0, v5, vcc_lo
	s_waitcnt vmcnt(0) lgkmcnt(0)
	v_and_b32_e32 v6, 0xff, v3
	v_and_b32_e32 v10, 0xff00, v3
	;; [unrolled: 1-line block ×4, first 2 shown]
	v_or3_b32 v2, v2, 0, 0
	s_delay_alu instid0(VALU_DEP_4) | instskip(SKIP_1) | instid1(VALU_DEP_2)
	v_or_b32_e32 v10, v6, v10
	v_add_nc_u32_e32 v6, -8, v28
	v_or3_b32 v3, v10, v11, v3
.LBB1_288:                              ;   in Loop: Header=BB1_280 Depth=1
	s_or_b32 exec_lo, exec_lo, s0
                                        ; implicit-def: $vgpr10_vgpr11
                                        ; implicit-def: $sgpr1
	s_delay_alu instid0(SALU_CYCLE_1) | instskip(NEXT) | instid1(VALU_DEP_2)
	s_mov_b32 s0, exec_lo
	v_cmpx_gt_u32_e32 8, v6
	s_xor_b32 s6, exec_lo, s0
	s_cbranch_execz .LBB1_294
; %bb.289:                              ;   in Loop: Header=BB1_280 Depth=1
	v_mov_b32_e32 v10, 0
	v_mov_b32_e32 v11, 0
	s_mov_b32 s7, exec_lo
	v_cmpx_ne_u32_e32 0, v6
	s_cbranch_execz .LBB1_293
; %bb.290:                              ;   in Loop: Header=BB1_280 Depth=1
	v_mov_b32_e32 v10, 0
	v_mov_b32_e32 v11, 0
	s_mov_b64 s[0:1], 0
	s_mov_b32 s13, 0
	s_mov_b64 s[4:5], 0
	.p2align	6
.LBB1_291:                              ;   Parent Loop BB1_280 Depth=1
                                        ; =>  This Inner Loop Header: Depth=2
	s_delay_alu instid0(SALU_CYCLE_1)
	v_add_co_u32 v12, vcc_lo, v22, s4
	v_add_co_ci_u32_e32 v13, vcc_lo, s5, v23, vcc_lo
	s_add_u32 s4, s4, 1
	s_addc_u32 s5, s5, 0
	v_cmp_eq_u32_e32 vcc_lo, s4, v6
	flat_load_u8 v12, v[12:13]
	s_waitcnt vmcnt(0) lgkmcnt(0)
	v_dual_mov_b32 v13, s12 :: v_dual_and_b32 v12, 0xffff, v12
	s_delay_alu instid0(VALU_DEP_1) | instskip(SKIP_3) | instid1(VALU_DEP_1)
	v_lshlrev_b64 v[12:13], s0, v[12:13]
	s_add_u32 s0, s0, 8
	s_addc_u32 s1, s1, 0
	s_or_b32 s13, vcc_lo, s13
	v_or_b32_e32 v11, v13, v11
	s_delay_alu instid0(VALU_DEP_2)
	v_or_b32_e32 v10, v12, v10
	s_and_not1_b32 exec_lo, exec_lo, s13
	s_cbranch_execnz .LBB1_291
; %bb.292:                              ;   in Loop: Header=BB1_280 Depth=1
	s_or_b32 exec_lo, exec_lo, s13
.LBB1_293:                              ;   in Loop: Header=BB1_280 Depth=1
	s_delay_alu instid0(SALU_CYCLE_1)
	s_or_b32 exec_lo, exec_lo, s7
	s_mov_b32 s1, 0
                                        ; implicit-def: $vgpr6
.LBB1_294:                              ;   in Loop: Header=BB1_280 Depth=1
	s_or_saveexec_b32 s0, s6
	v_mov_b32_e32 v14, s1
	s_xor_b32 exec_lo, exec_lo, s0
	s_cbranch_execz .LBB1_296
; %bb.295:                              ;   in Loop: Header=BB1_280 Depth=1
	flat_load_b64 v[10:11], v[22:23]
	v_add_co_u32 v22, vcc_lo, v22, 8
	v_add_nc_u32_e32 v14, -8, v6
	v_add_co_ci_u32_e32 v23, vcc_lo, 0, v23, vcc_lo
	s_waitcnt vmcnt(0) lgkmcnt(0)
	v_and_b32_e32 v12, 0xff, v11
	v_and_b32_e32 v13, 0xff00, v11
	;; [unrolled: 1-line block ×4, first 2 shown]
	v_or3_b32 v10, v10, 0, 0
	s_delay_alu instid0(VALU_DEP_4) | instskip(NEXT) | instid1(VALU_DEP_1)
	v_or_b32_e32 v12, v12, v13
	v_or3_b32 v11, v12, v15, v11
.LBB1_296:                              ;   in Loop: Header=BB1_280 Depth=1
	s_or_b32 exec_lo, exec_lo, s0
                                        ; implicit-def: $sgpr1
	s_delay_alu instid0(SALU_CYCLE_1)
	s_mov_b32 s0, exec_lo
	v_cmpx_gt_u32_e32 8, v14
	s_xor_b32 s6, exec_lo, s0
	s_cbranch_execz .LBB1_302
; %bb.297:                              ;   in Loop: Header=BB1_280 Depth=1
	v_mov_b32_e32 v12, 0
	v_mov_b32_e32 v13, 0
	s_mov_b32 s7, exec_lo
	v_cmpx_ne_u32_e32 0, v14
	s_cbranch_execz .LBB1_301
; %bb.298:                              ;   in Loop: Header=BB1_280 Depth=1
	v_mov_b32_e32 v12, 0
	v_mov_b32_e32 v13, 0
	s_mov_b64 s[0:1], 0
	s_mov_b32 s13, 0
	s_mov_b64 s[4:5], 0
	.p2align	6
.LBB1_299:                              ;   Parent Loop BB1_280 Depth=1
                                        ; =>  This Inner Loop Header: Depth=2
	s_delay_alu instid0(SALU_CYCLE_1)
	v_add_co_u32 v15, vcc_lo, v22, s4
	v_add_co_ci_u32_e32 v16, vcc_lo, s5, v23, vcc_lo
	s_add_u32 s4, s4, 1
	s_addc_u32 s5, s5, 0
	v_cmp_eq_u32_e32 vcc_lo, s4, v14
	flat_load_u8 v6, v[15:16]
	s_waitcnt vmcnt(0) lgkmcnt(0)
	v_dual_mov_b32 v16, s12 :: v_dual_and_b32 v15, 0xffff, v6
	s_delay_alu instid0(VALU_DEP_1) | instskip(SKIP_3) | instid1(VALU_DEP_1)
	v_lshlrev_b64 v[15:16], s0, v[15:16]
	s_add_u32 s0, s0, 8
	s_addc_u32 s1, s1, 0
	s_or_b32 s13, vcc_lo, s13
	v_or_b32_e32 v13, v16, v13
	s_delay_alu instid0(VALU_DEP_2)
	v_or_b32_e32 v12, v15, v12
	s_and_not1_b32 exec_lo, exec_lo, s13
	s_cbranch_execnz .LBB1_299
; %bb.300:                              ;   in Loop: Header=BB1_280 Depth=1
	s_or_b32 exec_lo, exec_lo, s13
.LBB1_301:                              ;   in Loop: Header=BB1_280 Depth=1
	s_delay_alu instid0(SALU_CYCLE_1)
	s_or_b32 exec_lo, exec_lo, s7
	s_mov_b32 s1, 0
                                        ; implicit-def: $vgpr14
.LBB1_302:                              ;   in Loop: Header=BB1_280 Depth=1
	s_or_saveexec_b32 s0, s6
	v_mov_b32_e32 v6, s1
	s_xor_b32 exec_lo, exec_lo, s0
	s_cbranch_execz .LBB1_304
; %bb.303:                              ;   in Loop: Header=BB1_280 Depth=1
	flat_load_b64 v[12:13], v[22:23]
	v_add_co_u32 v22, vcc_lo, v22, 8
	v_add_co_ci_u32_e32 v23, vcc_lo, 0, v23, vcc_lo
	s_waitcnt vmcnt(0) lgkmcnt(0)
	v_and_b32_e32 v6, 0xff, v13
	v_and_b32_e32 v15, 0xff00, v13
	;; [unrolled: 1-line block ×4, first 2 shown]
	v_or3_b32 v12, v12, 0, 0
	s_delay_alu instid0(VALU_DEP_4) | instskip(SKIP_1) | instid1(VALU_DEP_2)
	v_or_b32_e32 v15, v6, v15
	v_add_nc_u32_e32 v6, -8, v14
	v_or3_b32 v13, v15, v16, v13
.LBB1_304:                              ;   in Loop: Header=BB1_280 Depth=1
	s_or_b32 exec_lo, exec_lo, s0
                                        ; implicit-def: $vgpr14_vgpr15
                                        ; implicit-def: $sgpr1
	s_delay_alu instid0(SALU_CYCLE_1) | instskip(NEXT) | instid1(VALU_DEP_1)
	s_mov_b32 s0, exec_lo
	v_cmpx_gt_u32_e32 8, v6
	s_xor_b32 s6, exec_lo, s0
	s_cbranch_execz .LBB1_310
; %bb.305:                              ;   in Loop: Header=BB1_280 Depth=1
	v_mov_b32_e32 v14, 0
	v_mov_b32_e32 v15, 0
	s_mov_b32 s7, exec_lo
	v_cmpx_ne_u32_e32 0, v6
	s_cbranch_execz .LBB1_309
; %bb.306:                              ;   in Loop: Header=BB1_280 Depth=1
	v_mov_b32_e32 v14, 0
	v_mov_b32_e32 v15, 0
	s_mov_b64 s[0:1], 0
	s_mov_b32 s13, 0
	s_mov_b64 s[4:5], 0
	.p2align	6
.LBB1_307:                              ;   Parent Loop BB1_280 Depth=1
                                        ; =>  This Inner Loop Header: Depth=2
	s_delay_alu instid0(SALU_CYCLE_1)
	v_add_co_u32 v16, vcc_lo, v22, s4
	v_add_co_ci_u32_e32 v17, vcc_lo, s5, v23, vcc_lo
	s_add_u32 s4, s4, 1
	s_addc_u32 s5, s5, 0
	v_cmp_eq_u32_e32 vcc_lo, s4, v6
	flat_load_u8 v16, v[16:17]
	s_waitcnt vmcnt(0) lgkmcnt(0)
	v_dual_mov_b32 v17, s12 :: v_dual_and_b32 v16, 0xffff, v16
	s_delay_alu instid0(VALU_DEP_1) | instskip(SKIP_3) | instid1(VALU_DEP_1)
	v_lshlrev_b64 v[16:17], s0, v[16:17]
	s_add_u32 s0, s0, 8
	s_addc_u32 s1, s1, 0
	s_or_b32 s13, vcc_lo, s13
	v_or_b32_e32 v15, v17, v15
	s_delay_alu instid0(VALU_DEP_2)
	v_or_b32_e32 v14, v16, v14
	s_and_not1_b32 exec_lo, exec_lo, s13
	s_cbranch_execnz .LBB1_307
; %bb.308:                              ;   in Loop: Header=BB1_280 Depth=1
	s_or_b32 exec_lo, exec_lo, s13
.LBB1_309:                              ;   in Loop: Header=BB1_280 Depth=1
	s_delay_alu instid0(SALU_CYCLE_1)
	s_or_b32 exec_lo, exec_lo, s7
	s_mov_b32 s1, 0
                                        ; implicit-def: $vgpr6
.LBB1_310:                              ;   in Loop: Header=BB1_280 Depth=1
	s_or_saveexec_b32 s0, s6
	v_mov_b32_e32 v18, s1
	s_xor_b32 exec_lo, exec_lo, s0
	s_cbranch_execz .LBB1_312
; %bb.311:                              ;   in Loop: Header=BB1_280 Depth=1
	flat_load_b64 v[14:15], v[22:23]
	v_add_co_u32 v22, vcc_lo, v22, 8
	v_add_nc_u32_e32 v18, -8, v6
	v_add_co_ci_u32_e32 v23, vcc_lo, 0, v23, vcc_lo
	s_waitcnt vmcnt(0) lgkmcnt(0)
	v_and_b32_e32 v16, 0xff, v15
	v_and_b32_e32 v17, 0xff00, v15
	;; [unrolled: 1-line block ×4, first 2 shown]
	v_or3_b32 v14, v14, 0, 0
	s_delay_alu instid0(VALU_DEP_4) | instskip(NEXT) | instid1(VALU_DEP_1)
	v_or_b32_e32 v16, v16, v17
	v_or3_b32 v15, v16, v19, v15
.LBB1_312:                              ;   in Loop: Header=BB1_280 Depth=1
	s_or_b32 exec_lo, exec_lo, s0
                                        ; implicit-def: $sgpr1
	s_delay_alu instid0(SALU_CYCLE_1)
	s_mov_b32 s0, exec_lo
	v_cmpx_gt_u32_e32 8, v18
	s_xor_b32 s6, exec_lo, s0
	s_cbranch_execz .LBB1_318
; %bb.313:                              ;   in Loop: Header=BB1_280 Depth=1
	v_mov_b32_e32 v16, 0
	v_mov_b32_e32 v17, 0
	s_mov_b32 s7, exec_lo
	v_cmpx_ne_u32_e32 0, v18
	s_cbranch_execz .LBB1_317
; %bb.314:                              ;   in Loop: Header=BB1_280 Depth=1
	v_mov_b32_e32 v16, 0
	v_mov_b32_e32 v17, 0
	s_mov_b64 s[0:1], 0
	s_mov_b32 s13, 0
	s_mov_b64 s[4:5], 0
	.p2align	6
.LBB1_315:                              ;   Parent Loop BB1_280 Depth=1
                                        ; =>  This Inner Loop Header: Depth=2
	s_delay_alu instid0(SALU_CYCLE_1)
	v_add_co_u32 v19, vcc_lo, v22, s4
	v_add_co_ci_u32_e32 v20, vcc_lo, s5, v23, vcc_lo
	s_add_u32 s4, s4, 1
	s_addc_u32 s5, s5, 0
	v_cmp_eq_u32_e32 vcc_lo, s4, v18
	flat_load_u8 v6, v[19:20]
	s_waitcnt vmcnt(0) lgkmcnt(0)
	v_dual_mov_b32 v20, s12 :: v_dual_and_b32 v19, 0xffff, v6
	s_delay_alu instid0(VALU_DEP_1) | instskip(SKIP_3) | instid1(VALU_DEP_1)
	v_lshlrev_b64 v[19:20], s0, v[19:20]
	s_add_u32 s0, s0, 8
	s_addc_u32 s1, s1, 0
	s_or_b32 s13, vcc_lo, s13
	v_or_b32_e32 v17, v20, v17
	s_delay_alu instid0(VALU_DEP_2)
	v_or_b32_e32 v16, v19, v16
	s_and_not1_b32 exec_lo, exec_lo, s13
	s_cbranch_execnz .LBB1_315
; %bb.316:                              ;   in Loop: Header=BB1_280 Depth=1
	s_or_b32 exec_lo, exec_lo, s13
.LBB1_317:                              ;   in Loop: Header=BB1_280 Depth=1
	s_delay_alu instid0(SALU_CYCLE_1)
	s_or_b32 exec_lo, exec_lo, s7
	s_mov_b32 s1, 0
                                        ; implicit-def: $vgpr18
.LBB1_318:                              ;   in Loop: Header=BB1_280 Depth=1
	s_or_saveexec_b32 s0, s6
	v_mov_b32_e32 v6, s1
	s_xor_b32 exec_lo, exec_lo, s0
	s_cbranch_execz .LBB1_320
; %bb.319:                              ;   in Loop: Header=BB1_280 Depth=1
	flat_load_b64 v[16:17], v[22:23]
	v_add_co_u32 v22, vcc_lo, v22, 8
	v_add_co_ci_u32_e32 v23, vcc_lo, 0, v23, vcc_lo
	s_waitcnt vmcnt(0) lgkmcnt(0)
	v_and_b32_e32 v6, 0xff, v17
	v_and_b32_e32 v19, 0xff00, v17
	v_and_b32_e32 v20, 0xff0000, v17
	v_and_b32_e32 v17, 0xff000000, v17
	v_or3_b32 v16, v16, 0, 0
	s_delay_alu instid0(VALU_DEP_4) | instskip(SKIP_1) | instid1(VALU_DEP_2)
	v_or_b32_e32 v19, v6, v19
	v_add_nc_u32_e32 v6, -8, v18
	v_or3_b32 v17, v19, v20, v17
.LBB1_320:                              ;   in Loop: Header=BB1_280 Depth=1
	s_or_b32 exec_lo, exec_lo, s0
                                        ; implicit-def: $vgpr18_vgpr19
                                        ; implicit-def: $sgpr1
	s_delay_alu instid0(SALU_CYCLE_1) | instskip(NEXT) | instid1(VALU_DEP_1)
	s_mov_b32 s0, exec_lo
	v_cmpx_gt_u32_e32 8, v6
	s_xor_b32 s6, exec_lo, s0
	s_cbranch_execz .LBB1_326
; %bb.321:                              ;   in Loop: Header=BB1_280 Depth=1
	v_mov_b32_e32 v18, 0
	v_mov_b32_e32 v19, 0
	s_mov_b32 s7, exec_lo
	v_cmpx_ne_u32_e32 0, v6
	s_cbranch_execz .LBB1_325
; %bb.322:                              ;   in Loop: Header=BB1_280 Depth=1
	v_mov_b32_e32 v18, 0
	v_mov_b32_e32 v19, 0
	s_mov_b64 s[0:1], 0
	s_mov_b32 s13, 0
	s_mov_b64 s[4:5], 0
	.p2align	6
.LBB1_323:                              ;   Parent Loop BB1_280 Depth=1
                                        ; =>  This Inner Loop Header: Depth=2
	s_delay_alu instid0(SALU_CYCLE_1)
	v_add_co_u32 v20, vcc_lo, v22, s4
	v_add_co_ci_u32_e32 v21, vcc_lo, s5, v23, vcc_lo
	s_add_u32 s4, s4, 1
	s_addc_u32 s5, s5, 0
	v_cmp_eq_u32_e32 vcc_lo, s4, v6
	flat_load_u8 v20, v[20:21]
	s_waitcnt vmcnt(0) lgkmcnt(0)
	v_dual_mov_b32 v21, s12 :: v_dual_and_b32 v20, 0xffff, v20
	s_delay_alu instid0(VALU_DEP_1) | instskip(SKIP_3) | instid1(VALU_DEP_1)
	v_lshlrev_b64 v[20:21], s0, v[20:21]
	s_add_u32 s0, s0, 8
	s_addc_u32 s1, s1, 0
	s_or_b32 s13, vcc_lo, s13
	v_or_b32_e32 v19, v21, v19
	s_delay_alu instid0(VALU_DEP_2)
	v_or_b32_e32 v18, v20, v18
	s_and_not1_b32 exec_lo, exec_lo, s13
	s_cbranch_execnz .LBB1_323
; %bb.324:                              ;   in Loop: Header=BB1_280 Depth=1
	s_or_b32 exec_lo, exec_lo, s13
.LBB1_325:                              ;   in Loop: Header=BB1_280 Depth=1
	s_delay_alu instid0(SALU_CYCLE_1)
	s_or_b32 exec_lo, exec_lo, s7
	s_mov_b32 s1, 0
                                        ; implicit-def: $vgpr6
.LBB1_326:                              ;   in Loop: Header=BB1_280 Depth=1
	s_or_saveexec_b32 s0, s6
	v_mov_b32_e32 v24, s1
	s_xor_b32 exec_lo, exec_lo, s0
	s_cbranch_execz .LBB1_328
; %bb.327:                              ;   in Loop: Header=BB1_280 Depth=1
	flat_load_b64 v[18:19], v[22:23]
	v_add_co_u32 v22, vcc_lo, v22, 8
	v_add_nc_u32_e32 v24, -8, v6
	v_add_co_ci_u32_e32 v23, vcc_lo, 0, v23, vcc_lo
	s_waitcnt vmcnt(0) lgkmcnt(0)
	v_and_b32_e32 v20, 0xff, v19
	v_and_b32_e32 v21, 0xff00, v19
	;; [unrolled: 1-line block ×4, first 2 shown]
	v_or3_b32 v18, v18, 0, 0
	s_delay_alu instid0(VALU_DEP_4) | instskip(NEXT) | instid1(VALU_DEP_1)
	v_or_b32_e32 v20, v20, v21
	v_or3_b32 v19, v20, v25, v19
.LBB1_328:                              ;   in Loop: Header=BB1_280 Depth=1
	s_or_b32 exec_lo, exec_lo, s0
	s_delay_alu instid0(SALU_CYCLE_1)
	s_mov_b32 s0, exec_lo
	v_cmpx_gt_u32_e32 8, v24
	s_xor_b32 s4, exec_lo, s0
	s_cbranch_execz .LBB1_334
; %bb.329:                              ;   in Loop: Header=BB1_280 Depth=1
	v_mov_b32_e32 v20, 0
	v_mov_b32_e32 v21, 0
	s_mov_b32 s5, exec_lo
	v_cmpx_ne_u32_e32 0, v24
	s_cbranch_execz .LBB1_333
; %bb.330:                              ;   in Loop: Header=BB1_280 Depth=1
	v_mov_b32_e32 v20, 0
	v_mov_b32_e32 v21, 0
	s_mov_b64 s[0:1], 0
	s_mov_b32 s6, 0
	.p2align	6
.LBB1_331:                              ;   Parent Loop BB1_280 Depth=1
                                        ; =>  This Inner Loop Header: Depth=2
	flat_load_u8 v6, v[22:23]
	v_dual_mov_b32 v31, s12 :: v_dual_add_nc_u32 v24, -1, v24
	v_add_co_u32 v22, vcc_lo, v22, 1
	v_add_co_ci_u32_e32 v23, vcc_lo, 0, v23, vcc_lo
	s_delay_alu instid0(VALU_DEP_3) | instskip(SKIP_2) | instid1(VALU_DEP_1)
	v_cmp_eq_u32_e32 vcc_lo, 0, v24
	s_waitcnt vmcnt(0) lgkmcnt(0)
	v_and_b32_e32 v30, 0xffff, v6
	v_lshlrev_b64 v[30:31], s0, v[30:31]
	s_add_u32 s0, s0, 8
	s_addc_u32 s1, s1, 0
	s_or_b32 s6, vcc_lo, s6
	s_delay_alu instid0(VALU_DEP_1) | instskip(NEXT) | instid1(VALU_DEP_2)
	v_or_b32_e32 v21, v31, v21
	v_or_b32_e32 v20, v30, v20
	s_and_not1_b32 exec_lo, exec_lo, s6
	s_cbranch_execnz .LBB1_331
; %bb.332:                              ;   in Loop: Header=BB1_280 Depth=1
	s_or_b32 exec_lo, exec_lo, s6
.LBB1_333:                              ;   in Loop: Header=BB1_280 Depth=1
	s_delay_alu instid0(SALU_CYCLE_1)
	s_or_b32 exec_lo, exec_lo, s5
                                        ; implicit-def: $vgpr22_vgpr23
.LBB1_334:                              ;   in Loop: Header=BB1_280 Depth=1
	s_and_not1_saveexec_b32 s0, s4
	s_cbranch_execz .LBB1_336
; %bb.335:                              ;   in Loop: Header=BB1_280 Depth=1
	flat_load_b64 v[20:21], v[22:23]
	s_waitcnt vmcnt(0) lgkmcnt(0)
	v_and_b32_e32 v6, 0xff, v21
	v_and_b32_e32 v22, 0xff00, v21
	;; [unrolled: 1-line block ×4, first 2 shown]
	v_or3_b32 v20, v20, 0, 0
	s_delay_alu instid0(VALU_DEP_4) | instskip(NEXT) | instid1(VALU_DEP_1)
	v_or_b32_e32 v6, v6, v22
	v_or3_b32 v21, v6, v23, v21
.LBB1_336:                              ;   in Loop: Header=BB1_280 Depth=1
	s_or_b32 exec_lo, exec_lo, s0
	v_readfirstlane_b32 s0, v35
	v_mov_b32_e32 v30, 0
	v_mov_b32_e32 v31, 0
	s_delay_alu instid0(VALU_DEP_3) | instskip(NEXT) | instid1(VALU_DEP_1)
	v_cmp_eq_u32_e64 s0, s0, v35
	s_and_saveexec_b32 s1, s0
	s_cbranch_execz .LBB1_342
; %bb.337:                              ;   in Loop: Header=BB1_280 Depth=1
	global_load_b64 v[24:25], v7, s[2:3] offset:24 glc
	s_waitcnt vmcnt(0)
	buffer_gl1_inv
	buffer_gl0_inv
	s_clause 0x1
	global_load_b64 v[22:23], v7, s[2:3] offset:40
	global_load_b64 v[30:31], v7, s[2:3]
	s_mov_b32 s4, exec_lo
	s_waitcnt vmcnt(1)
	v_and_b32_e32 v6, v23, v25
	v_and_b32_e32 v22, v22, v24
	s_delay_alu instid0(VALU_DEP_2) | instskip(NEXT) | instid1(VALU_DEP_2)
	v_mul_lo_u32 v6, v6, 24
	v_mul_hi_u32 v23, v22, 24
	v_mul_lo_u32 v22, v22, 24
	s_delay_alu instid0(VALU_DEP_2) | instskip(SKIP_1) | instid1(VALU_DEP_2)
	v_add_nc_u32_e32 v6, v23, v6
	s_waitcnt vmcnt(0)
	v_add_co_u32 v22, vcc_lo, v30, v22
	s_delay_alu instid0(VALU_DEP_2)
	v_add_co_ci_u32_e32 v23, vcc_lo, v31, v6, vcc_lo
	global_load_b64 v[22:23], v[22:23], off glc
	s_waitcnt vmcnt(0)
	global_atomic_cmpswap_b64 v[30:31], v7, v[22:25], s[2:3] offset:24 glc
	s_waitcnt vmcnt(0)
	buffer_gl1_inv
	buffer_gl0_inv
	v_cmpx_ne_u64_e64 v[30:31], v[24:25]
	s_cbranch_execz .LBB1_341
; %bb.338:                              ;   in Loop: Header=BB1_280 Depth=1
	s_mov_b32 s5, 0
	.p2align	6
.LBB1_339:                              ;   Parent Loop BB1_280 Depth=1
                                        ; =>  This Inner Loop Header: Depth=2
	s_sleep 1
	s_clause 0x1
	global_load_b64 v[22:23], v7, s[2:3] offset:40
	global_load_b64 v[36:37], v7, s[2:3]
	v_dual_mov_b32 v24, v30 :: v_dual_mov_b32 v25, v31
	s_waitcnt vmcnt(1)
	s_delay_alu instid0(VALU_DEP_1) | instskip(NEXT) | instid1(VALU_DEP_2)
	v_and_b32_e32 v6, v22, v24
	v_and_b32_e32 v33, v23, v25
	s_waitcnt vmcnt(0)
	s_delay_alu instid0(VALU_DEP_2) | instskip(NEXT) | instid1(VALU_DEP_1)
	v_mad_u64_u32 v[30:31], null, v6, 24, v[36:37]
	v_mov_b32_e32 v6, v31
	s_delay_alu instid0(VALU_DEP_1) | instskip(NEXT) | instid1(VALU_DEP_1)
	v_mad_u64_u32 v[22:23], null, v33, 24, v[6:7]
	v_mov_b32_e32 v31, v22
	global_load_b64 v[22:23], v[30:31], off glc
	s_waitcnt vmcnt(0)
	global_atomic_cmpswap_b64 v[30:31], v7, v[22:25], s[2:3] offset:24 glc
	s_waitcnt vmcnt(0)
	buffer_gl1_inv
	buffer_gl0_inv
	v_cmp_eq_u64_e32 vcc_lo, v[30:31], v[24:25]
	s_or_b32 s5, vcc_lo, s5
	s_delay_alu instid0(SALU_CYCLE_1)
	s_and_not1_b32 exec_lo, exec_lo, s5
	s_cbranch_execnz .LBB1_339
; %bb.340:                              ;   in Loop: Header=BB1_280 Depth=1
	s_or_b32 exec_lo, exec_lo, s5
.LBB1_341:                              ;   in Loop: Header=BB1_280 Depth=1
	s_delay_alu instid0(SALU_CYCLE_1)
	s_or_b32 exec_lo, exec_lo, s4
.LBB1_342:                              ;   in Loop: Header=BB1_280 Depth=1
	s_delay_alu instid0(SALU_CYCLE_1)
	s_or_b32 exec_lo, exec_lo, s1
	s_clause 0x1
	global_load_b64 v[36:37], v7, s[2:3] offset:40
	global_load_b128 v[22:25], v7, s[2:3]
	v_readfirstlane_b32 s4, v30
	v_readfirstlane_b32 s5, v31
	s_mov_b32 s1, exec_lo
	s_waitcnt vmcnt(1)
	v_readfirstlane_b32 s6, v36
	v_readfirstlane_b32 s7, v37
	s_delay_alu instid0(VALU_DEP_1) | instskip(NEXT) | instid1(SALU_CYCLE_1)
	s_and_b64 s[6:7], s[4:5], s[6:7]
	s_mul_i32 s13, s7, 24
	s_mul_hi_u32 s14, s6, 24
	s_mul_i32 s15, s6, 24
	s_add_i32 s14, s14, s13
	s_waitcnt vmcnt(0)
	v_add_co_u32 v30, vcc_lo, v22, s15
	v_add_co_ci_u32_e32 v31, vcc_lo, s14, v23, vcc_lo
	s_and_saveexec_b32 s13, s0
	s_cbranch_execz .LBB1_344
; %bb.343:                              ;   in Loop: Header=BB1_280 Depth=1
	v_mov_b32_e32 v6, s1
	global_store_b128 v[30:31], v[6:9], off offset:8
.LBB1_344:                              ;   in Loop: Header=BB1_280 Depth=1
	s_or_b32 exec_lo, exec_lo, s13
	v_cmp_lt_u64_e32 vcc_lo, 56, v[26:27]
	v_or_b32_e32 v6, 0, v1
	v_or_b32_e32 v33, v0, v32
	v_lshl_add_u32 v36, v28, 2, 28
	s_lshl_b64 s[6:7], s[6:7], 12
	s_delay_alu instid0(SALU_CYCLE_1) | instskip(NEXT) | instid1(VALU_DEP_1)
	v_add_co_u32 v24, s1, v24, s6
	v_add_co_ci_u32_e64 v25, s1, s7, v25, s1
	v_dual_cndmask_b32 v1, v6, v1 :: v_dual_cndmask_b32 v0, v33, v0
	v_and_b32_e32 v6, 0x1e0, v36
	s_delay_alu instid0(VALU_DEP_4) | instskip(NEXT) | instid1(VALU_DEP_4)
	v_readfirstlane_b32 s6, v24
	v_readfirstlane_b32 s7, v25
	s_delay_alu instid0(VALU_DEP_3)
	v_and_or_b32 v0, 0xffffff1f, v0, v6
	s_clause 0x3
	global_store_b128 v34, v[0:3], s[6:7]
	global_store_b128 v34, v[10:13], s[6:7] offset:16
	global_store_b128 v34, v[14:17], s[6:7] offset:32
	;; [unrolled: 1-line block ×3, first 2 shown]
	s_and_saveexec_b32 s1, s0
	s_cbranch_execz .LBB1_352
; %bb.345:                              ;   in Loop: Header=BB1_280 Depth=1
	s_clause 0x1
	global_load_b64 v[14:15], v7, s[2:3] offset:32 glc
	global_load_b64 v[0:1], v7, s[2:3] offset:40
	v_dual_mov_b32 v12, s4 :: v_dual_mov_b32 v13, s5
	s_waitcnt vmcnt(0)
	v_readfirstlane_b32 s6, v0
	v_readfirstlane_b32 s7, v1
	s_delay_alu instid0(VALU_DEP_1) | instskip(NEXT) | instid1(SALU_CYCLE_1)
	s_and_b64 s[6:7], s[6:7], s[4:5]
	s_mul_i32 s7, s7, 24
	s_mul_hi_u32 s13, s6, 24
	s_mul_i32 s6, s6, 24
	s_add_i32 s13, s13, s7
	v_add_co_u32 v10, vcc_lo, v22, s6
	v_add_co_ci_u32_e32 v11, vcc_lo, s13, v23, vcc_lo
	s_mov_b32 s6, exec_lo
	global_store_b64 v[10:11], v[14:15], off
	s_waitcnt_vscnt null, 0x0
	global_atomic_cmpswap_b64 v[2:3], v7, v[12:15], s[2:3] offset:32 glc
	s_waitcnt vmcnt(0)
	v_cmpx_ne_u64_e64 v[2:3], v[14:15]
	s_cbranch_execz .LBB1_348
; %bb.346:                              ;   in Loop: Header=BB1_280 Depth=1
	s_mov_b32 s7, 0
.LBB1_347:                              ;   Parent Loop BB1_280 Depth=1
                                        ; =>  This Inner Loop Header: Depth=2
	v_dual_mov_b32 v0, s4 :: v_dual_mov_b32 v1, s5
	s_sleep 1
	global_store_b64 v[10:11], v[2:3], off
	s_waitcnt_vscnt null, 0x0
	global_atomic_cmpswap_b64 v[0:1], v7, v[0:3], s[2:3] offset:32 glc
	s_waitcnt vmcnt(0)
	v_cmp_eq_u64_e32 vcc_lo, v[0:1], v[2:3]
	v_dual_mov_b32 v3, v1 :: v_dual_mov_b32 v2, v0
	s_or_b32 s7, vcc_lo, s7
	s_delay_alu instid0(SALU_CYCLE_1)
	s_and_not1_b32 exec_lo, exec_lo, s7
	s_cbranch_execnz .LBB1_347
.LBB1_348:                              ;   in Loop: Header=BB1_280 Depth=1
	s_or_b32 exec_lo, exec_lo, s6
	global_load_b64 v[0:1], v7, s[2:3] offset:16
	s_mov_b32 s7, exec_lo
	s_mov_b32 s6, exec_lo
	v_mbcnt_lo_u32_b32 v2, s7, 0
	s_delay_alu instid0(VALU_DEP_1)
	v_cmpx_eq_u32_e32 0, v2
	s_cbranch_execz .LBB1_350
; %bb.349:                              ;   in Loop: Header=BB1_280 Depth=1
	s_bcnt1_i32_b32 s7, s7
	s_delay_alu instid0(SALU_CYCLE_1)
	v_mov_b32_e32 v6, s7
	s_waitcnt vmcnt(0)
	global_atomic_add_u64 v[0:1], v[6:7], off offset:8
.LBB1_350:                              ;   in Loop: Header=BB1_280 Depth=1
	s_or_b32 exec_lo, exec_lo, s6
	s_waitcnt vmcnt(0)
	global_load_b64 v[2:3], v[0:1], off offset:16
	s_waitcnt vmcnt(0)
	v_cmp_eq_u64_e32 vcc_lo, 0, v[2:3]
	s_cbranch_vccnz .LBB1_352
; %bb.351:                              ;   in Loop: Header=BB1_280 Depth=1
	global_load_b32 v6, v[0:1], off offset:24
	s_waitcnt vmcnt(0)
	v_and_b32_e32 v0, 0xffffff, v6
	s_waitcnt_vscnt null, 0x0
	global_store_b64 v[2:3], v[6:7], off
	v_readfirstlane_b32 m0, v0
	s_sendmsg sendmsg(MSG_INTERRUPT)
.LBB1_352:                              ;   in Loop: Header=BB1_280 Depth=1
	s_or_b32 exec_lo, exec_lo, s1
	v_add_co_u32 v0, vcc_lo, v24, v34
	v_add_co_ci_u32_e32 v1, vcc_lo, 0, v25, vcc_lo
	s_branch .LBB1_356
	.p2align	6
.LBB1_353:                              ;   in Loop: Header=BB1_356 Depth=2
	s_or_b32 exec_lo, exec_lo, s1
	s_delay_alu instid0(VALU_DEP_1) | instskip(NEXT) | instid1(VALU_DEP_1)
	v_readfirstlane_b32 s1, v2
	s_cmp_eq_u32 s1, 0
	s_cbranch_scc1 .LBB1_355
; %bb.354:                              ;   in Loop: Header=BB1_356 Depth=2
	s_sleep 1
	s_cbranch_execnz .LBB1_356
	s_branch .LBB1_358
	.p2align	6
.LBB1_355:                              ;   in Loop: Header=BB1_280 Depth=1
	s_branch .LBB1_358
.LBB1_356:                              ;   Parent Loop BB1_280 Depth=1
                                        ; =>  This Inner Loop Header: Depth=2
	v_mov_b32_e32 v2, 1
	s_and_saveexec_b32 s1, s0
	s_cbranch_execz .LBB1_353
; %bb.357:                              ;   in Loop: Header=BB1_356 Depth=2
	global_load_b32 v2, v[30:31], off offset:20 glc
	s_waitcnt vmcnt(0)
	buffer_gl1_inv
	buffer_gl0_inv
	v_and_b32_e32 v2, 1, v2
	s_branch .LBB1_353
.LBB1_358:                              ;   in Loop: Header=BB1_280 Depth=1
	global_load_b128 v[0:3], v[0:1], off
	s_and_saveexec_b32 s1, s0
	s_cbranch_execz .LBB1_279
; %bb.359:                              ;   in Loop: Header=BB1_280 Depth=1
	s_clause 0x2
	global_load_b64 v[2:3], v7, s[2:3] offset:40
	global_load_b64 v[14:15], v7, s[2:3] offset:24 glc
	global_load_b64 v[12:13], v7, s[2:3]
	s_waitcnt vmcnt(2)
	v_add_co_u32 v6, vcc_lo, v2, 1
	v_add_co_ci_u32_e32 v16, vcc_lo, 0, v3, vcc_lo
	s_delay_alu instid0(VALU_DEP_2) | instskip(NEXT) | instid1(VALU_DEP_2)
	v_add_co_u32 v10, vcc_lo, v6, s4
	v_add_co_ci_u32_e32 v11, vcc_lo, s5, v16, vcc_lo
	s_delay_alu instid0(VALU_DEP_1) | instskip(SKIP_1) | instid1(VALU_DEP_1)
	v_cmp_eq_u64_e32 vcc_lo, 0, v[10:11]
	v_dual_cndmask_b32 v11, v11, v16 :: v_dual_cndmask_b32 v10, v10, v6
	v_and_b32_e32 v3, v11, v3
	s_delay_alu instid0(VALU_DEP_2) | instskip(NEXT) | instid1(VALU_DEP_1)
	v_and_b32_e32 v2, v10, v2
	v_mul_hi_u32 v6, v2, 24
	v_mul_lo_u32 v2, v2, 24
	s_waitcnt vmcnt(0)
	s_delay_alu instid0(VALU_DEP_1) | instskip(SKIP_2) | instid1(VALU_DEP_1)
	v_add_co_u32 v2, vcc_lo, v12, v2
	v_mov_b32_e32 v12, v14
	v_mul_lo_u32 v3, v3, 24
	v_add_nc_u32_e32 v3, v6, v3
	s_delay_alu instid0(VALU_DEP_1)
	v_add_co_ci_u32_e32 v3, vcc_lo, v13, v3, vcc_lo
	v_mov_b32_e32 v13, v15
	global_store_b64 v[2:3], v[14:15], off
	s_waitcnt_vscnt null, 0x0
	global_atomic_cmpswap_b64 v[12:13], v7, v[10:13], s[2:3] offset:24 glc
	s_waitcnt vmcnt(0)
	v_cmp_ne_u64_e32 vcc_lo, v[12:13], v[14:15]
	s_and_b32 exec_lo, exec_lo, vcc_lo
	s_cbranch_execz .LBB1_279
; %bb.360:                              ;   in Loop: Header=BB1_280 Depth=1
	s_mov_b32 s0, 0
.LBB1_361:                              ;   Parent Loop BB1_280 Depth=1
                                        ; =>  This Inner Loop Header: Depth=2
	s_sleep 1
	global_store_b64 v[2:3], v[12:13], off
	s_waitcnt_vscnt null, 0x0
	global_atomic_cmpswap_b64 v[14:15], v7, v[10:13], s[2:3] offset:24 glc
	s_waitcnt vmcnt(0)
	v_cmp_eq_u64_e32 vcc_lo, v[14:15], v[12:13]
	v_dual_mov_b32 v12, v14 :: v_dual_mov_b32 v13, v15
	s_or_b32 s0, vcc_lo, s0
	s_delay_alu instid0(SALU_CYCLE_1)
	s_and_not1_b32 exec_lo, exec_lo, s0
	s_cbranch_execnz .LBB1_361
	s_branch .LBB1_279
.LBB1_362:
	s_or_b32 exec_lo, exec_lo, s11
                                        ; implicit-def: $vgpr34
                                        ; implicit-def: $vgpr35
.LBB1_363:
	s_and_not1_saveexec_b32 s1, s10
	s_cbranch_execz .LBB1_391
; %bb.364:
	v_readfirstlane_b32 s0, v35
	v_mov_b32_e32 v8, 0
	v_mov_b32_e32 v9, 0
	s_delay_alu instid0(VALU_DEP_3) | instskip(NEXT) | instid1(VALU_DEP_1)
	v_cmp_eq_u32_e64 s0, s0, v35
	s_and_saveexec_b32 s4, s0
	s_cbranch_execz .LBB1_370
; %bb.365:
	s_waitcnt vmcnt(0)
	v_mov_b32_e32 v2, 0
	s_mov_b32 s5, exec_lo
	global_load_b64 v[5:6], v2, s[2:3] offset:24 glc
	s_waitcnt vmcnt(0)
	buffer_gl1_inv
	buffer_gl0_inv
	s_clause 0x1
	global_load_b64 v[3:4], v2, s[2:3] offset:40
	global_load_b64 v[7:8], v2, s[2:3]
	s_waitcnt vmcnt(1)
	v_and_b32_e32 v3, v3, v5
	v_and_b32_e32 v4, v4, v6
	s_delay_alu instid0(VALU_DEP_2) | instskip(NEXT) | instid1(VALU_DEP_2)
	v_mul_hi_u32 v9, v3, 24
	v_mul_lo_u32 v4, v4, 24
	v_mul_lo_u32 v3, v3, 24
	s_delay_alu instid0(VALU_DEP_2) | instskip(SKIP_1) | instid1(VALU_DEP_2)
	v_add_nc_u32_e32 v4, v9, v4
	s_waitcnt vmcnt(0)
	v_add_co_u32 v3, vcc_lo, v7, v3
	s_delay_alu instid0(VALU_DEP_2)
	v_add_co_ci_u32_e32 v4, vcc_lo, v8, v4, vcc_lo
	global_load_b64 v[3:4], v[3:4], off glc
	s_waitcnt vmcnt(0)
	global_atomic_cmpswap_b64 v[8:9], v2, v[3:6], s[2:3] offset:24 glc
	s_waitcnt vmcnt(0)
	buffer_gl1_inv
	buffer_gl0_inv
	v_cmpx_ne_u64_e64 v[8:9], v[5:6]
	s_cbranch_execz .LBB1_369
; %bb.366:
	s_mov_b32 s6, 0
	.p2align	6
.LBB1_367:                              ; =>This Inner Loop Header: Depth=1
	s_sleep 1
	s_clause 0x1
	global_load_b64 v[3:4], v2, s[2:3] offset:40
	global_load_b64 v[10:11], v2, s[2:3]
	v_dual_mov_b32 v5, v8 :: v_dual_mov_b32 v6, v9
	s_waitcnt vmcnt(1)
	s_delay_alu instid0(VALU_DEP_1) | instskip(NEXT) | instid1(VALU_DEP_2)
	v_and_b32_e32 v3, v3, v5
	v_and_b32_e32 v4, v4, v6
	s_waitcnt vmcnt(0)
	s_delay_alu instid0(VALU_DEP_2) | instskip(NEXT) | instid1(VALU_DEP_1)
	v_mad_u64_u32 v[7:8], null, v3, 24, v[10:11]
	v_mov_b32_e32 v3, v8
	s_delay_alu instid0(VALU_DEP_1)
	v_mad_u64_u32 v[8:9], null, v4, 24, v[3:4]
	global_load_b64 v[3:4], v[7:8], off glc
	s_waitcnt vmcnt(0)
	global_atomic_cmpswap_b64 v[8:9], v2, v[3:6], s[2:3] offset:24 glc
	s_waitcnt vmcnt(0)
	buffer_gl1_inv
	buffer_gl0_inv
	v_cmp_eq_u64_e32 vcc_lo, v[8:9], v[5:6]
	s_or_b32 s6, vcc_lo, s6
	s_delay_alu instid0(SALU_CYCLE_1)
	s_and_not1_b32 exec_lo, exec_lo, s6
	s_cbranch_execnz .LBB1_367
; %bb.368:
	s_or_b32 exec_lo, exec_lo, s6
.LBB1_369:
	s_delay_alu instid0(SALU_CYCLE_1)
	s_or_b32 exec_lo, exec_lo, s5
.LBB1_370:
	s_delay_alu instid0(SALU_CYCLE_1)
	s_or_b32 exec_lo, exec_lo, s4
	s_waitcnt vmcnt(0)
	v_mov_b32_e32 v2, 0
	v_readfirstlane_b32 s4, v8
	v_readfirstlane_b32 s5, v9
	s_mov_b32 s10, exec_lo
	s_clause 0x1
	global_load_b64 v[10:11], v2, s[2:3] offset:40
	global_load_b128 v[4:7], v2, s[2:3]
	s_waitcnt vmcnt(1)
	v_readfirstlane_b32 s6, v10
	v_readfirstlane_b32 s7, v11
	s_delay_alu instid0(VALU_DEP_1) | instskip(NEXT) | instid1(SALU_CYCLE_1)
	s_and_b64 s[6:7], s[4:5], s[6:7]
	s_mul_i32 s11, s7, 24
	s_mul_hi_u32 s12, s6, 24
	s_mul_i32 s13, s6, 24
	s_add_i32 s12, s12, s11
	s_waitcnt vmcnt(0)
	v_add_co_u32 v8, vcc_lo, v4, s13
	v_add_co_ci_u32_e32 v9, vcc_lo, s12, v5, vcc_lo
	s_and_saveexec_b32 s11, s0
	s_cbranch_execz .LBB1_372
; %bb.371:
	v_dual_mov_b32 v10, s10 :: v_dual_mov_b32 v11, v2
	v_dual_mov_b32 v12, 2 :: v_dual_mov_b32 v13, 1
	global_store_b128 v[8:9], v[10:13], off offset:8
.LBB1_372:
	s_or_b32 exec_lo, exec_lo, s11
	s_lshl_b64 s[6:7], s[6:7], 12
	s_mov_b32 s12, 0
	v_add_co_u32 v6, vcc_lo, v6, s6
	v_add_co_ci_u32_e32 v7, vcc_lo, s7, v7, vcc_lo
	s_mov_b32 s13, s12
	s_delay_alu instid0(VALU_DEP_2)
	v_readfirstlane_b32 s6, v6
	v_add_co_u32 v6, vcc_lo, v6, v34
	s_mov_b32 s14, s12
	s_mov_b32 s15, s12
	v_and_or_b32 v0, 0xffffff1f, v0, 32
	v_dual_mov_b32 v3, v2 :: v_dual_mov_b32 v10, s12
	v_readfirstlane_b32 s7, v7
	v_add_co_ci_u32_e32 v7, vcc_lo, 0, v7, vcc_lo
	v_dual_mov_b32 v11, s13 :: v_dual_mov_b32 v12, s14
	v_mov_b32_e32 v13, s15
	s_clause 0x3
	global_store_b128 v34, v[0:3], s[6:7]
	global_store_b128 v34, v[10:13], s[6:7] offset:16
	global_store_b128 v34, v[10:13], s[6:7] offset:32
	;; [unrolled: 1-line block ×3, first 2 shown]
	s_and_saveexec_b32 s6, s0
	s_cbranch_execz .LBB1_380
; %bb.373:
	v_dual_mov_b32 v10, 0 :: v_dual_mov_b32 v11, s4
	v_mov_b32_e32 v12, s5
	s_clause 0x1
	global_load_b64 v[13:14], v10, s[2:3] offset:32 glc
	global_load_b64 v[0:1], v10, s[2:3] offset:40
	s_waitcnt vmcnt(0)
	v_readfirstlane_b32 s10, v0
	v_readfirstlane_b32 s11, v1
	s_delay_alu instid0(VALU_DEP_1) | instskip(NEXT) | instid1(SALU_CYCLE_1)
	s_and_b64 s[10:11], s[10:11], s[4:5]
	s_mul_i32 s7, s11, 24
	s_mul_hi_u32 s11, s10, 24
	s_mul_i32 s10, s10, 24
	s_add_i32 s11, s11, s7
	v_add_co_u32 v4, vcc_lo, v4, s10
	v_add_co_ci_u32_e32 v5, vcc_lo, s11, v5, vcc_lo
	s_mov_b32 s7, exec_lo
	global_store_b64 v[4:5], v[13:14], off
	s_waitcnt_vscnt null, 0x0
	global_atomic_cmpswap_b64 v[2:3], v10, v[11:14], s[2:3] offset:32 glc
	s_waitcnt vmcnt(0)
	v_cmpx_ne_u64_e64 v[2:3], v[13:14]
	s_cbranch_execz .LBB1_376
; %bb.374:
	s_mov_b32 s10, 0
.LBB1_375:                              ; =>This Inner Loop Header: Depth=1
	v_dual_mov_b32 v0, s4 :: v_dual_mov_b32 v1, s5
	s_sleep 1
	global_store_b64 v[4:5], v[2:3], off
	s_waitcnt_vscnt null, 0x0
	global_atomic_cmpswap_b64 v[0:1], v10, v[0:3], s[2:3] offset:32 glc
	s_waitcnt vmcnt(0)
	v_cmp_eq_u64_e32 vcc_lo, v[0:1], v[2:3]
	v_dual_mov_b32 v3, v1 :: v_dual_mov_b32 v2, v0
	s_or_b32 s10, vcc_lo, s10
	s_delay_alu instid0(SALU_CYCLE_1)
	s_and_not1_b32 exec_lo, exec_lo, s10
	s_cbranch_execnz .LBB1_375
.LBB1_376:
	s_or_b32 exec_lo, exec_lo, s7
	v_mov_b32_e32 v3, 0
	s_mov_b32 s10, exec_lo
	s_mov_b32 s7, exec_lo
	v_mbcnt_lo_u32_b32 v2, s10, 0
	global_load_b64 v[0:1], v3, s[2:3] offset:16
	v_cmpx_eq_u32_e32 0, v2
	s_cbranch_execz .LBB1_378
; %bb.377:
	s_bcnt1_i32_b32 s10, s10
	s_delay_alu instid0(SALU_CYCLE_1)
	v_mov_b32_e32 v2, s10
	s_waitcnt vmcnt(0)
	global_atomic_add_u64 v[0:1], v[2:3], off offset:8
.LBB1_378:
	s_or_b32 exec_lo, exec_lo, s7
	s_waitcnt vmcnt(0)
	global_load_b64 v[2:3], v[0:1], off offset:16
	s_waitcnt vmcnt(0)
	v_cmp_eq_u64_e32 vcc_lo, 0, v[2:3]
	s_cbranch_vccnz .LBB1_380
; %bb.379:
	global_load_b32 v0, v[0:1], off offset:24
	s_waitcnt vmcnt(0)
	v_dual_mov_b32 v1, 0 :: v_dual_and_b32 v4, 0xffffff, v0
	s_waitcnt_vscnt null, 0x0
	global_store_b64 v[2:3], v[0:1], off
	v_readfirstlane_b32 m0, v4
	s_sendmsg sendmsg(MSG_INTERRUPT)
.LBB1_380:
	s_or_b32 exec_lo, exec_lo, s6
	s_branch .LBB1_384
	.p2align	6
.LBB1_381:                              ;   in Loop: Header=BB1_384 Depth=1
	s_or_b32 exec_lo, exec_lo, s6
	s_delay_alu instid0(VALU_DEP_1) | instskip(NEXT) | instid1(VALU_DEP_1)
	v_readfirstlane_b32 s6, v0
	s_cmp_eq_u32 s6, 0
	s_cbranch_scc1 .LBB1_383
; %bb.382:                              ;   in Loop: Header=BB1_384 Depth=1
	s_sleep 1
	s_cbranch_execnz .LBB1_384
	s_branch .LBB1_386
	.p2align	6
.LBB1_383:
	s_branch .LBB1_386
.LBB1_384:                              ; =>This Inner Loop Header: Depth=1
	v_mov_b32_e32 v0, 1
	s_and_saveexec_b32 s6, s0
	s_cbranch_execz .LBB1_381
; %bb.385:                              ;   in Loop: Header=BB1_384 Depth=1
	global_load_b32 v0, v[8:9], off offset:20 glc
	s_waitcnt vmcnt(0)
	buffer_gl1_inv
	buffer_gl0_inv
	v_and_b32_e32 v0, 1, v0
	s_branch .LBB1_381
.LBB1_386:
	global_load_b64 v[0:1], v[6:7], off
	s_and_saveexec_b32 s6, s0
	s_cbranch_execz .LBB1_390
; %bb.387:
	v_mov_b32_e32 v8, 0
	s_clause 0x2
	global_load_b64 v[4:5], v8, s[2:3] offset:40
	global_load_b64 v[9:10], v8, s[2:3] offset:24 glc
	global_load_b64 v[6:7], v8, s[2:3]
	s_waitcnt vmcnt(2)
	v_add_co_u32 v11, vcc_lo, v4, 1
	v_add_co_ci_u32_e32 v12, vcc_lo, 0, v5, vcc_lo
	s_delay_alu instid0(VALU_DEP_2) | instskip(NEXT) | instid1(VALU_DEP_2)
	v_add_co_u32 v2, vcc_lo, v11, s4
	v_add_co_ci_u32_e32 v3, vcc_lo, s5, v12, vcc_lo
	s_delay_alu instid0(VALU_DEP_1) | instskip(SKIP_1) | instid1(VALU_DEP_1)
	v_cmp_eq_u64_e32 vcc_lo, 0, v[2:3]
	v_dual_cndmask_b32 v3, v3, v12 :: v_dual_cndmask_b32 v2, v2, v11
	v_and_b32_e32 v5, v3, v5
	s_delay_alu instid0(VALU_DEP_2) | instskip(NEXT) | instid1(VALU_DEP_2)
	v_and_b32_e32 v4, v2, v4
	v_mul_lo_u32 v5, v5, 24
	s_delay_alu instid0(VALU_DEP_2) | instskip(SKIP_1) | instid1(VALU_DEP_2)
	v_mul_hi_u32 v11, v4, 24
	v_mul_lo_u32 v4, v4, 24
	v_add_nc_u32_e32 v5, v11, v5
	s_waitcnt vmcnt(0)
	s_delay_alu instid0(VALU_DEP_2) | instskip(SKIP_1) | instid1(VALU_DEP_3)
	v_add_co_u32 v6, vcc_lo, v6, v4
	v_mov_b32_e32 v4, v9
	v_add_co_ci_u32_e32 v7, vcc_lo, v7, v5, vcc_lo
	v_mov_b32_e32 v5, v10
	global_store_b64 v[6:7], v[9:10], off
	s_waitcnt_vscnt null, 0x0
	global_atomic_cmpswap_b64 v[4:5], v8, v[2:5], s[2:3] offset:24 glc
	s_waitcnt vmcnt(0)
	v_cmp_ne_u64_e32 vcc_lo, v[4:5], v[9:10]
	s_and_b32 exec_lo, exec_lo, vcc_lo
	s_cbranch_execz .LBB1_390
; %bb.388:
	s_mov_b32 s0, 0
.LBB1_389:                              ; =>This Inner Loop Header: Depth=1
	s_sleep 1
	global_store_b64 v[6:7], v[4:5], off
	s_waitcnt_vscnt null, 0x0
	global_atomic_cmpswap_b64 v[9:10], v8, v[2:5], s[2:3] offset:24 glc
	s_waitcnt vmcnt(0)
	v_cmp_eq_u64_e32 vcc_lo, v[9:10], v[4:5]
	v_dual_mov_b32 v4, v9 :: v_dual_mov_b32 v5, v10
	s_or_b32 s0, vcc_lo, s0
	s_delay_alu instid0(SALU_CYCLE_1)
	s_and_not1_b32 exec_lo, exec_lo, s0
	s_cbranch_execnz .LBB1_389
.LBB1_390:
	s_or_b32 exec_lo, exec_lo, s6
.LBB1_391:
	s_delay_alu instid0(SALU_CYCLE_1)
	s_or_b32 exec_lo, exec_lo, s1
	s_getpc_b64 s[0:1]
	s_add_u32 s0, s0, .str.1@rel32@lo+4
	s_addc_u32 s1, s1, .str.1@rel32@hi+12
	s_getpc_b64 s[2:3]
	s_add_u32 s2, s2, .str.1@rel32@lo+32
	s_addc_u32 s3, s3, .str.1@rel32@hi+40
	s_sub_i32 s4, s2, s0
	s_getpc_b64 s[2:3]
	s_add_u32 s2, s2, __ockl_fprintf_append_string_n@rel32@lo+4
	s_addc_u32 s3, s3, __ockl_fprintf_append_string_n@rel32@hi+12
	s_ashr_i32 s5, s4, 31
	s_waitcnt vmcnt(0)
	v_dual_mov_b32 v2, s0 :: v_dual_mov_b32 v3, s1
	v_dual_mov_b32 v4, s4 :: v_dual_mov_b32 v5, s5
	v_mov_b32_e32 v6, 1
	s_swappc_b64 s[30:31], s[2:3]
	s_trap 2
	s_sendmsg_rtn_b32 s0, sendmsg(MSG_RTN_GET_DOORBELL)
	s_mov_b32 ttmp2, m0
	s_waitcnt lgkmcnt(0)
	s_and_b32 s0, s0, 0x3ff
	s_delay_alu instid0(SALU_CYCLE_1) | instskip(NEXT) | instid1(SALU_CYCLE_1)
	s_bitset1_b32 s0, 10
	s_mov_b32 m0, s0
	s_sendmsg sendmsg(MSG_INTERRUPT)
	s_mov_b32 m0, ttmp2
.LBB1_392:                              ; =>This Inner Loop Header: Depth=1
	s_sethalt 5
	s_branch .LBB1_392
.Lfunc_end1:
	.size	__assert_fail, .Lfunc_end1-__assert_fail
                                        ; -- End function
	.section	.AMDGPU.csdata,"",@progbits
; Function info:
; codeLenInByte = 16148
; NumSgprs: 36
; NumVgprs: 41
; ScratchSize: 64
; MemoryBound: 0
	.text
	.p2align	2                               ; -- Begin function _ZN12_GLOBAL__N_17runRingI11rccl_float810FuncMinMaxIS1_E11ProtoSimpleILi2ELi2ELi0ELi1ELi0ELi0EELi0ELi0ELi1ELi0EEEviiP15ncclDevWorkColl
	.type	_ZN12_GLOBAL__N_17runRingI11rccl_float810FuncMinMaxIS1_E11ProtoSimpleILi2ELi2ELi0ELi1ELi0ELi0EELi0ELi0ELi1ELi0EEEviiP15ncclDevWorkColl,@function
_ZN12_GLOBAL__N_17runRingI11rccl_float810FuncMinMaxIS1_E11ProtoSimpleILi2ELi2ELi0ELi1ELi0ELi0EELi0ELi0ELi1ELi0EEEviiP15ncclDevWorkColl: ; @_ZN12_GLOBAL__N_17runRingI11rccl_float810FuncMinMaxIS1_E11ProtoSimpleILi2ELi2ELi0ELi1ELi0ELi0EELi0ELi0ELi1ELi0EEEviiP15ncclDevWorkColl
; %bb.0:
	s_waitcnt vmcnt(0) expcnt(0) lgkmcnt(0)
	s_mov_b32 s0, s33
	s_mov_b32 s33, s32
	s_or_saveexec_b32 s1, -1
	s_clause 0x1
	scratch_store_b32 off, v41, s33 offset:4
	; meta instruction
	scratch_store_b32 off, v42, s33 offset:8
	s_mov_b32 exec_lo, s1
	v_writelane_b32 v41, s0, 15
	s_add_i32 s32, s32, 16
	scratch_store_b32 off, v40, s33         ; 4-byte Folded Spill
	v_writelane_b32 v41, s34, 0
	v_writelane_b32 v41, s35, 1
	;; [unrolled: 1-line block ×15, first 2 shown]
	s_cbranch_execz .LBB2_1
; %bb.7472:
	s_getpc_b64 s[48:49]
.Lpost_getpc0:
	s_add_u32 s48, s48, (.LBB2_6932-.Lpost_getpc0)&4294967295
	s_addc_u32 s49, s49, (.LBB2_6932-.Lpost_getpc0)>>32
	s_setpc_b64 s[48:49]
.LBB2_1:
	flat_load_b32 v7, v[2:3]
	ds_load_b32 v6, v0
	s_mov_b32 s0, exec_lo
                                        ; implicit-def: $vgpr14_vgpr15
                                        ; implicit-def: $vgpr16_vgpr17
                                        ; implicit-def: $vgpr4_vgpr5
	s_waitcnt lgkmcnt(0)
	v_readfirstlane_b32 s19, v6
	s_waitcnt vmcnt(0)
	v_and_b32_e32 v8, 0xff, v7
	s_delay_alu instid0(VALU_DEP_1)
	v_cmpx_ne_u32_e64 v8, v6
	s_xor_b32 s0, exec_lo, s0
	s_cbranch_execz .LBB2_2
; %bb.7474:
	s_getpc_b64 s[48:49]
.Lpost_getpc1:
	s_add_u32 s48, s48, (.LBB2_6934-.Lpost_getpc1)&4294967295
	s_addc_u32 s49, s49, (.LBB2_6934-.Lpost_getpc1)>>32
	s_setpc_b64 s[48:49]
.LBB2_2:
	s_and_not1_saveexec_b32 s0, s0
	s_cbranch_execz .LBB2_3
; %bb.7476:
	s_getpc_b64 s[48:49]
.Lpost_getpc2:
	s_add_u32 s48, s48, (.LBB2_6939-.Lpost_getpc2)&4294967295
	s_addc_u32 s49, s49, (.LBB2_6939-.Lpost_getpc2)>>32
	s_setpc_b64 s[48:49]
.LBB2_3:
	s_or_b32 exec_lo, exec_lo, s0
	s_cbranch_execz .LBB2_4
; %bb.7478:
	s_getpc_b64 s[48:49]
.Lpost_getpc3:
	s_add_u32 s48, s48, (.LBB2_6940-.Lpost_getpc3)&4294967295
	s_addc_u32 s49, s49, (.LBB2_6940-.Lpost_getpc3)>>32
	s_setpc_b64 s[48:49]
.LBB2_4:
	ds_load_b64 v[6:7], v0
	s_mov_b32 s1, exec_lo
	s_waitcnt lgkmcnt(0)
	v_cmp_ne_u32_e32 vcc_lo, -1, v6
	v_cndmask_b32_e64 v15, 0, 1, vcc_lo
	v_cmp_ne_u32_e32 vcc_lo, -1, v7
	s_delay_alu instid0(VALU_DEP_2) | instskip(NEXT) | instid1(VALU_DEP_1)
	v_add_co_ci_u32_e64 v8, s0, 0, v15, vcc_lo
	v_lshlrev_b32_e32 v6, 1, v8
	s_delay_alu instid0(VALU_DEP_1)
	v_cmpx_le_i32_e64 v6, v1
	s_xor_b32 s18, exec_lo, s1
	s_cbranch_execnz .LBB2_5
; %bb.7480:
	s_getpc_b64 s[48:49]
.Lpost_getpc4:
	s_add_u32 s48, s48, (.LBB2_7185-.Lpost_getpc4)&4294967295
	s_addc_u32 s49, s49, (.LBB2_7185-.Lpost_getpc4)>>32
	s_setpc_b64 s[48:49]
.LBB2_5:
	s_clause 0x3
	flat_load_b64 v[32:33], v[2:3] offset:104
	flat_load_b128 v[10:13], v[2:3] offset:16
	flat_load_u16 v7, v[2:3] offset:8
	flat_load_b32 v6, v[2:3] offset:4
	s_cbranch_execz .LBB2_6
; %bb.7482:
	s_getpc_b64 s[48:49]
.Lpost_getpc5:
	s_add_u32 s48, s48, (.LBB2_6942-.Lpost_getpc5)&4294967295
	s_addc_u32 s49, s49, (.LBB2_6942-.Lpost_getpc5)>>32
	s_setpc_b64 s[48:49]
.LBB2_6:
	s_load_b32 s0, s[8:9], 0x0
	v_dual_mov_b32 v9, 0 :: v_dual_mov_b32 v30, 4
	s_waitcnt lgkmcnt(0)
	s_cmp_lt_u32 s12, s0
	s_cselect_b32 s0, 12, 18
	s_delay_alu instid0(SALU_CYCLE_1)
	s_add_u32 s0, s8, s0
	s_addc_u32 s1, s9, 0
	global_load_u16 v36, v9, s[0:1]
	ds_load_b32 v9, v0
	s_mov_b32 s1, exec_lo
	s_waitcnt lgkmcnt(0)
	v_readfirstlane_b32 s5, v9
	v_cmpx_ge_i32_e64 v0, v15
	s_cbranch_execz .LBB2_16
; %bb.7:
	v_cmp_le_u32_e64 s0, v8, v0
                                        ; implicit-def: $vgpr30
	s_delay_alu instid0(VALU_DEP_1) | instskip(NEXT) | instid1(SALU_CYCLE_1)
	s_and_saveexec_b32 s2, s0
	s_xor_b32 s0, exec_lo, s2
	s_cbranch_execz .LBB2_13
; %bb.8:
	v_cndmask_b32_e64 v9, 0, 1, vcc_lo
	s_mov_b32 s2, exec_lo
                                        ; implicit-def: $sgpr3
	s_delay_alu instid0(VALU_DEP_1) | instskip(NEXT) | instid1(VALU_DEP_1)
	v_sub_nc_u32_e32 v9, v1, v9
	v_cmpx_ge_u32_e64 v0, v9
	s_xor_b32 s2, exec_lo, s2
; %bb.9:
	s_mov_b32 s3, 16
                                        ; implicit-def: $vgpr8
; %bb.10:
	s_or_saveexec_b32 s2, s2
	v_mov_b32_e32 v30, s3
	s_xor_b32 exec_lo, exec_lo, s2
; %bb.11:
	v_sub_nc_u32_e32 v8, v1, v8
	s_delay_alu instid0(VALU_DEP_1) | instskip(SKIP_1) | instid1(VALU_DEP_1)
	v_cmp_ge_i32_e32 vcc_lo, v0, v8
	v_cndmask_b32_e64 v8, 0, 1, vcc_lo
	v_lshlrev_b32_e32 v30, 5, v8
; %bb.12:
	s_or_b32 exec_lo, exec_lo, s2
.LBB2_13:
	s_and_not1_saveexec_b32 s0, s0
; %bb.14:
	v_mov_b32_e32 v30, 8
; %bb.15:
	s_or_b32 exec_lo, exec_lo, s0
.LBB2_16:
	s_delay_alu instid0(SALU_CYCLE_1) | instskip(NEXT) | instid1(VALU_DEP_1)
	s_or_b32 exec_lo, exec_lo, s1
	v_and_b32_e32 v8, 36, v30
	s_delay_alu instid0(VALU_DEP_1)
	v_cmp_ne_u32_e32 vcc_lo, 0, v8
	v_mov_b32_e32 v8, -1
	s_and_saveexec_b32 s0, vcc_lo
	s_cbranch_execz .LBB2_19
; %bb.17:
	s_cbranch_execz .LBB2_18
; %bb.7484:
	s_getpc_b64 s[48:49]
.Lpost_getpc6:
	s_add_u32 s48, s48, (.LBB2_6944-.Lpost_getpc6)&4294967295
	s_addc_u32 s49, s49, (.LBB2_6944-.Lpost_getpc6)>>32
	s_setpc_b64 s[48:49]
.LBB2_18:
	ds_load_b32 v8, v0
.LBB2_19:
	s_or_b32 exec_lo, exec_lo, s0
	v_and_b32_e32 v9, 24, v30
	s_mov_b32 s1, exec_lo
	s_delay_alu instid0(VALU_DEP_1)
	v_cmpx_ne_u32_e32 0, v9
	s_cbranch_execz .LBB2_22
; %bb.20:
	s_cbranch_execz .LBB2_21
; %bb.7486:
	s_getpc_b64 s[48:49]
.Lpost_getpc7:
	s_add_u32 s48, s48, (.LBB2_6946-.Lpost_getpc7)&4294967295
	s_addc_u32 s49, s49, (.LBB2_6946-.Lpost_getpc7)>>32
	s_setpc_b64 s[48:49]
.LBB2_21:
	s_waitcnt lgkmcnt(0)
	ds_load_b32 v8, v0
.LBB2_22:
	s_or_b32 exec_lo, exec_lo, s1
	s_waitcnt vmcnt(1)
	v_lshrrev_b64 v[6:7], 31, v[6:7]
	v_mov_b32_e32 v20, 0
	v_mov_b32_e32 v21, 0
                                        ; implicit-def: $vgpr18_vgpr19
                                        ; implicit-def: $vgpr80
                                        ; implicit-def: $vgpr24_vgpr25
                                        ; implicit-def: $vgpr26_vgpr27
                                        ; implicit-def: $vgpr34_vgpr35
                                        ; implicit-def: $vgpr22_vgpr23
	s_delay_alu instid0(VALU_DEP_2) | instskip(NEXT) | instid1(VALU_DEP_2)
	v_dual_mov_b32 v6, v20 :: v_dual_and_b32 v37, 3, v6
	v_mov_b32_e32 v7, v21
	s_and_saveexec_b32 s0, vcc_lo
	s_cbranch_execz .LBB2_35
; %bb.23:
	s_cbranch_execz .LBB2_24
; %bb.7488:
	s_getpc_b64 s[48:49]
.Lpost_getpc8:
	s_add_u32 s48, s48, (.LBB2_6948-.Lpost_getpc8)&4294967295
	s_addc_u32 s49, s49, (.LBB2_6948-.Lpost_getpc8)>>32
	s_setpc_b64 s[48:49]
.LBB2_24:
	ds_load_b64 v[6:7], v0
	s_waitcnt lgkmcnt(1)
	v_ashrrev_i32_e32 v9, 31, v8
	s_mov_b32 s1, exec_lo
	s_delay_alu instid0(VALU_DEP_1) | instskip(SKIP_2) | instid1(VALU_DEP_2)
	v_lshlrev_b64 v[18:19], 3, v[8:9]
	v_and_b32_e32 v9, 0xffff, v37
	s_waitcnt lgkmcnt(0)
	v_add_co_u32 v6, vcc_lo, v6, v18
	s_delay_alu instid0(VALU_DEP_3)
	v_add_co_ci_u32_e32 v7, vcc_lo, v7, v19, vcc_lo
	flat_load_b64 v[6:7], v[6:7]
	s_waitcnt vmcnt(0) lgkmcnt(0)
	v_mad_u64_u32 v[18:19], null, 0xa8, v9, v[6:7]
	flat_load_b32 v6, v[18:19] offset:640
	v_add_co_u32 v20, vcc_lo, 0x1f8, v18
	v_add_co_ci_u32_e32 v21, vcc_lo, 0, v19, vcc_lo
                                        ; implicit-def: $vgpr18_vgpr19
	s_waitcnt vmcnt(0) lgkmcnt(0)
	v_cmpx_eq_u32_e32 1, v6
	s_cbranch_execz .LBB2_27
; %bb.25:
	flat_load_b64 v[18:19], v[20:21] offset:144
	s_waitcnt vmcnt(0) lgkmcnt(0)
	flat_load_b64 v[6:7], v[18:19]
	s_cbranch_execz .LBB2_26
; %bb.7490:
	s_getpc_b64 s[48:49]
.Lpost_getpc9:
	s_add_u32 s48, s48, (.LBB2_6956-.Lpost_getpc9)&4294967295
	s_addc_u32 s49, s49, (.LBB2_6956-.Lpost_getpc9)>>32
	s_setpc_b64 s[48:49]
.LBB2_26:
	s_waitcnt vmcnt(0) lgkmcnt(0)
	ds_store_b64 v0, v[6:7]
	flat_load_b64 v[6:7], v[18:19] offset:8
	v_or_b32_e32 v30, 0x2000, v30
	s_waitcnt vmcnt(0) lgkmcnt(0)
	ds_store_b64 v0, v[6:7]
	flat_load_b64 v[6:7], v[18:19] offset:16
	s_waitcnt vmcnt(0) lgkmcnt(0)
	ds_store_b64 v0, v[6:7]
.LBB2_27:
	s_or_b32 exec_lo, exec_lo, s1
	flat_load_b64 v[6:7], v[20:21] offset:104
	v_and_b32_e32 v9, 32, v30
	s_mov_b32 s1, exec_lo
                                        ; implicit-def: $vgpr22_vgpr23
	s_waitcnt vmcnt(0) lgkmcnt(0)
	v_add_co_u32 v6, vcc_lo, v6, 3
	v_add_co_ci_u32_e32 v25, vcc_lo, 0, v7, vcc_lo
	s_delay_alu instid0(VALU_DEP_2)
	v_and_b32_e32 v24, -4, v6
	v_cmpx_ne_u32_e32 0, v9
	s_cbranch_execz .LBB2_29
; %bb.28:
	flat_load_b64 v[22:23], v[20:21] offset:56
	s_waitcnt vmcnt(0) lgkmcnt(0)
	s_waitcnt_vscnt null, 0x0
	flat_store_b64 v[22:23], v[24:25]
.LBB2_29:
	s_or_b32 exec_lo, exec_lo, s1
	v_dual_mov_b32 v6, 0 :: v_dual_and_b32 v9, 4, v30
	v_mov_b32_e32 v7, 0
	s_mov_b32 s1, exec_lo
                                        ; implicit-def: $vgpr80
                                        ; implicit-def: $vgpr26_vgpr27
                                        ; implicit-def: $vgpr34_vgpr35
	s_delay_alu instid0(VALU_DEP_2)
	v_cmpx_ne_u32_e32 0, v9
	s_cbranch_execz .LBB2_34
; %bb.30:
	v_and_b32_e32 v6, 0x800, v30
	s_mov_b32 s2, exec_lo
	s_delay_alu instid0(VALU_DEP_1)
	v_cmpx_eq_u32_e32 0, v6
	s_cbranch_execz .LBB2_33
; %bb.31:
	s_cbranch_execz .LBB2_32
; %bb.7492:
	s_getpc_b64 s[48:49]
.Lpost_getpc10:
	s_add_u32 s48, s48, (.LBB2_6958-.Lpost_getpc10)&4294967295
	s_addc_u32 s49, s49, (.LBB2_6958-.Lpost_getpc10)>>32
	s_setpc_b64 s[48:49]
.LBB2_32:
	ds_store_b64 v0, v[20:21]
.LBB2_33:
	s_or_b32 exec_lo, exec_lo, s2
	flat_load_b64 v[22:23], v[20:21] offset:48
	v_or_b32_e32 v9, 0x100, v30
	s_waitcnt vmcnt(0) lgkmcnt(0)
	flat_load_b64 v[34:35], v[22:23] glc
	s_clause 0x2
	flat_load_b64 v[6:7], v[20:21] offset:96
	flat_load_b32 v80, v[20:21] offset:72
	flat_load_b64 v[26:27], v[20:21] offset:16
	s_waitcnt vmcnt(2) lgkmcnt(2)
	v_cmp_eq_u64_e32 vcc_lo, 0, v[6:7]
	v_cndmask_b32_e32 v30, v9, v30, vcc_lo
.LBB2_34:
	s_or_b32 exec_lo, exec_lo, s1
.LBB2_35:
	s_delay_alu instid0(SALU_CYCLE_1) | instskip(NEXT) | instid1(VALU_DEP_1)
	s_or_b32 exec_lo, exec_lo, s0
	v_and_b32_e32 v9, 24, v30
	s_mov_b32 s0, exec_lo
                                        ; implicit-def: $vgpr28_vgpr29
	s_delay_alu instid0(VALU_DEP_1)
	v_cmpx_ne_u32_e32 0, v9
	s_cbranch_execz .LBB2_45
; %bb.36:
	s_cbranch_execz .LBB2_37
; %bb.7494:
	s_getpc_b64 s[48:49]
.Lpost_getpc11:
	s_add_u32 s48, s48, (.LBB2_6950-.Lpost_getpc11)&4294967295
	s_addc_u32 s49, s49, (.LBB2_6950-.Lpost_getpc11)>>32
	s_setpc_b64 s[48:49]
.LBB2_37:
	ds_load_b64 v[6:7], v0
	s_waitcnt lgkmcnt(1)
	v_ashrrev_i32_e32 v9, 31, v8
	v_or_b32_e32 v24, 0x100, v30
	s_mov_b32 s1, exec_lo
                                        ; implicit-def: $vgpr28_vgpr29
	s_delay_alu instid0(VALU_DEP_2) | instskip(SKIP_1) | instid1(VALU_DEP_1)
	v_lshlrev_b64 v[8:9], 3, v[8:9]
	s_waitcnt lgkmcnt(0)
	v_add_co_u32 v6, vcc_lo, v6, v8
	s_delay_alu instid0(VALU_DEP_2)
	v_add_co_ci_u32_e32 v7, vcc_lo, v7, v9, vcc_lo
	v_and_b32_e32 v8, 0xffff, v37
	flat_load_b64 v[6:7], v[6:7]
	s_waitcnt vmcnt(0) lgkmcnt(0)
	v_mad_u64_u32 v[20:21], null, 0xa8, v8, v[6:7]
	flat_load_b128 v[6:9], v[20:21] offset:96
	s_waitcnt vmcnt(0) lgkmcnt(0)
	v_cmp_eq_u64_e32 vcc_lo, 0, v[6:7]
	v_cndmask_b32_e32 v30, v24, v30, vcc_lo
	s_delay_alu instid0(VALU_DEP_1) | instskip(NEXT) | instid1(VALU_DEP_1)
	v_and_b32_e32 v24, 16, v30
	v_cmpx_ne_u32_e32 0, v24
; %bb.38:
	s_clause 0x2
	flat_load_b64 v[28:29], v[20:21] offset:120
	flat_load_b64 v[22:23], v[20:21] offset:48
	;; [unrolled: 1-line block ×3, first 2 shown]
; %bb.39:
	s_or_b32 exec_lo, exec_lo, s1
	v_and_b32_e32 v24, 8, v30
	s_mov_b32 s1, exec_lo
	s_delay_alu instid0(VALU_DEP_1)
	v_cmpx_ne_u32_e32 0, v24
	s_cbranch_execz .LBB2_44
; %bb.40:
	s_waitcnt vmcnt(1) lgkmcnt(1)
	v_and_b32_e32 v22, 0x800, v30
	s_mov_b32 s2, exec_lo
	s_delay_alu instid0(VALU_DEP_1)
	v_cmpx_eq_u32_e32 0, v22
	s_cbranch_execz .LBB2_43
; %bb.41:
	s_cbranch_execz .LBB2_42
; %bb.7496:
	s_getpc_b64 s[48:49]
.Lpost_getpc12:
	s_add_u32 s48, s48, (.LBB2_6960-.Lpost_getpc12)&4294967295
	s_addc_u32 s49, s49, (.LBB2_6960-.Lpost_getpc12)>>32
	s_setpc_b64 s[48:49]
.LBB2_42:
	ds_store_b64 v0, v[20:21]
.LBB2_43:
	s_or_b32 exec_lo, exec_lo, s2
	flat_load_b64 v[22:23], v[20:21] offset:56
	s_waitcnt vmcnt(0) lgkmcnt(0)
	flat_load_b64 v[34:35], v[22:23] glc
	s_clause 0x1
	flat_load_b32 v80, v[20:21] offset:72
	flat_load_b64 v[26:27], v[20:21] offset:16
.LBB2_44:
	s_or_b32 exec_lo, exec_lo, s1
	v_add_co_u32 v8, vcc_lo, v8, 3
	v_add_co_ci_u32_e32 v25, vcc_lo, 0, v9, vcc_lo
	s_delay_alu instid0(VALU_DEP_2)
	v_and_b32_e32 v24, -4, v8
.LBB2_45:
	s_or_b32 exec_lo, exec_lo, s0
	v_cmp_eq_u32_e64 s0, 0, v0
	s_delay_alu instid0(VALU_DEP_1)
	s_and_saveexec_b32 s1, s0
	s_cbranch_execz .LBB2_48
; %bb.46:
	s_waitcnt lgkmcnt(0)
	flat_load_b64 v[8:9], v[2:3] offset:32
	ds_store_2addr_b64 v0, v[12:13], v[10:11] offset1:1
	s_cbranch_execz .LBB2_47
; %bb.7498:
	s_getpc_b64 s[48:49]
.Lpost_getpc13:
	s_add_u32 s48, s48, (.LBB2_6952-.Lpost_getpc13)&4294967295
	s_addc_u32 s49, s49, (.LBB2_6952-.Lpost_getpc13)>>32
	s_setpc_b64 s[48:49]
.LBB2_47:
	s_waitcnt vmcnt(0) lgkmcnt(1)
	ds_store_b64 v0, v[8:9]
	ds_store_b64 v0, v[32:33]
.LBB2_48:
	s_or_b32 exec_lo, exec_lo, s1
	s_waitcnt vmcnt(0)
	v_dual_mov_b32 v32, 0 :: v_dual_and_b32 v81, 0xffff, v36
	v_mov_b32_e32 v33, 0
	s_mov_b32 s20, exec_lo
	v_cmpx_lt_i64_e32 0, v[4:5]
	s_cbranch_execnz .LBB2_49
; %bb.7500:
	s_getpc_b64 s[48:49]
.Lpost_getpc14:
	s_add_u32 s48, s48, (.LBB2_6926-.Lpost_getpc14)&4294967295
	s_addc_u32 s49, s49, (.LBB2_6926-.Lpost_getpc14)>>32
	s_setpc_b64 s[48:49]
.LBB2_49:
	s_waitcnt lgkmcnt(0)
	flat_load_b32 v8, v[2:3] offset:4
	v_dual_mov_b32 v3, 0 :: v_dual_and_b32 v2, 31, v31
	s_ashr_i32 s21, s19, 31
	s_add_u32 s22, s19, -1
	s_addc_u32 s23, s21, -1
	s_not_b32 s2, s19
	v_cmp_ge_i32_e32 vcc_lo, v0, v1
	v_cmp_eq_u32_e64 s1, 0, v2
	s_cmp_gt_i32 s19, 0
	s_mov_b32 s24, 0
	s_cselect_b32 s26, s2, -1
	s_cbranch_execz .LBB2_50
; %bb.7502:
	s_getpc_b64 s[48:49]
.Lpost_getpc15:
	s_add_u32 s48, s48, (.LBB2_6954-.Lpost_getpc15)&4294967295
	s_addc_u32 s49, s49, (.LBB2_6954-.Lpost_getpc15)>>32
	s_setpc_b64 s[48:49]
.LBB2_50:
	v_ashrrev_i32_e32 v9, 31, v0
	v_lshrrev_b32_e32 v83, 5, v1
	v_and_b32_e32 v2, 0x3ffffe00, v14
	s_ashr_i32 s6, s5, 31
	s_waitcnt vmcnt(0) lgkmcnt(0)
	v_and_b32_e32 v8, 1, v8
	v_lshrrev_b32_e32 v9, 27, v9
	s_add_i32 s25, s19, s19
	s_lshr_b32 s6, s6, 25
	s_add_i32 s26, s26, s25
	s_add_i32 s5, s5, s6
	v_dual_mov_b32 v48, 0 :: v_dual_add_nc_u32 v9, v0, v9
	v_dual_mov_b32 v49, 0 :: v_dual_lshlrev_b32 v86, 9, v83
	s_delay_alu instid0(VALU_DEP_2) | instskip(NEXT) | instid1(VALU_DEP_3)
	v_dual_mov_b32 v32, v48 :: v_dual_and_b32 v99, 0xffffffe0, v1
	v_dual_mov_b32 v119, 1 :: v_dual_and_b32 v10, 0xffffffe0, v9
	v_ashrrev_i32_e32 v84, 5, v9
	v_lshl_add_u32 v9, v83, 10, 0xfffffc00
	v_mov_b32_e32 v33, v49
	s_delay_alu instid0(VALU_DEP_4) | instskip(SKIP_4) | instid1(VALU_DEP_3)
	v_sub_nc_u32_e32 v85, v0, v10
	v_add_nc_u32_e32 v87, 0xfffffe00, v86
	v_dual_mov_b32 v51, v3 :: v_dual_lshlrev_b32 v10, 10, v84
	v_add_co_u32 v96, s7, 0x400, v9
	v_mov_b32_e32 v50, v2
	v_lshl_add_u32 v38, v85, 4, v10
	v_ashrrev_i32_e32 v10, 31, v9
	v_lshl_add_u32 v9, v83, 8, 0xffffff00
	v_ashrrev_i32_e32 v98, 31, v87
	v_subrev_nc_u32_e32 v102, 32, v99
	s_ashr_i32 s27, s26, 31
	v_add_co_ci_u32_e64 v97, s7, 0, v10, s7
	v_add_co_u32 v100, s7, 0x200, v87
	v_ashrrev_i32_e32 v10, 31, v9
	v_add_co_ci_u32_e64 v101, s7, 0, v98, s7
	v_add_co_u32 v103, s7, 0x100, v9
	v_ashrrev_i32_e32 v113, 31, v102
	s_delay_alu instid0(VALU_DEP_4) | instskip(SKIP_1) | instid1(VALU_DEP_1)
	v_add_co_ci_u32_e64 v112, s7, 0, v10, s7
	v_add_co_u32 v114, s7, v102, 32
	v_add_co_ci_u32_e64 v115, s7, 0, v113, s7
	v_cmp_eq_u32_e64 s7, 1, v8
	s_ashr_i32 s28, s5, 7
	s_cmp_gt_i32 s19, 2
	v_lshlrev_b32_e32 v116, 4, v0
	s_cselect_b32 s29, -1, 0
	s_add_i32 s13, s19, 1
	s_xor_b32 vcc_hi, s7, -1
	v_mad_i64_i32 v[36:37], null, v2, s19, 0
	s_cmp_le_i32 s19, s13
	v_cmp_eq_u64_e64 s10, 0, v[28:29]
	v_cmp_ne_u64_e64 s11, 0, v[28:29]
	s_cselect_b32 s14, s19, 0
	v_ashrrev_i32_e32 v82, 31, v80
	v_cmp_eq_u32_e64 s2, 32, v1
	v_cmp_ne_u32_e64 s3, 32, v1
	v_cmp_ne_u32_e64 s4, v81, v1
	v_cmp_gt_i32_e64 s5, 1, v85
	v_cmp_lt_i32_e64 s6, v85, v15
	v_ashrrev_i32_e32 v39, 31, v38
	v_cmp_le_i32_e64 s12, v85, v15
	v_sub_nc_u32_e32 v117, 0, v84
	v_ashrrev_i32_e32 v118, 31, v116
	s_sub_i32 s36, s13, s14
	s_add_i32 s31, s19, -2
	s_ashr_i32 s34, s36, 31
	s_xor_b32 s30, vcc_lo, -1
	s_sub_i32 s35, 0, s19
.LBB2_51:                               ; =>This Loop Header: Depth=1
                                        ;     Child Loop BB2_59 Depth 2
                                        ;       Child Loop BB2_68 Depth 3
                                        ;       Child Loop BB2_95 Depth 3
	;; [unrolled: 1-line block ×9, first 2 shown]
                                        ;     Child Loop BB2_222 Depth 2
                                        ;       Child Loop BB2_228 Depth 3
                                        ;       Child Loop BB2_255 Depth 3
                                        ;       Child Loop BB2_282 Depth 3
                                        ;     Child Loop BB2_303 Depth 2
                                        ;       Child Loop BB2_305 Depth 3
                                        ;         Child Loop BB2_314 Depth 4
                                        ;         Child Loop BB2_344 Depth 4
	;; [unrolled: 1-line block ×9, first 2 shown]
                                        ;       Child Loop BB2_2317 Depth 3
                                        ;         Child Loop BB2_2323 Depth 4
                                        ;         Child Loop BB2_2355 Depth 4
	;; [unrolled: 1-line block ×3, first 2 shown]
                                        ;     Child Loop BB2_2404 Depth 2
                                        ;       Child Loop BB2_2413 Depth 3
                                        ;       Child Loop BB2_2443 Depth 3
	;; [unrolled: 1-line block ×4, first 2 shown]
                                        ;         Child Loop BB2_2956 Depth 4
                                        ;       Child Loop BB2_3220 Depth 3
                                        ;         Child Loop BB2_3685 Depth 4
                                        ;       Child Loop BB2_3955 Depth 3
                                        ;       Child Loop BB2_4318 Depth 3
                                        ;         Child Loop BB2_4348 Depth 4
                                        ;       Child Loop BB2_4380 Depth 3
                                        ;       Child Loop BB2_5106 Depth 3
	;; [unrolled: 1-line block ×6, first 2 shown]
                                        ;     Child Loop BB2_6303 Depth 2
                                        ;       Child Loop BB2_6309 Depth 3
                                        ;       Child Loop BB2_6339 Depth 3
	;; [unrolled: 1-line block ×3, first 2 shown]
                                        ;     Child Loop BB2_6387 Depth 2
                                        ;       Child Loop BB2_6389 Depth 3
                                        ;         Child Loop BB2_6398 Depth 4
                                        ;         Child Loop BB2_6428 Depth 4
	;; [unrolled: 1-line block ×4, first 2 shown]
                                        ;           Child Loop BB2_6477 Depth 5
                                        ;         Child Loop BB2_6484 Depth 4
                                        ;           Child Loop BB2_6485 Depth 5
                                        ;         Child Loop BB2_6496 Depth 4
                                        ;         Child Loop BB2_6502 Depth 4
                                        ;           Child Loop BB2_6503 Depth 5
                                        ;         Child Loop BB2_6517 Depth 4
                                        ;         Child Loop BB2_6523 Depth 4
	;; [unrolled: 1-line block ×6, first 2 shown]
                                        ;       Child Loop BB2_6598 Depth 3
                                        ;         Child Loop BB2_6604 Depth 4
                                        ;         Child Loop BB2_6636 Depth 4
	;; [unrolled: 1-line block ×3, first 2 shown]
                                        ;     Child Loop BB2_6686 Depth 2
                                        ;       Child Loop BB2_6695 Depth 3
                                        ;       Child Loop BB2_6722 Depth 3
	;; [unrolled: 1-line block ×9, first 2 shown]
                                        ;     Child Loop BB2_6847 Depth 2
                                        ;       Child Loop BB2_6853 Depth 3
                                        ;       Child Loop BB2_6880 Depth 3
                                        ;       Child Loop BB2_6907 Depth 3
	v_sub_co_u32 v52, vcc_lo, v4, v48
	v_sub_co_ci_u32_e32 v53, vcc_lo, v5, v49, vcc_lo
	s_mov_b32 s37, exec_lo
	s_delay_alu instid0(VALU_DEP_1)
	v_cmpx_lt_i64_e64 v[52:53], v[36:37]
	s_cbranch_execz .LBB2_57
; %bb.52:                               ;   in Loop: Header=BB2_51 Depth=1
	v_add_co_u32 v2, vcc_lo, s22, v52
	v_add_co_ci_u32_e32 v10, vcc_lo, s23, v53, vcc_lo
	v_mov_b32_e32 v8, v3
	s_delay_alu instid0(VALU_DEP_2) | instskip(NEXT) | instid1(VALU_DEP_1)
	v_or_b32_e32 v9, s21, v10
	v_cmp_ne_u64_e32 vcc_lo, 0, v[8:9]
                                        ; implicit-def: $vgpr8_vgpr9
	s_and_saveexec_b32 s13, vcc_lo
	s_delay_alu instid0(SALU_CYCLE_1)
	s_xor_b32 s38, exec_lo, s13
	s_cbranch_execz .LBB2_54
; %bb.53:                               ;   in Loop: Header=BB2_51 Depth=1
	s_add_u32 s16, s19, s21
	s_mov_b32 s14, s21
	s_mov_b32 s15, s21
	s_addc_u32 s17, s21, s21
	s_delay_alu instid0(SALU_CYCLE_1) | instskip(NEXT) | instid1(SALU_CYCLE_1)
	s_xor_b64 s[16:17], s[16:17], s[14:15]
	v_cvt_f32_u32_e32 v8, s16
	v_cvt_f32_u32_e32 v9, s17
	s_sub_u32 s13, 0, s16
	s_subb_u32 s39, 0, s17
	s_delay_alu instid0(VALU_DEP_1) | instskip(NEXT) | instid1(VALU_DEP_1)
	v_fmac_f32_e32 v8, 0x4f800000, v9
	v_rcp_f32_e32 v8, v8
	s_waitcnt_depctr 0xfff
	v_mul_f32_e32 v8, 0x5f7ffffc, v8
	s_delay_alu instid0(VALU_DEP_1) | instskip(NEXT) | instid1(VALU_DEP_1)
	v_mul_f32_e32 v9, 0x2f800000, v8
	v_trunc_f32_e32 v9, v9
	s_delay_alu instid0(VALU_DEP_1) | instskip(SKIP_1) | instid1(VALU_DEP_2)
	v_fmac_f32_e32 v8, 0xcf800000, v9
	v_cvt_u32_f32_e32 v9, v9
	v_cvt_u32_f32_e32 v8, v8
	s_delay_alu instid0(VALU_DEP_2) | instskip(NEXT) | instid1(VALU_DEP_2)
	v_mul_lo_u32 v11, s13, v9
	v_mul_hi_u32 v12, s13, v8
	v_mul_lo_u32 v13, s39, v8
	s_delay_alu instid0(VALU_DEP_2) | instskip(SKIP_1) | instid1(VALU_DEP_2)
	v_add_nc_u32_e32 v11, v12, v11
	v_mul_lo_u32 v12, s13, v8
	v_add_nc_u32_e32 v11, v11, v13
	s_delay_alu instid0(VALU_DEP_2) | instskip(NEXT) | instid1(VALU_DEP_2)
	v_mul_hi_u32 v13, v8, v12
	v_mul_lo_u32 v14, v8, v11
	v_mul_hi_u32 v15, v8, v11
	v_mul_hi_u32 v50, v9, v12
	v_mul_lo_u32 v12, v9, v12
	v_mul_hi_u32 v51, v9, v11
	v_mul_lo_u32 v11, v9, v11
	v_add_co_u32 v13, vcc_lo, v13, v14
	v_add_co_ci_u32_e32 v14, vcc_lo, 0, v15, vcc_lo
	s_delay_alu instid0(VALU_DEP_2) | instskip(NEXT) | instid1(VALU_DEP_2)
	v_add_co_u32 v12, vcc_lo, v13, v12
	v_add_co_ci_u32_e32 v12, vcc_lo, v14, v50, vcc_lo
	v_add_co_ci_u32_e32 v13, vcc_lo, 0, v51, vcc_lo
	v_ashrrev_i32_e32 v50, 31, v10
	s_delay_alu instid0(VALU_DEP_3) | instskip(NEXT) | instid1(VALU_DEP_3)
	v_add_co_u32 v11, vcc_lo, v12, v11
	v_add_co_ci_u32_e32 v12, vcc_lo, 0, v13, vcc_lo
	s_delay_alu instid0(VALU_DEP_2) | instskip(NEXT) | instid1(VALU_DEP_2)
	v_add_co_u32 v8, vcc_lo, v8, v11
	v_add_co_ci_u32_e32 v9, vcc_lo, v9, v12, vcc_lo
	s_delay_alu instid0(VALU_DEP_2) | instskip(SKIP_1) | instid1(VALU_DEP_3)
	v_mul_hi_u32 v11, s13, v8
	v_mul_lo_u32 v13, s39, v8
	v_mul_lo_u32 v12, s13, v9
	s_delay_alu instid0(VALU_DEP_1) | instskip(SKIP_1) | instid1(VALU_DEP_2)
	v_add_nc_u32_e32 v11, v11, v12
	v_mul_lo_u32 v12, s13, v8
	v_add_nc_u32_e32 v11, v11, v13
	s_delay_alu instid0(VALU_DEP_2) | instskip(NEXT) | instid1(VALU_DEP_2)
	v_mul_hi_u32 v13, v8, v12
	v_mul_lo_u32 v14, v8, v11
	v_mul_hi_u32 v15, v8, v11
	v_mul_hi_u32 v51, v9, v12
	v_mul_lo_u32 v12, v9, v12
	v_mul_hi_u32 v54, v9, v11
	v_mul_lo_u32 v11, v9, v11
	v_add_co_u32 v13, vcc_lo, v13, v14
	v_add_co_ci_u32_e32 v14, vcc_lo, 0, v15, vcc_lo
	s_delay_alu instid0(VALU_DEP_2) | instskip(NEXT) | instid1(VALU_DEP_2)
	v_add_co_u32 v12, vcc_lo, v13, v12
	v_add_co_ci_u32_e32 v12, vcc_lo, v14, v51, vcc_lo
	v_add_co_ci_u32_e32 v13, vcc_lo, 0, v54, vcc_lo
	v_add_co_u32 v2, vcc_lo, v2, v50
	v_add_co_ci_u32_e32 v10, vcc_lo, v10, v50, vcc_lo
	s_delay_alu instid0(VALU_DEP_4) | instskip(NEXT) | instid1(VALU_DEP_4)
	v_add_co_u32 v11, vcc_lo, v12, v11
	v_add_co_ci_u32_e32 v12, vcc_lo, 0, v13, vcc_lo
	s_delay_alu instid0(VALU_DEP_4) | instskip(NEXT) | instid1(VALU_DEP_3)
	v_xor_b32_e32 v2, v2, v50
	v_add_co_u32 v13, vcc_lo, v8, v11
	s_delay_alu instid0(VALU_DEP_3) | instskip(SKIP_1) | instid1(VALU_DEP_3)
	v_add_co_ci_u32_e32 v14, vcc_lo, v9, v12, vcc_lo
	v_xor_b32_e32 v15, v10, v50
	v_mul_hi_u32 v51, v2, v13
	s_delay_alu instid0(VALU_DEP_3) | instskip(NEXT) | instid1(VALU_DEP_3)
	v_mad_u64_u32 v[8:9], null, v2, v14, 0
	v_mad_u64_u32 v[10:11], null, v15, v13, 0
	;; [unrolled: 1-line block ×3, first 2 shown]
	s_delay_alu instid0(VALU_DEP_3) | instskip(NEXT) | instid1(VALU_DEP_4)
	v_add_co_u32 v8, vcc_lo, v51, v8
	v_add_co_ci_u32_e32 v9, vcc_lo, 0, v9, vcc_lo
	s_delay_alu instid0(VALU_DEP_2) | instskip(NEXT) | instid1(VALU_DEP_2)
	v_add_co_u32 v8, vcc_lo, v8, v10
	v_add_co_ci_u32_e32 v8, vcc_lo, v9, v11, vcc_lo
	v_add_co_ci_u32_e32 v9, vcc_lo, 0, v13, vcc_lo
	s_delay_alu instid0(VALU_DEP_2) | instskip(NEXT) | instid1(VALU_DEP_2)
	v_add_co_u32 v10, vcc_lo, v8, v12
	v_add_co_ci_u32_e32 v11, vcc_lo, 0, v9, vcc_lo
	s_delay_alu instid0(VALU_DEP_2) | instskip(SKIP_1) | instid1(VALU_DEP_3)
	v_mul_lo_u32 v12, s17, v10
	v_mad_u64_u32 v[8:9], null, s16, v10, 0
	v_mul_lo_u32 v13, s16, v11
	s_delay_alu instid0(VALU_DEP_2) | instskip(NEXT) | instid1(VALU_DEP_2)
	v_sub_co_u32 v2, vcc_lo, v2, v8
	v_add3_u32 v9, v9, v13, v12
	s_delay_alu instid0(VALU_DEP_1) | instskip(NEXT) | instid1(VALU_DEP_1)
	v_sub_nc_u32_e32 v12, v15, v9
	v_subrev_co_ci_u32_e64 v8, s13, s17, v12, vcc_lo
	v_add_co_u32 v12, s13, v10, 2
	s_delay_alu instid0(VALU_DEP_1) | instskip(SKIP_3) | instid1(VALU_DEP_3)
	v_add_co_ci_u32_e64 v13, s13, 0, v11, s13
	v_sub_co_u32 v14, s13, v2, s16
	v_sub_co_ci_u32_e32 v9, vcc_lo, v15, v9, vcc_lo
	v_subrev_co_ci_u32_e64 v8, s13, 0, v8, s13
	v_cmp_le_u32_e32 vcc_lo, s16, v14
	s_delay_alu instid0(VALU_DEP_3) | instskip(SKIP_1) | instid1(VALU_DEP_4)
	v_cmp_eq_u32_e64 s13, s17, v9
	v_cndmask_b32_e64 v14, 0, -1, vcc_lo
	v_cmp_le_u32_e32 vcc_lo, s17, v8
	v_cndmask_b32_e64 v15, 0, -1, vcc_lo
	v_cmp_le_u32_e32 vcc_lo, s16, v2
	;; [unrolled: 2-line block ×3, first 2 shown]
	v_cndmask_b32_e64 v51, 0, -1, vcc_lo
	v_cmp_eq_u32_e32 vcc_lo, s17, v8
	s_delay_alu instid0(VALU_DEP_2) | instskip(SKIP_3) | instid1(VALU_DEP_3)
	v_cndmask_b32_e64 v2, v51, v2, s13
	v_cndmask_b32_e32 v8, v15, v14, vcc_lo
	v_add_co_u32 v14, vcc_lo, v10, 1
	v_add_co_ci_u32_e32 v15, vcc_lo, 0, v11, vcc_lo
	v_cmp_ne_u32_e32 vcc_lo, 0, v8
	s_delay_alu instid0(VALU_DEP_2) | instskip(SKIP_2) | instid1(VALU_DEP_3)
	v_dual_cndmask_b32 v8, v15, v13 :: v_dual_cndmask_b32 v9, v14, v12
	v_cmp_ne_u32_e32 vcc_lo, 0, v2
	v_xor_b32_e32 v2, s14, v50
	v_dual_cndmask_b32 v8, v11, v8 :: v_dual_cndmask_b32 v9, v10, v9
	v_xor_b32_e32 v10, s15, v50
	s_delay_alu instid0(VALU_DEP_2) | instskip(NEXT) | instid1(VALU_DEP_2)
	v_xor_b32_e32 v9, v9, v2
	v_xor_b32_e32 v11, v8, v10
	s_delay_alu instid0(VALU_DEP_2) | instskip(NEXT) | instid1(VALU_DEP_2)
	v_sub_co_u32 v8, vcc_lo, v9, v2
	v_sub_co_ci_u32_e32 v9, vcc_lo, v11, v10, vcc_lo
                                        ; implicit-def: $vgpr2
.LBB2_54:                               ;   in Loop: Header=BB2_51 Depth=1
	s_and_not1_saveexec_b32 s13, s38
	s_cbranch_execz .LBB2_56
; %bb.55:                               ;   in Loop: Header=BB2_51 Depth=1
	v_cvt_f32_u32_e32 v8, s19
	s_delay_alu instid0(VALU_DEP_1) | instskip(SKIP_2) | instid1(VALU_DEP_1)
	v_rcp_iflag_f32_e32 v8, v8
	s_waitcnt_depctr 0xfff
	v_mul_f32_e32 v8, 0x4f7ffffe, v8
	v_cvt_u32_f32_e32 v8, v8
	s_delay_alu instid0(VALU_DEP_1) | instskip(NEXT) | instid1(VALU_DEP_1)
	v_mul_lo_u32 v9, s35, v8
	v_mul_hi_u32 v9, v8, v9
	s_delay_alu instid0(VALU_DEP_1) | instskip(NEXT) | instid1(VALU_DEP_1)
	v_add_nc_u32_e32 v8, v8, v9
	v_mul_hi_u32 v8, v2, v8
	s_delay_alu instid0(VALU_DEP_1) | instskip(NEXT) | instid1(VALU_DEP_1)
	v_mul_lo_u32 v9, v8, s19
	v_sub_nc_u32_e32 v2, v2, v9
	s_delay_alu instid0(VALU_DEP_1) | instskip(SKIP_1) | instid1(VALU_DEP_2)
	v_subrev_nc_u32_e32 v10, s19, v2
	v_cmp_le_u32_e32 vcc_lo, s19, v2
	v_dual_cndmask_b32 v2, v2, v10 :: v_dual_add_nc_u32 v9, 1, v8
	s_delay_alu instid0(VALU_DEP_1) | instskip(NEXT) | instid1(VALU_DEP_2)
	v_cndmask_b32_e32 v8, v8, v9, vcc_lo
	v_cmp_le_u32_e32 vcc_lo, s19, v2
	s_delay_alu instid0(VALU_DEP_2) | instskip(NEXT) | instid1(VALU_DEP_1)
	v_add_nc_u32_e32 v9, 1, v8
	v_cndmask_b32_e32 v2, v8, v9, vcc_lo
	s_delay_alu instid0(VALU_DEP_1)
	v_dual_mov_b32 v9, v3 :: v_dual_mov_b32 v8, v2
.LBB2_56:                               ;   in Loop: Header=BB2_51 Depth=1
	s_or_b32 exec_lo, exec_lo, s13
	s_delay_alu instid0(VALU_DEP_1) | instskip(NEXT) | instid1(VALU_DEP_2)
	v_add_co_u32 v2, vcc_lo, v8, 15
	v_add_co_ci_u32_e32 v51, vcc_lo, 0, v9, vcc_lo
	s_delay_alu instid0(VALU_DEP_2)
	v_and_b32_e32 v50, -16, v2
.LBB2_57:                               ;   in Loop: Header=BB2_51 Depth=1
	s_or_b32 exec_lo, exec_lo, s37
	s_delay_alu instid0(VALU_DEP_2) | instskip(NEXT) | instid1(VALU_DEP_2)
	v_mul_lo_u32 v2, v51, s26
	v_mul_lo_u32 v8, v50, s27
	v_mad_u64_u32 v[10:11], null, v50, s26, 0
	s_mov_b32 s16, 0
	v_mov_b32_e32 v55, 0
	s_delay_alu instid0(VALU_DEP_2) | instskip(NEXT) | instid1(VALU_DEP_3)
	v_add3_u32 v11, v11, v8, v2
	v_sub_co_u32 v8, vcc_lo, v52, v10
	s_delay_alu instid0(VALU_DEP_2) | instskip(NEXT) | instid1(VALU_DEP_1)
	v_sub_co_ci_u32_e32 v9, vcc_lo, v53, v11, vcc_lo
	v_cmp_lt_i64_e32 vcc_lo, v[50:51], v[8:9]
	v_cndmask_b32_e32 v8, v8, v50, vcc_lo
	v_add_co_u32 v128, vcc_lo, v48, v16
	v_add_co_ci_u32_e32 v129, vcc_lo, v49, v17, vcc_lo
	s_delay_alu instid0(VALU_DEP_3) | instskip(SKIP_1) | instid1(VALU_DEP_2)
	v_max_i32_e32 v54, 0, v8
	v_cmp_lt_i32_e32 vcc_lo, 0, v8
	v_add_nc_u32_e32 v2, 31, v54
	s_and_b32 s13, s30, vcc_lo
	s_delay_alu instid0(VALU_DEP_1) | instskip(NEXT) | instid1(VALU_DEP_1)
	v_lshrrev_b32_e32 v2, 1, v2
	v_dual_mov_b32 v2, 0 :: v_dual_and_b32 v9, 0x3ffffff0, v2
	s_delay_alu instid0(VALU_DEP_1)
	v_max_i32_e32 v8, s28, v9
	s_and_saveexec_b32 s15, s13
	s_cbranch_execz .LBB2_220
; %bb.58:                               ;   in Loop: Header=BB2_51 Depth=1
	v_mov_b32_e32 v55, 0
	s_mov_b32 s37, 1
	s_mov_b32 s17, -1
.LBB2_59:                               ;   Parent Loop BB2_51 Depth=1
                                        ; =>  This Loop Header: Depth=2
                                        ;       Child Loop BB2_68 Depth 3
                                        ;       Child Loop BB2_95 Depth 3
	;; [unrolled: 1-line block ×9, first 2 shown]
	s_and_saveexec_b32 s13, s0
	s_cbranch_execz .LBB2_62
; %bb.60:                               ;   in Loop: Header=BB2_59 Depth=2
	s_cbranch_execz .LBB2_61
; %bb.7504:
	s_getpc_b64 s[48:49]
.Lpost_getpc16:
	s_add_u32 s48, s48, (.LBB2_6977-.Lpost_getpc16)&4294967295
	s_addc_u32 s49, s49, (.LBB2_6977-.Lpost_getpc16)>>32
	s_setpc_b64 s[48:49]
.LBB2_61:                               ;   in Loop: Header=BB2_59 Depth=2
	ds_load_b64 v[12:13], v0
	s_waitcnt lgkmcnt(0)
	v_add_co_u32 v2, vcc_lo, v12, v128
	v_add_co_ci_u32_e32 v9, vcc_lo, v13, v129, vcc_lo
	v_ashrrev_i32_e32 v13, 31, v55
	s_delay_alu instid0(VALU_DEP_3) | instskip(NEXT) | instid1(VALU_DEP_3)
	v_add_co_u32 v2, vcc_lo, v2, v10
	v_add_co_ci_u32_e32 v9, vcc_lo, v9, v11, vcc_lo
	s_delay_alu instid0(VALU_DEP_2) | instskip(NEXT) | instid1(VALU_DEP_2)
	v_add_co_u32 v12, vcc_lo, v2, v55
	v_add_co_ci_u32_e32 v13, vcc_lo, v9, v13, vcc_lo
	v_mov_b32_e32 v2, v3
	ds_store_b64 v0, v[12:13]
	ds_store_b64 v0, v[2:3]
.LBB2_62:                               ;   in Loop: Header=BB2_59 Depth=2
	s_or_b32 exec_lo, exec_lo, s13
	v_and_b32_e32 v2, 8, v30
	s_mov_b32 s14, -1
	s_mov_b32 s13, exec_lo
	s_delay_alu instid0(VALU_DEP_1)
	v_cmpx_ne_u32_e32 0, v2
	s_cbranch_execz .LBB2_76
; %bb.63:                               ;   in Loop: Header=BB2_59 Depth=2
	v_add_co_u32 v14, vcc_lo, v34, 8
	v_add_co_ci_u32_e32 v15, vcc_lo, 0, v35, vcc_lo
	v_add_co_u32 v12, vcc_lo, v24, 2
	v_add_co_ci_u32_e32 v13, vcc_lo, 0, v25, vcc_lo
	v_mov_b32_e32 v2, 1
	s_mov_b32 s14, exec_lo
	s_delay_alu instid0(VALU_DEP_2)
	v_cmpx_lt_u64_e64 v[14:15], v[12:13]
	s_cbranch_execz .LBB2_75
; %bb.64:                               ;   in Loop: Header=BB2_59 Depth=2
	v_mov_b32_e32 v2, 0
	s_mov_b32 s38, 0
                                        ; implicit-def: $sgpr39
	s_branch .LBB2_68
.LBB2_65:                               ;   in Loop: Header=BB2_68 Depth=3
	s_or_b32 exec_lo, exec_lo, s43
	v_mov_b32_e32 v9, 0
	s_or_not1_b32 s42, s42, exec_lo
.LBB2_66:                               ;   in Loop: Header=BB2_68 Depth=3
	s_or_b32 exec_lo, exec_lo, s41
	s_delay_alu instid0(VALU_DEP_1) | instskip(SKIP_2) | instid1(SALU_CYCLE_1)
	v_mov_b32_e32 v2, v9
	s_and_not1_b32 vcc_lo, s39, exec_lo
	s_and_b32 s39, s42, exec_lo
	s_or_b32 s39, vcc_lo, s39
.LBB2_67:                               ;   in Loop: Header=BB2_68 Depth=3
	s_or_b32 exec_lo, exec_lo, s40
	s_waitcnt vmcnt(0) lgkmcnt(0)
	v_add_co_u32 v14, vcc_lo, v34, 8
	v_add_co_ci_u32_e32 v15, vcc_lo, 0, v35, vcc_lo
	s_xor_b32 s40, s39, -1
	s_delay_alu instid0(VALU_DEP_1) | instskip(SKIP_1) | instid1(SALU_CYCLE_1)
	v_cmp_ge_u64_e32 vcc_lo, v[14:15], v[12:13]
	s_or_b32 vcc_lo, s40, vcc_lo
	s_and_b32 vcc_lo, exec_lo, vcc_lo
	s_delay_alu instid0(SALU_CYCLE_1) | instskip(NEXT) | instid1(SALU_CYCLE_1)
	s_or_b32 s38, vcc_lo, s38
	s_and_not1_b32 exec_lo, exec_lo, s38
	s_cbranch_execz .LBB2_74
.LBB2_68:                               ;   Parent Loop BB2_51 Depth=1
                                        ;     Parent Loop BB2_59 Depth=2
                                        ; =>    This Inner Loop Header: Depth=3
	s_sleep 1
	flat_load_b64 v[34:35], v[22:23] glc
	v_and_b32_e32 v9, 64, v30
	s_and_not1_b32 s39, s39, exec_lo
	s_mov_b32 s40, exec_lo
	s_delay_alu instid0(VALU_DEP_1)
	v_cmpx_eq_u32_e32 0, v9
	s_cbranch_execz .LBB2_67
; %bb.69:                               ;   in Loop: Header=BB2_68 Depth=3
	v_add_nc_u32_e32 v9, 1, v2
	s_mov_b32 s42, -1
	s_mov_b32 s41, exec_lo
	v_cmpx_lt_i32_e32 0x270e, v2
	s_cbranch_execz .LBB2_66
; %bb.70:                               ;   in Loop: Header=BB2_68 Depth=3
	s_cbranch_execz .LBB2_71
; %bb.7506:
	s_getpc_b64 s[48:49]
.Lpost_getpc17:
	s_add_u32 s48, s48, (.LBB2_6999-.Lpost_getpc17)&4294967295
	s_addc_u32 s49, s49, (.LBB2_6999-.Lpost_getpc17)>>32
	s_setpc_b64 s[48:49]
.LBB2_71:                               ;   in Loop: Header=BB2_68 Depth=3
	ds_load_b64 v[14:15], v0
	s_mov_b32 s43, exec_lo
	s_waitcnt vmcnt(0) lgkmcnt(0)
	s_waitcnt_vscnt null, 0x0
	flat_load_b32 v2, v[14:15] glc
	s_waitcnt vmcnt(0) lgkmcnt(0)
	buffer_gl1_inv
	buffer_gl0_inv
	v_cmpx_ne_u32_e32 0, v2
	s_cbranch_execz .LBB2_65
; %bb.72:                               ;   in Loop: Header=BB2_68 Depth=3
	ds_store_b32 v0, v2
	s_cbranch_execz .LBB2_73
; %bb.7508:
	s_getpc_b64 s[48:49]
.Lpost_getpc18:
	s_add_u32 s48, s48, (.LBB2_7018-.Lpost_getpc18)&4294967295
	s_addc_u32 s49, s49, (.LBB2_7018-.Lpost_getpc18)>>32
	s_setpc_b64 s[48:49]
.LBB2_73:                               ;   in Loop: Header=BB2_68 Depth=3
	v_or_b32_e32 v30, 64, v30
	s_xor_b32 s42, exec_lo, -1
	s_branch .LBB2_65
.LBB2_74:                               ;   in Loop: Header=BB2_59 Depth=2
	s_or_b32 exec_lo, exec_lo, s38
	v_and_b32_e32 v2, 8, v30
.LBB2_75:                               ;   in Loop: Header=BB2_59 Depth=2
	s_or_b32 exec_lo, exec_lo, s14
	s_delay_alu instid0(VALU_DEP_1)
	v_cmp_eq_u32_e32 vcc_lo, 0, v2
	;;#ASMSTART
	s_wakeup
	;;#ASMEND
	s_or_not1_b32 s14, vcc_lo, exec_lo
.LBB2_76:                               ;   in Loop: Header=BB2_59 Depth=2
	s_or_b32 exec_lo, exec_lo, s13
	v_sub_nc_u32_e32 v2, v54, v55
	s_xor_b32 s13, s14, -1
	s_delay_alu instid0(VALU_DEP_1)
	v_min_i32_e32 v8, v8, v2
	s_and_saveexec_b32 s14, s13
	s_cbranch_execz .LBB2_86
; %bb.77:                               ;   in Loop: Header=BB2_59 Depth=2
	v_and_b32_e32 v2, 0x100, v30
	s_mov_b32 s13, -1
                                        ; implicit-def: $vgpr12_vgpr13
	s_delay_alu instid0(VALU_DEP_1)
	v_cmp_ne_u32_e32 vcc_lo, 0, v2
	v_and_b32_e32 v2, 7, v24
	s_and_saveexec_b32 s38, vcc_lo
	s_cbranch_execz .LBB2_81
; %bb.78:                               ;   in Loop: Header=BB2_59 Depth=2
	s_delay_alu instid0(VALU_DEP_1)
	v_mad_u64_u32 v[14:15], null, v2, 24, v[6:7]
	v_ashrrev_i32_e32 v9, 31, v8
	flat_load_b32 v12, v[14:15]
	flat_store_b64 v[14:15], v[8:9] offset:8
	s_waitcnt vmcnt(0) lgkmcnt(1)
	v_cmp_ne_u32_e32 vcc_lo, 1, v12
	v_cmp_eq_u32_e64 s13, 1, v12
                                        ; implicit-def: $vgpr12_vgpr13
	s_delay_alu instid0(VALU_DEP_1)
	s_and_saveexec_b32 s39, s13
	s_cbranch_execz .LBB2_80
; %bb.79:                               ;   in Loop: Header=BB2_59 Depth=2
	flat_load_b32 v12, v[14:15] offset:4 glc
	s_waitcnt vmcnt(0) lgkmcnt(0)
	v_ashrrev_i32_e32 v13, 31, v12
.LBB2_80:                               ;   in Loop: Header=BB2_59 Depth=2
	s_or_b32 exec_lo, exec_lo, s39
	s_delay_alu instid0(SALU_CYCLE_1)
	s_or_not1_b32 s13, vcc_lo, exec_lo
.LBB2_81:                               ;   in Loop: Header=BB2_59 Depth=2
	s_or_b32 exec_lo, exec_lo, s38
	s_and_saveexec_b32 vcc_lo, s13
; %bb.82:                               ;   in Loop: Header=BB2_59 Depth=2
	v_mad_i64_i32 v[12:13], null, v2, v80, 0
; %bb.83:                               ;   in Loop: Header=BB2_59 Depth=2
	s_or_b32 exec_lo, exec_lo, vcc_lo
	s_delay_alu instid0(VALU_DEP_1) | instskip(SKIP_1) | instid1(VALU_DEP_3)
	v_add_co_u32 v12, vcc_lo, v26, v12
	v_and_b32_e32 v2, 0x2000, v30
	v_add_co_ci_u32_e32 v13, vcc_lo, v27, v13, vcc_lo
	s_mov_b32 s13, exec_lo
	ds_store_b64 v0, v[12:13] offset:784
	v_cmpx_ne_u32_e32 0, v2
	s_cbranch_execz .LBB2_85
; %bb.84:                               ;   in Loop: Header=BB2_59 Depth=2
	ds_load_b64 v[12:13], v0 offset:584
	s_waitcnt lgkmcnt(0)
	v_add_co_u32 v12, vcc_lo, v12, 1
	v_add_co_ci_u32_e32 v13, vcc_lo, 0, v13, vcc_lo
	ds_store_b64 v0, v[12:13] offset:584
.LBB2_85:                               ;   in Loop: Header=BB2_59 Depth=2
	s_or_b32 exec_lo, exec_lo, s13
	v_add_co_u32 v24, vcc_lo, v24, 2
	v_add_co_ci_u32_e32 v25, vcc_lo, 0, v25, vcc_lo
.LBB2_86:                               ;   in Loop: Header=BB2_59 Depth=2
	s_or_b32 exec_lo, exec_lo, s14
	s_and_saveexec_b32 s13, s3
	s_cbranch_execz .LBB2_108
; %bb.87:                               ;   in Loop: Header=BB2_59 Depth=2
	s_and_saveexec_b32 s14, s4
	s_delay_alu instid0(SALU_CYCLE_1)
	s_xor_b32 s14, exec_lo, s14
	s_cbranch_execz .LBB2_105
; %bb.88:                               ;   in Loop: Header=BB2_59 Depth=2
	s_and_saveexec_b32 s38, s1
	s_cbranch_execz .LBB2_104
; %bb.89:                               ;   in Loop: Header=BB2_59 Depth=2
	s_mov_b32 s40, exec_lo
	s_mov_b32 s39, exec_lo
	v_mbcnt_lo_u32_b32 v2, s40, 0
	s_waitcnt vmcnt(0) lgkmcnt(0)
	s_waitcnt_vscnt null, 0x0
	buffer_gl1_inv
	buffer_gl0_inv
	v_cmpx_eq_u32_e32 0, v2
	s_cbranch_execz .LBB2_91
; %bb.90:                               ;   in Loop: Header=BB2_59 Depth=2
	s_bcnt1_i32_b32 vcc_lo, s40
	s_delay_alu instid0(SALU_CYCLE_1)
	v_mov_b32_e32 v2, vcc_lo
	ds_add_u64 v0, v[2:3]
	s_cbranch_execz .LBB2_91
; %bb.7510:
	s_getpc_b64 s[48:49]
.Lpost_getpc19:
	s_add_u32 s48, s48, (.LBB2_7044-.Lpost_getpc19)&4294967295
	s_addc_u32 s49, s49, (.LBB2_7044-.Lpost_getpc19)>>32
	s_setpc_b64 s[48:49]
.LBB2_91:                               ;   in Loop: Header=BB2_59 Depth=2
	s_or_b32 exec_lo, exec_lo, s39
	s_cbranch_execz .LBB2_92
; %bb.7512:
	s_getpc_b64 s[48:49]
.Lpost_getpc20:
	s_add_u32 s48, s48, (.LBB2_7024-.Lpost_getpc20)&4294967295
	s_addc_u32 s49, s49, (.LBB2_7024-.Lpost_getpc20)>>32
	s_setpc_b64 s[48:49]
.LBB2_92:                               ;   in Loop: Header=BB2_59 Depth=2
	ds_load_b64 v[12:13], v0
	v_add_co_u32 v32, vcc_lo, v32, v83
	v_add_co_ci_u32_e32 v33, vcc_lo, 0, v33, vcc_lo
	s_mov_b32 s39, exec_lo
	s_waitcnt lgkmcnt(0)
	s_delay_alu instid0(VALU_DEP_1)
	v_cmpx_lt_u64_e64 v[12:13], v[32:33]
	s_cbranch_execz .LBB2_103
; %bb.93:                               ;   in Loop: Header=BB2_59 Depth=2
	s_mov_b32 s40, 0
	s_mov_b32 s43, 0
                                        ; implicit-def: $sgpr41
                                        ; implicit-def: $sgpr42
	s_branch .LBB2_95
.LBB2_94:                               ;   in Loop: Header=BB2_95 Depth=3
	s_or_b32 exec_lo, exec_lo, s45
	s_delay_alu instid0(SALU_CYCLE_1) | instskip(NEXT) | instid1(SALU_CYCLE_1)
	s_and_b32 vcc_lo, exec_lo, vcc_lo
	s_or_b32 s40, vcc_lo, s40
	s_and_not1_b32 vcc_lo, s41, exec_lo
	s_and_b32 s41, s42, exec_lo
	s_delay_alu instid0(SALU_CYCLE_1)
	s_or_b32 s41, vcc_lo, s41
	s_and_not1_b32 exec_lo, exec_lo, s40
	s_cbranch_execz .LBB2_101
.LBB2_95:                               ;   Parent Loop BB2_51 Depth=1
                                        ;     Parent Loop BB2_59 Depth=2
                                        ; =>    This Inner Loop Header: Depth=3
	s_add_i32 s43, s43, 1
                                        ; implicit-def: $sgpr45
	s_delay_alu instid0(SALU_CYCLE_1) | instskip(SKIP_1) | instid1(SALU_CYCLE_1)
	s_cmpk_lg_i32 s43, 0x2710
	s_cselect_b32 s44, -1, 0
	s_and_b32 vcc_lo, exec_lo, s44
	s_cbranch_vccz .LBB2_99
.LBB2_96:                               ;   in Loop: Header=BB2_95 Depth=3
	s_and_not1_b32 s42, s42, exec_lo
	s_and_b32 s45, s45, exec_lo
	s_mov_b32 vcc_lo, -1
	s_or_b32 s42, s42, s45
	s_and_saveexec_b32 s45, s44
	s_cbranch_execz .LBB2_94
; %bb.97:                               ;   in Loop: Header=BB2_95 Depth=3
	s_sleep 1
	s_cbranch_execz .LBB2_98
; %bb.7514:
	s_getpc_b64 s[48:49]
.Lpost_getpc21:
	s_add_u32 s48, s48, (.LBB2_7072-.Lpost_getpc21)&4294967295
	s_addc_u32 s49, s49, (.LBB2_7072-.Lpost_getpc21)>>32
	s_setpc_b64 s[48:49]
.LBB2_98:                               ;   in Loop: Header=BB2_95 Depth=3
	ds_load_b64 v[12:13], v0
	s_and_not1_b32 s42, s42, exec_lo
	s_waitcnt lgkmcnt(0)
	v_cmp_ge_u64_e32 vcc_lo, v[12:13], v[32:33]
	s_or_not1_b32 vcc_lo, vcc_lo, exec_lo
	s_branch .LBB2_94
.LBB2_99:                               ;   in Loop: Header=BB2_95 Depth=3
	s_cbranch_execz .LBB2_100
; %bb.7516:
	s_getpc_b64 s[48:49]
.Lpost_getpc22:
	s_add_u32 s48, s48, (.LBB2_7078-.Lpost_getpc22)&4294967295
	s_addc_u32 s49, s49, (.LBB2_7078-.Lpost_getpc22)>>32
	s_setpc_b64 s[48:49]
.LBB2_100:                              ;   in Loop: Header=BB2_95 Depth=3
	ds_load_b64 v[12:13], v0
	s_and_not1_b32 s44, s44, exec_lo
	s_mov_b32 s43, 0
	s_mov_b32 s45, -1
	s_waitcnt lgkmcnt(0)
	flat_load_b32 v2, v[12:13] glc
	s_waitcnt vmcnt(0) lgkmcnt(0)
	buffer_gl1_inv
	buffer_gl0_inv
	v_cmp_eq_u32_e32 vcc_lo, 0, v2
	s_and_b32 vcc_lo, vcc_lo, exec_lo
	s_delay_alu instid0(SALU_CYCLE_1)
	s_or_b32 s44, s44, vcc_lo
	s_branch .LBB2_96
.LBB2_101:                              ;   in Loop: Header=BB2_59 Depth=2
	s_or_b32 exec_lo, exec_lo, s40
	s_and_saveexec_b32 vcc_lo, s41
	s_delay_alu instid0(SALU_CYCLE_1)
	s_xor_b32 vcc_lo, exec_lo, vcc_lo
	s_cbranch_execz .LBB2_103
; %bb.102:                              ;   in Loop: Header=BB2_59 Depth=2
	ds_store_b32 v0, v119
	s_cbranch_execz .LBB2_103
; %bb.7518:
	s_getpc_b64 s[48:49]
.Lpost_getpc23:
	s_add_u32 s48, s48, (.LBB2_7288-.Lpost_getpc23)&4294967295
	s_addc_u32 s49, s49, (.LBB2_7288-.Lpost_getpc23)>>32
	s_setpc_b64 s[48:49]
.LBB2_103:                              ;   in Loop: Header=BB2_59 Depth=2
	s_or_b32 exec_lo, exec_lo, s39
	;;#ASMSTART
	s_wakeup
	;;#ASMEND
.LBB2_104:                              ;   in Loop: Header=BB2_59 Depth=2
	s_or_b32 exec_lo, exec_lo, s38
.LBB2_105:                              ;   in Loop: Header=BB2_59 Depth=2
	s_and_not1_saveexec_b32 s14, s14
	s_cbranch_execz .LBB2_107
; %bb.106:                              ;   in Loop: Header=BB2_59 Depth=2
	s_waitcnt vmcnt(0) lgkmcnt(0)
	s_waitcnt_vscnt null, 0x0
	buffer_gl1_inv
	buffer_gl0_inv
	s_barrier
.LBB2_107:                              ;   in Loop: Header=BB2_59 Depth=2
	s_or_b32 exec_lo, exec_lo, s14
.LBB2_108:                              ;   in Loop: Header=BB2_59 Depth=2
	s_delay_alu instid0(SALU_CYCLE_1)
	s_or_b32 exec_lo, exec_lo, s13
	s_cbranch_execz .LBB2_109
; %bb.7520:
	s_getpc_b64 s[48:49]
.Lpost_getpc24:
	s_add_u32 s48, s48, (.LBB2_6975-.Lpost_getpc24)&4294967295
	s_addc_u32 s49, s49, (.LBB2_6975-.Lpost_getpc24)>>32
	s_setpc_b64 s[48:49]
.LBB2_109:                              ;   in Loop: Header=BB2_59 Depth=2
	ds_load_b32 v12, v0
	v_and_b32_e32 v2, 0x4000, v30
	s_xor_b32 s13, s2, -1
	s_delay_alu instid0(VALU_DEP_1) | instskip(SKIP_1) | instid1(SALU_CYCLE_1)
	v_cmp_ne_u32_e32 vcc_lo, 0, v2
	s_and_b32 s14, s13, vcc_lo
	s_and_saveexec_b32 s13, s14
	s_cbranch_execz .LBB2_131
; %bb.110:                              ;   in Loop: Header=BB2_59 Depth=2
	s_and_saveexec_b32 s14, s4
	s_delay_alu instid0(SALU_CYCLE_1)
	s_xor_b32 s14, exec_lo, s14
	s_cbranch_execz .LBB2_128
; %bb.111:                              ;   in Loop: Header=BB2_59 Depth=2
	s_and_saveexec_b32 s38, s1
	s_cbranch_execz .LBB2_127
; %bb.112:                              ;   in Loop: Header=BB2_59 Depth=2
	s_mov_b32 s40, exec_lo
	s_mov_b32 s39, exec_lo
	v_mbcnt_lo_u32_b32 v2, s40, 0
	s_waitcnt vmcnt(0) lgkmcnt(0)
	s_waitcnt_vscnt null, 0x0
	buffer_gl1_inv
	buffer_gl0_inv
	v_cmpx_eq_u32_e32 0, v2
	s_cbranch_execz .LBB2_114
; %bb.113:                              ;   in Loop: Header=BB2_59 Depth=2
	s_bcnt1_i32_b32 vcc_lo, s40
	s_delay_alu instid0(SALU_CYCLE_1)
	v_mov_b32_e32 v2, vcc_lo
	ds_add_u64 v0, v[2:3]
	s_cbranch_execz .LBB2_114
; %bb.7522:
	s_getpc_b64 s[48:49]
.Lpost_getpc25:
	s_add_u32 s48, s48, (.LBB2_7070-.Lpost_getpc25)&4294967295
	s_addc_u32 s49, s49, (.LBB2_7070-.Lpost_getpc25)>>32
	s_setpc_b64 s[48:49]
.LBB2_114:                              ;   in Loop: Header=BB2_59 Depth=2
	s_or_b32 exec_lo, exec_lo, s39
	s_cbranch_execz .LBB2_115
; %bb.7524:
	s_getpc_b64 s[48:49]
.Lpost_getpc26:
	s_add_u32 s48, s48, (.LBB2_7058-.Lpost_getpc26)&4294967295
	s_addc_u32 s49, s49, (.LBB2_7058-.Lpost_getpc26)>>32
	s_setpc_b64 s[48:49]
.LBB2_115:                              ;   in Loop: Header=BB2_59 Depth=2
	ds_load_b64 v[13:14], v0
	v_add_co_u32 v32, vcc_lo, v32, v83
	v_add_co_ci_u32_e32 v33, vcc_lo, 0, v33, vcc_lo
	s_mov_b32 s39, exec_lo
	s_waitcnt lgkmcnt(0)
	s_delay_alu instid0(VALU_DEP_1)
	v_cmpx_lt_u64_e64 v[13:14], v[32:33]
	s_cbranch_execz .LBB2_126
; %bb.116:                              ;   in Loop: Header=BB2_59 Depth=2
	s_mov_b32 s40, 0
	s_mov_b32 s43, 0
                                        ; implicit-def: $sgpr41
                                        ; implicit-def: $sgpr42
	s_branch .LBB2_118
.LBB2_117:                              ;   in Loop: Header=BB2_118 Depth=3
	s_or_b32 exec_lo, exec_lo, s45
	s_delay_alu instid0(SALU_CYCLE_1) | instskip(NEXT) | instid1(SALU_CYCLE_1)
	s_and_b32 vcc_lo, exec_lo, vcc_lo
	s_or_b32 s40, vcc_lo, s40
	s_and_not1_b32 vcc_lo, s41, exec_lo
	s_and_b32 s41, s42, exec_lo
	s_delay_alu instid0(SALU_CYCLE_1)
	s_or_b32 s41, vcc_lo, s41
	s_and_not1_b32 exec_lo, exec_lo, s40
	s_cbranch_execz .LBB2_124
.LBB2_118:                              ;   Parent Loop BB2_51 Depth=1
                                        ;     Parent Loop BB2_59 Depth=2
                                        ; =>    This Inner Loop Header: Depth=3
	s_add_i32 s43, s43, 1
                                        ; implicit-def: $sgpr45
	s_delay_alu instid0(SALU_CYCLE_1) | instskip(SKIP_1) | instid1(SALU_CYCLE_1)
	s_cmpk_lg_i32 s43, 0x2710
	s_cselect_b32 s44, -1, 0
	s_and_b32 vcc_lo, exec_lo, s44
	s_cbranch_vccz .LBB2_122
.LBB2_119:                              ;   in Loop: Header=BB2_118 Depth=3
	s_and_not1_b32 s42, s42, exec_lo
	s_and_b32 s45, s45, exec_lo
	s_mov_b32 vcc_lo, -1
	s_or_b32 s42, s42, s45
	s_and_saveexec_b32 s45, s44
	s_cbranch_execz .LBB2_117
; %bb.120:                              ;   in Loop: Header=BB2_118 Depth=3
	s_sleep 1
	s_cbranch_execz .LBB2_121
; %bb.7526:
	s_getpc_b64 s[48:49]
.Lpost_getpc27:
	s_add_u32 s48, s48, (.LBB2_7112-.Lpost_getpc27)&4294967295
	s_addc_u32 s49, s49, (.LBB2_7112-.Lpost_getpc27)>>32
	s_setpc_b64 s[48:49]
.LBB2_121:                              ;   in Loop: Header=BB2_118 Depth=3
	ds_load_b64 v[13:14], v0
	s_and_not1_b32 s42, s42, exec_lo
	s_waitcnt lgkmcnt(0)
	v_cmp_ge_u64_e32 vcc_lo, v[13:14], v[32:33]
	s_or_not1_b32 vcc_lo, vcc_lo, exec_lo
	s_branch .LBB2_117
.LBB2_122:                              ;   in Loop: Header=BB2_118 Depth=3
	s_cbranch_execz .LBB2_123
; %bb.7528:
	s_getpc_b64 s[48:49]
.Lpost_getpc28:
	s_add_u32 s48, s48, (.LBB2_7130-.Lpost_getpc28)&4294967295
	s_addc_u32 s49, s49, (.LBB2_7130-.Lpost_getpc28)>>32
	s_setpc_b64 s[48:49]
.LBB2_123:                              ;   in Loop: Header=BB2_118 Depth=3
	ds_load_b64 v[13:14], v0
	s_and_not1_b32 s44, s44, exec_lo
	s_mov_b32 s43, 0
	s_mov_b32 s45, -1
	s_waitcnt lgkmcnt(0)
	flat_load_b32 v2, v[13:14] glc
	s_waitcnt vmcnt(0) lgkmcnt(0)
	buffer_gl1_inv
	buffer_gl0_inv
	v_cmp_eq_u32_e32 vcc_lo, 0, v2
	s_and_b32 vcc_lo, vcc_lo, exec_lo
	s_delay_alu instid0(SALU_CYCLE_1)
	s_or_b32 s44, s44, vcc_lo
	s_branch .LBB2_119
.LBB2_124:                              ;   in Loop: Header=BB2_59 Depth=2
	s_or_b32 exec_lo, exec_lo, s40
	s_and_saveexec_b32 vcc_lo, s41
	s_delay_alu instid0(SALU_CYCLE_1)
	s_xor_b32 vcc_lo, exec_lo, vcc_lo
	s_cbranch_execz .LBB2_126
; %bb.125:                              ;   in Loop: Header=BB2_59 Depth=2
	ds_store_b32 v0, v119
	s_cbranch_execz .LBB2_126
; %bb.7530:
	s_getpc_b64 s[48:49]
.Lpost_getpc29:
	s_add_u32 s48, s48, (.LBB2_7342-.Lpost_getpc29)&4294967295
	s_addc_u32 s49, s49, (.LBB2_7342-.Lpost_getpc29)>>32
	s_setpc_b64 s[48:49]
.LBB2_126:                              ;   in Loop: Header=BB2_59 Depth=2
	s_or_b32 exec_lo, exec_lo, s39
	;;#ASMSTART
	s_wakeup
	;;#ASMEND
.LBB2_127:                              ;   in Loop: Header=BB2_59 Depth=2
	s_or_b32 exec_lo, exec_lo, s38
.LBB2_128:                              ;   in Loop: Header=BB2_59 Depth=2
	s_and_not1_saveexec_b32 s14, s14
	s_cbranch_execz .LBB2_130
; %bb.129:                              ;   in Loop: Header=BB2_59 Depth=2
	s_waitcnt vmcnt(0) lgkmcnt(0)
	s_waitcnt_vscnt null, 0x0
	buffer_gl1_inv
	buffer_gl0_inv
	s_barrier
.LBB2_130:                              ;   in Loop: Header=BB2_59 Depth=2
	s_or_b32 exec_lo, exec_lo, s14
.LBB2_131:                              ;   in Loop: Header=BB2_59 Depth=2
	s_delay_alu instid0(SALU_CYCLE_1)
	s_or_b32 exec_lo, exec_lo, s13
	s_cbranch_execz .LBB2_132
; %bb.7532:
	s_getpc_b64 s[48:49]
.Lpost_getpc30:
	s_add_u32 s48, s48, (.LBB2_7001-.Lpost_getpc30)&4294967295
	s_addc_u32 s49, s49, (.LBB2_7001-.Lpost_getpc30)>>32
	s_setpc_b64 s[48:49]
.LBB2_132:                              ;   in Loop: Header=BB2_59 Depth=2
	ds_load_b64 v[13:14], v0
	v_mov_b32_e32 v9, 0
	s_waitcnt lgkmcnt(0)
	v_cmp_eq_u64_e32 vcc_lo, 0, v[13:14]
	s_or_b32 s13, vcc_lo, vcc_lo
	s_delay_alu instid0(SALU_CYCLE_1)
	s_and_b32 vcc_lo, exec_lo, s13
	s_cbranch_vccnz .LBB2_166
; %bb.133:                              ;   in Loop: Header=BB2_59 Depth=2
	s_mov_b32 s13, -1
	s_and_saveexec_b32 s14, s5
	s_cbranch_execz .LBB2_135
; %bb.134:                              ;   in Loop: Header=BB2_59 Depth=2
	ds_load_b32 v2, v0 offset:720
	s_waitcnt lgkmcnt(0)
	v_and_b32_e32 v2, 15, v2
	s_delay_alu instid0(VALU_DEP_1)
	v_cmp_eq_u32_e32 vcc_lo, 0, v2
	s_or_not1_b32 s13, vcc_lo, exec_lo
.LBB2_135:                              ;   in Loop: Header=BB2_59 Depth=2
	s_or_b32 exec_lo, exec_lo, s14
	s_and_saveexec_b32 s14, s6
	s_cbranch_execz .LBB2_137
; %bb.136:                              ;   in Loop: Header=BB2_59 Depth=2
	ds_load_b32 v2, v0 offset:784
	s_waitcnt lgkmcnt(0)
	v_and_b32_e32 v2, 15, v2
	s_delay_alu instid0(VALU_DEP_1) | instskip(SKIP_3) | instid1(SALU_CYCLE_1)
	v_cmp_eq_u32_e32 vcc_lo, 0, v2
	s_and_b32 vcc_lo, s13, vcc_lo
	s_and_not1_b32 s13, s13, exec_lo
	s_and_b32 vcc_lo, vcc_lo, exec_lo
	s_or_b32 s13, s13, vcc_lo
.LBB2_137:                              ;   in Loop: Header=BB2_59 Depth=2
	s_or_b32 exec_lo, exec_lo, s14
	v_cmp_eq_u32_e32 vcc_lo, 0, v12
	s_xor_b32 s13, s13, -1
	v_mov_b32_e32 v68, v84
	v_cndmask_b32_e64 v2, 0, 1, s13
	;;#ASMSTART
	;;#ASMEND
	v_cndmask_b32_e32 v9, 0, v8, vcc_lo
	s_delay_alu instid0(VALU_DEP_2) | instskip(SKIP_2) | instid1(VALU_DEP_3)
	v_cmp_ne_u32_e32 vcc_lo, 0, v2
	v_mov_b32_e32 v2, 0
	s_mov_b32 s13, -1
	v_dual_mov_b32 v65, v0 :: v_dual_mov_b32 v64, v9
	s_cbranch_vccnz .LBB2_153
; %bb.138:                              ;   in Loop: Header=BB2_59 Depth=2
	v_ashrrev_i32_e32 v2, 31, v9
	s_mov_b32 s14, exec_lo
	s_delay_alu instid0(VALU_DEP_1) | instskip(NEXT) | instid1(VALU_DEP_1)
	v_lshrrev_b32_e32 v2, 22, v2
	v_add_nc_u32_e32 v2, v9, v2
	s_delay_alu instid0(VALU_DEP_1) | instskip(SKIP_1) | instid1(VALU_DEP_1)
	v_ashrrev_i32_e32 v2, 10, v2
	s_waitcnt vmcnt(0)
	v_sub_nc_u32_e32 v66, v2, v84
	s_delay_alu instid0(VALU_DEP_1)
	v_cmpx_lt_i32_e32 0, v66
	s_cbranch_execz .LBB2_143
; %bb.139:                              ;   in Loop: Header=BB2_59 Depth=2
	s_cbranch_execz .LBB2_140
; %bb.7534:
	s_getpc_b64 s[48:49]
.Lpost_getpc31:
	s_add_u32 s48, s48, (.LBB2_7082-.Lpost_getpc31)&4294967295
	s_addc_u32 s49, s49, (.LBB2_7082-.Lpost_getpc31)>>32
	s_setpc_b64 s[48:49]
.LBB2_140:                              ;   in Loop: Header=BB2_59 Depth=2
	ds_load_b64 v[12:13], v0
	v_dual_mov_b32 v14, v38 :: v_dual_mov_b32 v15, v39
	s_mov_b32 s38, 0
.LBB2_141:                              ;   Parent Loop BB2_51 Depth=1
                                        ;     Parent Loop BB2_59 Depth=2
                                        ; =>    This Inner Loop Header: Depth=3
	s_waitcnt lgkmcnt(0)
	s_delay_alu instid0(VALU_DEP_1) | instskip(NEXT) | instid1(VALU_DEP_2)
	v_add_co_u32 v64, vcc_lo, v12, v14
	v_add_co_ci_u32_e32 v65, vcc_lo, v13, v15, vcc_lo
	v_sub_nc_u32_e32 v66, v66, v83
	v_add_co_u32 v14, s13, v14, v96
	s_clause 0x1
	global_load_b128 v[67:70], v[64:65], off slc dlc
	global_load_b128 v[130:133], v[64:65], off offset:512 slc dlc
	v_add_co_ci_u32_e64 v15, s13, v15, v97, s13
	v_cmp_gt_i32_e32 vcc_lo, 1, v66
	s_waitcnt vmcnt(1)
	global_store_b128 v[64:65], v[67:70], off glc slc dlc
	s_waitcnt vmcnt(0)
	global_store_b128 v[64:65], v[130:133], off offset:512 glc slc dlc
	s_or_b32 s38, vcc_lo, s38
	s_delay_alu instid0(SALU_CYCLE_1)
	s_and_not1_b32 exec_lo, exec_lo, s38
	s_cbranch_execnz .LBB2_141
; %bb.142:                              ;   in Loop: Header=BB2_59 Depth=2
	s_or_b32 exec_lo, exec_lo, s38
.LBB2_143:                              ;   in Loop: Header=BB2_59 Depth=2
	s_delay_alu instid0(SALU_CYCLE_1) | instskip(SKIP_4) | instid1(VALU_DEP_2)
	s_or_b32 exec_lo, exec_lo, s14
	v_lshlrev_b32_e32 v14, 10, v2
	v_mov_b32_e32 v2, 0
	s_mov_b32 s13, 0
	s_mov_b32 s38, exec_lo
                                        ; implicit-def: $vgpr64
                                        ; implicit-def: $vgpr65
                                        ; implicit-def: $vgpr68
	v_cmpx_ne_u32_e64 v9, v14
	s_cbranch_execz .LBB2_152
; %bb.144:                              ;   in Loop: Header=BB2_59 Depth=2
	v_lshlrev_b32_e32 v2, 5, v66
	v_sub_nc_u32_e32 v13, v9, v14
	s_mov_b32 s39, exec_lo
	s_delay_alu instid0(VALU_DEP_2) | instskip(NEXT) | instid1(VALU_DEP_2)
	v_sub_nc_u32_e32 v2, v85, v2
	v_ashrrev_i32_e32 v15, 31, v13
	s_delay_alu instid0(VALU_DEP_2) | instskip(NEXT) | instid1(VALU_DEP_2)
	v_ashrrev_i32_e32 v12, 31, v2
	v_lshrrev_b32_e32 v15, 23, v15
	s_delay_alu instid0(VALU_DEP_2) | instskip(NEXT) | instid1(VALU_DEP_2)
	v_lshrrev_b32_e32 v12, 27, v12
	v_add_nc_u32_e32 v65, v13, v15
	s_delay_alu instid0(VALU_DEP_2) | instskip(NEXT) | instid1(VALU_DEP_2)
	v_add_nc_u32_e32 v12, v2, v12
	v_and_b32_e32 v15, 0xfffffe00, v65
	v_ashrrev_i32_e32 v65, 9, v65
	s_delay_alu instid0(VALU_DEP_3) | instskip(NEXT) | instid1(VALU_DEP_3)
	v_and_b32_e32 v64, 0xffffffe0, v12
	v_sub_nc_u32_e32 v67, v13, v15
	v_ashrrev_i32_e32 v12, 5, v12
	s_delay_alu instid0(VALU_DEP_3) | instskip(NEXT) | instid1(VALU_DEP_3)
	v_sub_nc_u32_e32 v66, v2, v64
	v_cmp_lt_i32_e32 vcc_lo, 15, v67
	s_delay_alu instid0(VALU_DEP_2) | instskip(SKIP_1) | instid1(VALU_DEP_2)
	v_lshlrev_b32_e32 v2, 4, v66
	v_add_co_ci_u32_e64 v65, s13, 0, v65, vcc_lo
	v_lshl_add_u32 v64, v12, 9, v2
	s_delay_alu instid0(VALU_DEP_2) | instskip(NEXT) | instid1(VALU_DEP_2)
	v_sub_nc_u32_e32 v69, v65, v12
	v_sub_nc_u32_e32 v2, v13, v64
	s_delay_alu instid0(VALU_DEP_1)
	v_cmpx_lt_i32_e32 15, v2
	s_cbranch_execz .LBB2_149
; %bb.145:                              ;   in Loop: Header=BB2_59 Depth=2
	s_cbranch_execz .LBB2_146
; %bb.7536:
	s_getpc_b64 s[48:49]
.Lpost_getpc32:
	s_add_u32 s48, s48, (.LBB2_7148-.Lpost_getpc32)&4294967295
	s_addc_u32 s49, s49, (.LBB2_7148-.Lpost_getpc32)>>32
	s_setpc_b64 s[48:49]
.LBB2_146:                              ;   in Loop: Header=BB2_59 Depth=2
	ds_load_b64 v[12:13], v0
	v_add_nc_u32_e32 v64, v64, v14
	s_mov_b32 s40, 0
	s_delay_alu instid0(VALU_DEP_1)
	v_ashrrev_i32_e32 v65, 31, v64
.LBB2_147:                              ;   Parent Loop BB2_51 Depth=1
                                        ;     Parent Loop BB2_59 Depth=2
                                        ; =>    This Inner Loop Header: Depth=3
	s_waitcnt lgkmcnt(0)
	v_add_co_u32 v70, s13, v12, v64
	s_delay_alu instid0(VALU_DEP_1)
	v_add_co_ci_u32_e64 v71, s13, v13, v65, s13
	v_sub_nc_u32_e32 v2, v2, v86
	v_add_co_u32 v64, s14, v64, v100
	global_load_b128 v[130:133], v[70:71], off slc dlc
	v_sub_nc_u32_e32 v69, v69, v83
	v_cmp_gt_i32_e64 s13, 16, v2
	v_add_co_ci_u32_e64 v65, s14, v65, v101, s14
	s_delay_alu instid0(VALU_DEP_2)
	s_or_b32 s40, s13, s40
	s_waitcnt vmcnt(0)
	global_store_b128 v[70:71], v[130:133], off glc slc dlc
	s_and_not1_b32 exec_lo, exec_lo, s40
	s_cbranch_execnz .LBB2_147
; %bb.148:                              ;   in Loop: Header=BB2_59 Depth=2
	s_or_b32 exec_lo, exec_lo, s40
.LBB2_149:                              ;   in Loop: Header=BB2_59 Depth=2
	s_delay_alu instid0(SALU_CYCLE_1) | instskip(SKIP_4) | instid1(VALU_DEP_2)
	s_or_b32 exec_lo, exec_lo, s39
	v_and_b32_e32 v12, 15, v9
	v_mov_b32_e32 v2, 0
	s_mov_b32 s14, 0
	s_mov_b32 s39, exec_lo
                                        ; implicit-def: $vgpr65
                                        ; implicit-def: $vgpr68
	v_cndmask_b32_e32 v64, v67, v12, vcc_lo
	s_delay_alu instid0(VALU_DEP_1)
	v_cmpx_ne_u32_e32 0, v64
; %bb.150:                              ;   in Loop: Header=BB2_59 Depth=2
	v_cmp_lt_i32_e64 s13, 0, v69
	v_sub_nc_u32_e32 v12, v67, v12
	s_mov_b32 s14, exec_lo
	s_delay_alu instid0(VALU_DEP_2) | instskip(NEXT) | instid1(VALU_DEP_1)
	v_cndmask_b32_e64 v2, 0, v83, s13
	v_sub_nc_u32_e32 v2, v2, v69
	s_delay_alu instid0(VALU_DEP_1) | instskip(NEXT) | instid1(VALU_DEP_1)
	v_lshl_add_u32 v65, v2, 5, v66
	v_ashrrev_i32_e32 v2, 31, v65
	s_delay_alu instid0(VALU_DEP_1) | instskip(NEXT) | instid1(VALU_DEP_1)
	v_lshrrev_b32_e32 v2, 27, v2
	v_dual_cndmask_b32 v12, 0, v12 :: v_dual_add_nc_u32 v13, v65, v2
	s_delay_alu instid0(VALU_DEP_1) | instskip(NEXT) | instid1(VALU_DEP_2)
	v_add3_u32 v2, v15, v14, v12
	v_ashrrev_i32_e32 v68, 5, v13
; %bb.151:                              ;   in Loop: Header=BB2_59 Depth=2
	s_or_b32 exec_lo, exec_lo, s39
	s_delay_alu instid0(SALU_CYCLE_1)
	s_and_b32 s13, s14, exec_lo
.LBB2_152:                              ;   in Loop: Header=BB2_59 Depth=2
	s_or_b32 exec_lo, exec_lo, s38
.LBB2_153:                              ;   in Loop: Header=BB2_59 Depth=2
	s_and_saveexec_b32 s14, s13
	s_cbranch_execz .LBB2_165
; %bb.154:                              ;   in Loop: Header=BB2_59 Depth=2
	s_delay_alu instid0(VALU_DEP_1) | instskip(SKIP_1) | instid1(VALU_DEP_1)
	v_ashrrev_i32_e32 v12, 31, v64
	s_mov_b32 s13, exec_lo
	v_lshrrev_b32_e32 v12, 24, v12
	s_delay_alu instid0(VALU_DEP_1) | instskip(NEXT) | instid1(VALU_DEP_1)
	v_add_nc_u32_e32 v12, v64, v12
	v_ashrrev_i32_e32 v67, 8, v12
	s_waitcnt vmcnt(0)
	s_delay_alu instid0(VALU_DEP_1) | instskip(NEXT) | instid1(VALU_DEP_1)
	v_sub_nc_u32_e32 v66, v67, v68
	v_cmpx_lt_i32_e32 0, v66
	s_cbranch_execz .LBB2_159
; %bb.155:                              ;   in Loop: Header=BB2_59 Depth=2
	s_cbranch_execz .LBB2_156
; %bb.7538:
	s_getpc_b64 s[48:49]
.Lpost_getpc33:
	s_add_u32 s48, s48, (.LBB2_7076-.Lpost_getpc33)&4294967295
	s_addc_u32 s49, s49, (.LBB2_7076-.Lpost_getpc33)>>32
	s_setpc_b64 s[48:49]
.LBB2_156:                              ;   in Loop: Header=BB2_59 Depth=2
	v_ashrrev_i32_e32 v12, 31, v65
	s_mov_b32 s38, 0
	s_delay_alu instid0(VALU_DEP_1) | instskip(NEXT) | instid1(VALU_DEP_1)
	v_lshrrev_b32_e32 v12, 27, v12
	v_add_nc_u32_e32 v14, v65, v12
	ds_load_b64 v[12:13], v0
	v_lshlrev_b32_e32 v15, 8, v68
	v_and_b32_e32 v14, 0xffffffe0, v14
	s_delay_alu instid0(VALU_DEP_1) | instskip(NEXT) | instid1(VALU_DEP_1)
	v_sub_nc_u32_e32 v14, v65, v14
	v_add3_u32 v68, v2, v14, v15
	s_delay_alu instid0(VALU_DEP_1)
	v_ashrrev_i32_e32 v69, 31, v68
	s_waitcnt lgkmcnt(0)
	v_dual_mov_b32 v15, v13 :: v_dual_mov_b32 v14, v12
.LBB2_157:                              ;   Parent Loop BB2_51 Depth=1
                                        ;     Parent Loop BB2_59 Depth=2
                                        ; =>    This Inner Loop Header: Depth=3
	s_delay_alu instid0(VALU_DEP_1) | instskip(NEXT) | instid1(VALU_DEP_2)
	v_add_co_u32 v70, vcc_lo, v68, v14
	v_add_co_ci_u32_e32 v71, vcc_lo, v69, v15, vcc_lo
	v_sub_nc_u32_e32 v66, v66, v83
	s_clause 0x7
	flat_load_u8 v130, v[70:71] slc dlc
	flat_load_u8 v131, v[70:71] offset:32 slc dlc
	flat_load_u8 v132, v[70:71] offset:64 slc dlc
	;; [unrolled: 1-line block ×7, first 2 shown]
	v_add_co_u32 v70, vcc_lo, v68, v12
	v_add_co_ci_u32_e32 v71, vcc_lo, v69, v13, vcc_lo
	v_add_co_u32 v14, vcc_lo, v14, v103
	v_add_co_ci_u32_e32 v15, vcc_lo, v15, v112, vcc_lo
	;; [unrolled: 2-line block ×3, first 2 shown]
	v_cmp_gt_i32_e32 vcc_lo, 1, v66
	s_waitcnt vmcnt(7) lgkmcnt(7)
	flat_store_b8 v[70:71], v130 glc slc dlc
	s_waitcnt vmcnt(6) lgkmcnt(7)
	flat_store_b8 v[70:71], v131 offset:32 glc slc dlc
	s_waitcnt vmcnt(5) lgkmcnt(7)
	flat_store_b8 v[70:71], v132 offset:64 glc slc dlc
	s_waitcnt vmcnt(4) lgkmcnt(7)
	flat_store_b8 v[70:71], v133 offset:96 glc slc dlc
	s_waitcnt vmcnt(3) lgkmcnt(7)
	flat_store_b8 v[70:71], v134 offset:128 glc slc dlc
	s_waitcnt vmcnt(2) lgkmcnt(7)
	flat_store_b8 v[70:71], v135 offset:160 glc slc dlc
	s_waitcnt vmcnt(1) lgkmcnt(7)
	flat_store_b8 v[70:71], v144 offset:192 glc slc dlc
	s_waitcnt vmcnt(0) lgkmcnt(7)
	flat_store_b8 v[70:71], v145 offset:224 glc slc dlc
	s_or_b32 s38, vcc_lo, s38
	s_delay_alu instid0(SALU_CYCLE_1)
	s_and_not1_b32 exec_lo, exec_lo, s38
	s_cbranch_execnz .LBB2_157
; %bb.158:                              ;   in Loop: Header=BB2_59 Depth=2
	s_or_b32 exec_lo, exec_lo, s38
.LBB2_159:                              ;   in Loop: Header=BB2_59 Depth=2
	s_delay_alu instid0(SALU_CYCLE_1) | instskip(SKIP_2) | instid1(VALU_DEP_1)
	s_or_b32 exec_lo, exec_lo, s13
	v_lshlrev_b32_e32 v12, 8, v67
	s_mov_b32 s38, exec_lo
	v_cmpx_ne_u32_e64 v64, v12
	s_cbranch_execz .LBB2_164
; %bb.160:                              ;   in Loop: Header=BB2_59 Depth=2
	v_ashrrev_i32_e32 v13, 31, v65
	v_lshlrev_b32_e32 v14, 5, v66
	s_delay_alu instid0(VALU_DEP_2) | instskip(NEXT) | instid1(VALU_DEP_1)
	v_lshrrev_b32_e32 v13, 27, v13
	v_add_nc_u32_e32 v13, v65, v13
	s_delay_alu instid0(VALU_DEP_1) | instskip(NEXT) | instid1(VALU_DEP_1)
	v_and_b32_e32 v13, 0xffffffe0, v13
	v_sub_nc_u32_e32 v13, v65, v13
	s_delay_alu instid0(VALU_DEP_1) | instskip(NEXT) | instid1(VALU_DEP_1)
	v_sub_nc_u32_e32 v13, v13, v14
	v_add_nc_u32_e32 v15, v12, v13
	s_delay_alu instid0(VALU_DEP_1) | instskip(NEXT) | instid1(VALU_DEP_1)
	v_sub_nc_u32_e32 v14, v64, v15
	v_cmp_lt_i32_e32 vcc_lo, 0, v14
	s_and_b32 exec_lo, exec_lo, vcc_lo
	s_cbranch_execz .LBB2_164
; %bb.161:                              ;   in Loop: Header=BB2_59 Depth=2
	s_cbranch_execz .LBB2_162
; %bb.7540:
	s_getpc_b64 s[48:49]
.Lpost_getpc34:
	s_add_u32 s48, s48, (.LBB2_7140-.Lpost_getpc34)&4294967295
	s_addc_u32 s49, s49, (.LBB2_7140-.Lpost_getpc34)>>32
	s_setpc_b64 s[48:49]
.LBB2_162:                              ;   in Loop: Header=BB2_59 Depth=2
	ds_load_b64 v[12:13], v0
	v_add_nc_u32_e32 v2, v15, v2
	s_mov_b32 s39, 0
	s_delay_alu instid0(VALU_DEP_1)
	v_ashrrev_i32_e32 v15, 31, v2
.LBB2_163:                              ;   Parent Loop BB2_51 Depth=1
                                        ;     Parent Loop BB2_59 Depth=2
                                        ; =>    This Inner Loop Header: Depth=3
	s_waitcnt lgkmcnt(0)
	v_add_co_u32 v64, vcc_lo, v12, v2
	s_delay_alu instid0(VALU_DEP_2)
	v_add_co_ci_u32_e32 v65, vcc_lo, v13, v15, vcc_lo
	v_sub_nc_u32_e32 v14, v14, v99
	v_add_co_u32 v2, s13, v2, v114
	flat_load_u8 v66, v[64:65] slc dlc
	v_add_co_ci_u32_e64 v15, s13, v15, v115, s13
	v_cmp_gt_i32_e32 vcc_lo, 1, v14
	s_or_b32 s39, vcc_lo, s39
	s_waitcnt vmcnt(0) lgkmcnt(0)
	flat_store_b8 v[64:65], v66 glc slc dlc
	s_and_not1_b32 exec_lo, exec_lo, s39
	s_cbranch_execnz .LBB2_163
.LBB2_164:                              ;   in Loop: Header=BB2_59 Depth=2
	s_or_b32 exec_lo, exec_lo, s38
.LBB2_165:                              ;   in Loop: Header=BB2_59 Depth=2
	s_delay_alu instid0(SALU_CYCLE_1)
	s_or_b32 exec_lo, exec_lo, s14
.LBB2_166:                              ;   in Loop: Header=BB2_59 Depth=2
	s_and_saveexec_b32 s13, s3
	s_cbranch_execz .LBB2_188
; %bb.167:                              ;   in Loop: Header=BB2_59 Depth=2
	s_and_saveexec_b32 s14, s4
	s_delay_alu instid0(SALU_CYCLE_1)
	s_xor_b32 s14, exec_lo, s14
	s_cbranch_execz .LBB2_185
; %bb.168:                              ;   in Loop: Header=BB2_59 Depth=2
	s_and_saveexec_b32 s38, s1
	s_cbranch_execz .LBB2_184
; %bb.169:                              ;   in Loop: Header=BB2_59 Depth=2
	s_mov_b32 s40, exec_lo
	s_mov_b32 s39, exec_lo
	v_mbcnt_lo_u32_b32 v2, s40, 0
	s_waitcnt vmcnt(0) lgkmcnt(0)
	s_waitcnt_vscnt null, 0x0
	buffer_gl1_inv
	buffer_gl0_inv
	v_cmpx_eq_u32_e32 0, v2
	s_cbranch_execz .LBB2_171
; %bb.170:                              ;   in Loop: Header=BB2_59 Depth=2
	s_bcnt1_i32_b32 vcc_lo, s40
	s_delay_alu instid0(SALU_CYCLE_1)
	v_mov_b32_e32 v2, vcc_lo
	ds_add_u64 v0, v[2:3]
	s_cbranch_execz .LBB2_171
; %bb.7542:
	s_getpc_b64 s[48:49]
.Lpost_getpc35:
	s_add_u32 s48, s48, (.LBB2_7114-.Lpost_getpc35)&4294967295
	s_addc_u32 s49, s49, (.LBB2_7114-.Lpost_getpc35)>>32
	s_setpc_b64 s[48:49]
.LBB2_171:                              ;   in Loop: Header=BB2_59 Depth=2
	s_or_b32 exec_lo, exec_lo, s39
	s_cbranch_execz .LBB2_172
; %bb.7544:
	s_getpc_b64 s[48:49]
.Lpost_getpc36:
	s_add_u32 s48, s48, (.LBB2_7090-.Lpost_getpc36)&4294967295
	s_addc_u32 s49, s49, (.LBB2_7090-.Lpost_getpc36)>>32
	s_setpc_b64 s[48:49]
.LBB2_172:                              ;   in Loop: Header=BB2_59 Depth=2
	ds_load_b64 v[12:13], v0
	v_add_co_u32 v32, vcc_lo, v32, v83
	v_add_co_ci_u32_e32 v33, vcc_lo, 0, v33, vcc_lo
	s_mov_b32 s39, exec_lo
	s_waitcnt lgkmcnt(0)
	s_delay_alu instid0(VALU_DEP_1)
	v_cmpx_lt_u64_e64 v[12:13], v[32:33]
	s_cbranch_execz .LBB2_183
; %bb.173:                              ;   in Loop: Header=BB2_59 Depth=2
	s_mov_b32 s40, 0
	s_mov_b32 s43, 0
                                        ; implicit-def: $sgpr41
                                        ; implicit-def: $sgpr42
	s_branch .LBB2_175
.LBB2_174:                              ;   in Loop: Header=BB2_175 Depth=3
	s_or_b32 exec_lo, exec_lo, s45
	s_delay_alu instid0(SALU_CYCLE_1) | instskip(NEXT) | instid1(SALU_CYCLE_1)
	s_and_b32 vcc_lo, exec_lo, vcc_lo
	s_or_b32 s40, vcc_lo, s40
	s_and_not1_b32 vcc_lo, s41, exec_lo
	s_and_b32 s41, s42, exec_lo
	s_delay_alu instid0(SALU_CYCLE_1)
	s_or_b32 s41, vcc_lo, s41
	s_and_not1_b32 exec_lo, exec_lo, s40
	s_cbranch_execz .LBB2_181
.LBB2_175:                              ;   Parent Loop BB2_51 Depth=1
                                        ;     Parent Loop BB2_59 Depth=2
                                        ; =>    This Inner Loop Header: Depth=3
	s_add_i32 s43, s43, 1
                                        ; implicit-def: $sgpr45
	s_delay_alu instid0(SALU_CYCLE_1) | instskip(SKIP_1) | instid1(SALU_CYCLE_1)
	s_cmpk_lg_i32 s43, 0x2710
	s_cselect_b32 s44, -1, 0
	s_and_b32 vcc_lo, exec_lo, s44
	s_cbranch_vccz .LBB2_179
.LBB2_176:                              ;   in Loop: Header=BB2_175 Depth=3
	s_and_not1_b32 s42, s42, exec_lo
	s_and_b32 s45, s45, exec_lo
	s_mov_b32 vcc_lo, -1
	s_or_b32 s42, s42, s45
	s_and_saveexec_b32 s45, s44
	s_cbranch_execz .LBB2_174
; %bb.177:                              ;   in Loop: Header=BB2_175 Depth=3
	s_sleep 1
	s_cbranch_execz .LBB2_178
; %bb.7546:
	s_getpc_b64 s[48:49]
.Lpost_getpc37:
	s_add_u32 s48, s48, (.LBB2_7166-.Lpost_getpc37)&4294967295
	s_addc_u32 s49, s49, (.LBB2_7166-.Lpost_getpc37)>>32
	s_setpc_b64 s[48:49]
.LBB2_178:                              ;   in Loop: Header=BB2_175 Depth=3
	ds_load_b64 v[12:13], v0
	s_and_not1_b32 s42, s42, exec_lo
	s_waitcnt lgkmcnt(0)
	v_cmp_ge_u64_e32 vcc_lo, v[12:13], v[32:33]
	s_or_not1_b32 vcc_lo, vcc_lo, exec_lo
	s_branch .LBB2_174
.LBB2_179:                              ;   in Loop: Header=BB2_175 Depth=3
	s_cbranch_execz .LBB2_180
; %bb.7548:
	s_getpc_b64 s[48:49]
.Lpost_getpc38:
	s_add_u32 s48, s48, (.LBB2_7176-.Lpost_getpc38)&4294967295
	s_addc_u32 s49, s49, (.LBB2_7176-.Lpost_getpc38)>>32
	s_setpc_b64 s[48:49]
.LBB2_180:                              ;   in Loop: Header=BB2_175 Depth=3
	ds_load_b64 v[12:13], v0
	s_and_not1_b32 s44, s44, exec_lo
	s_mov_b32 s43, 0
	s_mov_b32 s45, -1
	s_waitcnt lgkmcnt(0)
	flat_load_b32 v2, v[12:13] glc
	s_waitcnt vmcnt(0) lgkmcnt(0)
	buffer_gl1_inv
	buffer_gl0_inv
	v_cmp_eq_u32_e32 vcc_lo, 0, v2
	s_and_b32 vcc_lo, vcc_lo, exec_lo
	s_delay_alu instid0(SALU_CYCLE_1)
	s_or_b32 s44, s44, vcc_lo
	s_branch .LBB2_176
.LBB2_181:                              ;   in Loop: Header=BB2_59 Depth=2
	s_or_b32 exec_lo, exec_lo, s40
	s_and_saveexec_b32 vcc_lo, s41
	s_delay_alu instid0(SALU_CYCLE_1)
	s_xor_b32 vcc_lo, exec_lo, vcc_lo
	s_cbranch_execz .LBB2_183
; %bb.182:                              ;   in Loop: Header=BB2_59 Depth=2
	ds_store_b32 v0, v119
	s_cbranch_execz .LBB2_183
; %bb.7550:
	s_getpc_b64 s[48:49]
.Lpost_getpc39:
	s_add_u32 s48, s48, (.LBB2_7390-.Lpost_getpc39)&4294967295
	s_addc_u32 s49, s49, (.LBB2_7390-.Lpost_getpc39)>>32
	s_setpc_b64 s[48:49]
.LBB2_183:                              ;   in Loop: Header=BB2_59 Depth=2
	s_or_b32 exec_lo, exec_lo, s39
	;;#ASMSTART
	s_wakeup
	;;#ASMEND
.LBB2_184:                              ;   in Loop: Header=BB2_59 Depth=2
	s_or_b32 exec_lo, exec_lo, s38
.LBB2_185:                              ;   in Loop: Header=BB2_59 Depth=2
	s_and_not1_saveexec_b32 s14, s14
	s_cbranch_execz .LBB2_187
; %bb.186:                              ;   in Loop: Header=BB2_59 Depth=2
	s_waitcnt vmcnt(0) lgkmcnt(0)
	s_waitcnt_vscnt null, 0x0
	buffer_gl1_inv
	buffer_gl0_inv
	s_barrier
.LBB2_187:                              ;   in Loop: Header=BB2_59 Depth=2
	s_or_b32 exec_lo, exec_lo, s14
.LBB2_188:                              ;   in Loop: Header=BB2_59 Depth=2
	s_delay_alu instid0(SALU_CYCLE_1) | instskip(SKIP_1) | instid1(SALU_CYCLE_1)
	s_or_b32 exec_lo, exec_lo, s13
                                        ; implicit-def: $vgpr2
	s_and_saveexec_b32 s13, s7
	s_xor_b32 s14, exec_lo, s13
	s_cbranch_execz .LBB2_192
; %bb.189:                              ;   in Loop: Header=BB2_59 Depth=2
	v_and_b32_e32 v2, 16, v30
	v_cmp_lt_i32_e32 vcc_lo, 0, v9
	s_delay_alu instid0(VALU_DEP_2) | instskip(SKIP_1) | instid1(VALU_DEP_2)
	v_cmp_ne_u32_e64 s13, 0, v2
	v_and_b32_e32 v2, 16, v30
	s_and_b32 vcc_lo, s13, vcc_lo
	s_delay_alu instid0(SALU_CYCLE_1)
	s_and_saveexec_b32 s13, vcc_lo
	s_cbranch_execz .LBB2_191
; %bb.190:                              ;   in Loop: Header=BB2_59 Depth=2
	v_mov_b32_e32 v2, 1
	s_waitcnt vmcnt(0) lgkmcnt(0)
	s_waitcnt_vscnt null, 0x0
	buffer_gl1_inv
	buffer_gl0_inv
.LBB2_191:                              ;   in Loop: Header=BB2_59 Depth=2
	s_or_b32 exec_lo, exec_lo, s13
.LBB2_192:                              ;   in Loop: Header=BB2_59 Depth=2
	s_and_not1_saveexec_b32 s13, s14
	s_cbranch_execz .LBB2_214
; %bb.193:                              ;   in Loop: Header=BB2_59 Depth=2
	s_and_saveexec_b32 s14, s4
	s_delay_alu instid0(SALU_CYCLE_1)
	s_xor_b32 s14, exec_lo, s14
	s_cbranch_execz .LBB2_211
; %bb.194:                              ;   in Loop: Header=BB2_59 Depth=2
	s_and_saveexec_b32 s38, s1
	s_cbranch_execz .LBB2_210
; %bb.195:                              ;   in Loop: Header=BB2_59 Depth=2
	s_mov_b32 s40, exec_lo
	s_mov_b32 s39, exec_lo
	v_mbcnt_lo_u32_b32 v2, s40, 0
	;;#ASMSTART
	s_waitcnt lgkmcnt(0) vmcnt(0)
	;;#ASMEND
	s_delay_alu instid0(VALU_DEP_1)
	v_cmpx_eq_u32_e32 0, v2
	s_cbranch_execz .LBB2_197
; %bb.196:                              ;   in Loop: Header=BB2_59 Depth=2
	s_bcnt1_i32_b32 vcc_lo, s40
	s_delay_alu instid0(SALU_CYCLE_1)
	v_mov_b32_e32 v2, vcc_lo
	ds_add_u64 v0, v[2:3]
	s_cbranch_execz .LBB2_197
; %bb.7552:
	s_getpc_b64 s[48:49]
.Lpost_getpc40:
	s_add_u32 s48, s48, (.LBB2_7122-.Lpost_getpc40)&4294967295
	s_addc_u32 s49, s49, (.LBB2_7122-.Lpost_getpc40)>>32
	s_setpc_b64 s[48:49]
.LBB2_197:                              ;   in Loop: Header=BB2_59 Depth=2
	s_or_b32 exec_lo, exec_lo, s39
	s_cbranch_execz .LBB2_198
; %bb.7554:
	s_getpc_b64 s[48:49]
.Lpost_getpc41:
	s_add_u32 s48, s48, (.LBB2_7096-.Lpost_getpc41)&4294967295
	s_addc_u32 s49, s49, (.LBB2_7096-.Lpost_getpc41)>>32
	s_setpc_b64 s[48:49]
.LBB2_198:                              ;   in Loop: Header=BB2_59 Depth=2
	ds_load_b64 v[12:13], v0
	v_add_co_u32 v32, vcc_lo, v32, v83
	v_add_co_ci_u32_e32 v33, vcc_lo, 0, v33, vcc_lo
	s_mov_b32 s39, exec_lo
	s_waitcnt lgkmcnt(0)
	s_delay_alu instid0(VALU_DEP_1)
	v_cmpx_lt_u64_e64 v[12:13], v[32:33]
	s_cbranch_execz .LBB2_209
; %bb.199:                              ;   in Loop: Header=BB2_59 Depth=2
	s_mov_b32 s40, 0
	s_mov_b32 s43, 0
                                        ; implicit-def: $sgpr41
                                        ; implicit-def: $sgpr42
	s_branch .LBB2_201
.LBB2_200:                              ;   in Loop: Header=BB2_201 Depth=3
	s_or_b32 exec_lo, exec_lo, s45
	s_delay_alu instid0(SALU_CYCLE_1) | instskip(NEXT) | instid1(SALU_CYCLE_1)
	s_and_b32 vcc_lo, exec_lo, vcc_lo
	s_or_b32 s40, vcc_lo, s40
	s_and_not1_b32 vcc_lo, s41, exec_lo
	s_and_b32 s41, s42, exec_lo
	s_delay_alu instid0(SALU_CYCLE_1)
	s_or_b32 s41, vcc_lo, s41
	s_and_not1_b32 exec_lo, exec_lo, s40
	s_cbranch_execz .LBB2_207
.LBB2_201:                              ;   Parent Loop BB2_51 Depth=1
                                        ;     Parent Loop BB2_59 Depth=2
                                        ; =>    This Inner Loop Header: Depth=3
	s_add_i32 s43, s43, 1
                                        ; implicit-def: $sgpr45
	s_delay_alu instid0(SALU_CYCLE_1) | instskip(SKIP_1) | instid1(SALU_CYCLE_1)
	s_cmpk_lg_i32 s43, 0x2710
	s_cselect_b32 s44, -1, 0
	s_and_b32 vcc_lo, exec_lo, s44
	s_cbranch_vccz .LBB2_205
.LBB2_202:                              ;   in Loop: Header=BB2_201 Depth=3
	s_and_not1_b32 s42, s42, exec_lo
	s_and_b32 s45, s45, exec_lo
	s_mov_b32 vcc_lo, -1
	s_or_b32 s42, s42, s45
	s_and_saveexec_b32 s45, s44
	s_cbranch_execz .LBB2_200
; %bb.203:                              ;   in Loop: Header=BB2_201 Depth=3
	s_sleep 1
	s_cbranch_execz .LBB2_204
; %bb.7556:
	s_getpc_b64 s[48:49]
.Lpost_getpc42:
	s_add_u32 s48, s48, (.LBB2_7170-.Lpost_getpc42)&4294967295
	s_addc_u32 s49, s49, (.LBB2_7170-.Lpost_getpc42)>>32
	s_setpc_b64 s[48:49]
.LBB2_204:                              ;   in Loop: Header=BB2_201 Depth=3
	ds_load_b64 v[12:13], v0
	s_and_not1_b32 s42, s42, exec_lo
	s_waitcnt lgkmcnt(0)
	v_cmp_ge_u64_e32 vcc_lo, v[12:13], v[32:33]
	s_or_not1_b32 vcc_lo, vcc_lo, exec_lo
	s_branch .LBB2_200
.LBB2_205:                              ;   in Loop: Header=BB2_201 Depth=3
	s_cbranch_execz .LBB2_206
; %bb.7558:
	s_getpc_b64 s[48:49]
.Lpost_getpc43:
	s_add_u32 s48, s48, (.LBB2_7188-.Lpost_getpc43)&4294967295
	s_addc_u32 s49, s49, (.LBB2_7188-.Lpost_getpc43)>>32
	s_setpc_b64 s[48:49]
.LBB2_206:                              ;   in Loop: Header=BB2_201 Depth=3
	ds_load_b64 v[12:13], v0
	s_and_not1_b32 s44, s44, exec_lo
	s_mov_b32 s43, 0
	s_mov_b32 s45, -1
	s_waitcnt lgkmcnt(0)
	s_waitcnt_vscnt null, 0x0
	flat_load_b32 v2, v[12:13] glc
	s_waitcnt vmcnt(0) lgkmcnt(0)
	buffer_gl1_inv
	buffer_gl0_inv
	v_cmp_eq_u32_e32 vcc_lo, 0, v2
	s_and_b32 vcc_lo, vcc_lo, exec_lo
	s_delay_alu instid0(SALU_CYCLE_1)
	s_or_b32 s44, s44, vcc_lo
	s_branch .LBB2_202
.LBB2_207:                              ;   in Loop: Header=BB2_59 Depth=2
	s_or_b32 exec_lo, exec_lo, s40
	s_and_saveexec_b32 vcc_lo, s41
	s_delay_alu instid0(SALU_CYCLE_1)
	s_xor_b32 vcc_lo, exec_lo, vcc_lo
	s_cbranch_execz .LBB2_209
; %bb.208:                              ;   in Loop: Header=BB2_59 Depth=2
	ds_store_b32 v0, v119
	s_cbranch_execz .LBB2_209
; %bb.7560:
	s_getpc_b64 s[48:49]
.Lpost_getpc44:
	s_add_u32 s48, s48, (.LBB2_7394-.Lpost_getpc44)&4294967295
	s_addc_u32 s49, s49, (.LBB2_7394-.Lpost_getpc44)>>32
	s_setpc_b64 s[48:49]
.LBB2_209:                              ;   in Loop: Header=BB2_59 Depth=2
	s_or_b32 exec_lo, exec_lo, s39
	;;#ASMSTART
	s_wakeup
	;;#ASMEND
.LBB2_210:                              ;   in Loop: Header=BB2_59 Depth=2
	s_or_b32 exec_lo, exec_lo, s38
.LBB2_211:                              ;   in Loop: Header=BB2_59 Depth=2
	s_and_not1_saveexec_b32 s14, s14
	s_cbranch_execz .LBB2_213
; %bb.212:                              ;   in Loop: Header=BB2_59 Depth=2
	;;#ASMSTART
	s_waitcnt lgkmcnt(0) vmcnt(0)
	;;#ASMEND
	s_waitcnt vmcnt(0) lgkmcnt(0)
	s_waitcnt_vscnt null, 0x0
	s_barrier
.LBB2_213:                              ;   in Loop: Header=BB2_59 Depth=2
	s_or_b32 exec_lo, exec_lo, s14
	v_and_b32_e32 v2, 16, v30
.LBB2_214:                              ;   in Loop: Header=BB2_59 Depth=2
	s_or_b32 exec_lo, exec_lo, s13
	s_delay_alu instid0(SALU_CYCLE_1) | instskip(NEXT) | instid1(VALU_DEP_1)
	s_mov_b32 s13, exec_lo
	v_cmpx_ne_u32_e32 0, v2
	s_cbranch_execz .LBB2_218
; %bb.215:                              ;   in Loop: Header=BB2_59 Depth=2
	s_and_saveexec_b32 s14, s11
	s_cbranch_execz .LBB2_217
; %bb.216:                              ;   in Loop: Header=BB2_59 Depth=2
	s_waitcnt lgkmcnt(0)
	s_waitcnt_vscnt null, 0x0
	flat_store_b32 v[28:29], v119
.LBB2_217:                              ;   in Loop: Header=BB2_59 Depth=2
	s_or_b32 exec_lo, exec_lo, s14
	v_add_co_u32 v24, vcc_lo, v24, 2
	v_add_co_ci_u32_e32 v25, vcc_lo, 0, v25, vcc_lo
	s_waitcnt lgkmcnt(0)
	s_waitcnt_vscnt null, 0x0
	flat_store_b64 v[22:23], v[24:25]
.LBB2_218:                              ;   in Loop: Header=BB2_59 Depth=2
	s_or_b32 exec_lo, exec_lo, s13
	v_dual_mov_b32 v2, s37 :: v_dual_add_nc_u32 v55, v8, v55
	s_xor_b32 s13, s17, -1
	s_mov_b32 s17, 0
	s_mov_b32 s37, 2
	s_delay_alu instid0(VALU_DEP_1) | instskip(SKIP_1) | instid1(SALU_CYCLE_1)
	v_cmp_ge_i32_e32 vcc_lo, v55, v54
	s_or_b32 s13, s13, vcc_lo
	s_and_b32 s13, exec_lo, s13
	s_delay_alu instid0(SALU_CYCLE_1) | instskip(NEXT) | instid1(SALU_CYCLE_1)
	s_or_b32 s16, s13, s16
	s_and_not1_b32 exec_lo, exec_lo, s16
	s_cbranch_execnz .LBB2_59
; %bb.219:                              ;   in Loop: Header=BB2_51 Depth=1
	s_or_b32 exec_lo, exec_lo, s16
.LBB2_220:                              ;   in Loop: Header=BB2_51 Depth=1
	s_delay_alu instid0(SALU_CYCLE_1) | instskip(NEXT) | instid1(SALU_CYCLE_1)
	s_or_b32 exec_lo, exec_lo, s15
	s_mov_b32 s14, exec_lo
	v_cmpx_gt_i32_e32 2, v2
	s_cbranch_execz .LBB2_301
; %bb.221:                              ;   in Loop: Header=BB2_51 Depth=1
	v_cmp_eq_u32_e64 s13, 0, v2
	s_mov_b32 s15, 0
.LBB2_222:                              ;   Parent Loop BB2_51 Depth=1
                                        ; =>  This Loop Header: Depth=2
                                        ;       Child Loop BB2_228 Depth 3
                                        ;       Child Loop BB2_255 Depth 3
	;; [unrolled: 1-line block ×3, first 2 shown]
	v_and_b32_e32 v2, 8, v30
	s_mov_b32 s17, -1
	s_mov_b32 s16, exec_lo
	s_delay_alu instid0(VALU_DEP_1)
	v_cmpx_ne_u32_e32 0, v2
	s_cbranch_execz .LBB2_236
; %bb.223:                              ;   in Loop: Header=BB2_222 Depth=2
	v_add_co_u32 v11, vcc_lo, v34, 8
	v_add_co_ci_u32_e32 v12, vcc_lo, 0, v35, vcc_lo
	v_add_co_u32 v9, vcc_lo, v24, 2
	v_add_co_ci_u32_e32 v10, vcc_lo, 0, v25, vcc_lo
	v_mov_b32_e32 v2, 1
	s_mov_b32 s17, exec_lo
	s_delay_alu instid0(VALU_DEP_2)
	v_cmpx_lt_u64_e64 v[11:12], v[9:10]
	s_cbranch_execz .LBB2_235
; %bb.224:                              ;   in Loop: Header=BB2_222 Depth=2
	v_mov_b32_e32 v2, 0
	s_mov_b32 s37, 0
                                        ; implicit-def: $sgpr38
	s_branch .LBB2_228
.LBB2_225:                              ;   in Loop: Header=BB2_228 Depth=3
	s_or_b32 exec_lo, exec_lo, s42
	v_mov_b32_e32 v11, 0
	s_or_not1_b32 s41, s41, exec_lo
.LBB2_226:                              ;   in Loop: Header=BB2_228 Depth=3
	s_or_b32 exec_lo, exec_lo, s40
	s_delay_alu instid0(VALU_DEP_1) | instskip(SKIP_2) | instid1(SALU_CYCLE_1)
	v_mov_b32_e32 v2, v11
	s_and_not1_b32 vcc_lo, s38, exec_lo
	s_and_b32 s38, s41, exec_lo
	s_or_b32 s38, vcc_lo, s38
.LBB2_227:                              ;   in Loop: Header=BB2_228 Depth=3
	s_or_b32 exec_lo, exec_lo, s39
	s_waitcnt vmcnt(0) lgkmcnt(0)
	v_add_co_u32 v11, vcc_lo, v34, 8
	v_add_co_ci_u32_e32 v12, vcc_lo, 0, v35, vcc_lo
	s_xor_b32 s39, s38, -1
	s_delay_alu instid0(VALU_DEP_1) | instskip(SKIP_1) | instid1(SALU_CYCLE_1)
	v_cmp_ge_u64_e32 vcc_lo, v[11:12], v[9:10]
	s_or_b32 vcc_lo, s39, vcc_lo
	s_and_b32 vcc_lo, exec_lo, vcc_lo
	s_delay_alu instid0(SALU_CYCLE_1) | instskip(NEXT) | instid1(SALU_CYCLE_1)
	s_or_b32 s37, vcc_lo, s37
	s_and_not1_b32 exec_lo, exec_lo, s37
	s_cbranch_execz .LBB2_234
.LBB2_228:                              ;   Parent Loop BB2_51 Depth=1
                                        ;     Parent Loop BB2_222 Depth=2
                                        ; =>    This Inner Loop Header: Depth=3
	s_sleep 1
	flat_load_b64 v[34:35], v[22:23] glc
	v_and_b32_e32 v11, 64, v30
	s_and_not1_b32 s38, s38, exec_lo
	s_mov_b32 s39, exec_lo
	s_delay_alu instid0(VALU_DEP_1)
	v_cmpx_eq_u32_e32 0, v11
	s_cbranch_execz .LBB2_227
; %bb.229:                              ;   in Loop: Header=BB2_228 Depth=3
	v_add_nc_u32_e32 v11, 1, v2
	s_mov_b32 s41, -1
	s_mov_b32 s40, exec_lo
	v_cmpx_lt_i32_e32 0x270e, v2
	s_cbranch_execz .LBB2_226
; %bb.230:                              ;   in Loop: Header=BB2_228 Depth=3
	s_cbranch_execz .LBB2_231
; %bb.7562:
	s_getpc_b64 s[48:49]
.Lpost_getpc45:
	s_add_u32 s48, s48, (.LBB2_6995-.Lpost_getpc45)&4294967295
	s_addc_u32 s49, s49, (.LBB2_6995-.Lpost_getpc45)>>32
	s_setpc_b64 s[48:49]
.LBB2_231:                              ;   in Loop: Header=BB2_228 Depth=3
	ds_load_b64 v[11:12], v0
	s_mov_b32 s42, exec_lo
	s_waitcnt vmcnt(0) lgkmcnt(0)
	s_waitcnt_vscnt null, 0x0
	flat_load_b32 v2, v[11:12] glc
	s_waitcnt vmcnt(0) lgkmcnt(0)
	buffer_gl1_inv
	buffer_gl0_inv
	v_cmpx_ne_u32_e32 0, v2
	s_cbranch_execz .LBB2_225
; %bb.232:                              ;   in Loop: Header=BB2_228 Depth=3
	ds_store_b32 v0, v2
	s_cbranch_execz .LBB2_233
; %bb.7564:
	s_getpc_b64 s[48:49]
.Lpost_getpc46:
	s_add_u32 s48, s48, (.LBB2_7007-.Lpost_getpc46)&4294967295
	s_addc_u32 s49, s49, (.LBB2_7007-.Lpost_getpc46)>>32
	s_setpc_b64 s[48:49]
.LBB2_233:                              ;   in Loop: Header=BB2_228 Depth=3
	v_or_b32_e32 v30, 64, v30
	s_xor_b32 s41, exec_lo, -1
	s_branch .LBB2_225
.LBB2_234:                              ;   in Loop: Header=BB2_222 Depth=2
	s_or_b32 exec_lo, exec_lo, s37
	v_and_b32_e32 v2, 8, v30
.LBB2_235:                              ;   in Loop: Header=BB2_222 Depth=2
	s_or_b32 exec_lo, exec_lo, s17
	s_delay_alu instid0(VALU_DEP_1)
	v_cmp_eq_u32_e32 vcc_lo, 0, v2
	;;#ASMSTART
	s_wakeup
	;;#ASMEND
	s_or_not1_b32 s17, vcc_lo, exec_lo
.LBB2_236:                              ;   in Loop: Header=BB2_222 Depth=2
	s_or_b32 exec_lo, exec_lo, s16
	v_sub_nc_u32_e32 v2, v54, v55
	s_xor_b32 s13, s13, -1
	s_delay_alu instid0(SALU_CYCLE_1) | instskip(NEXT) | instid1(SALU_CYCLE_1)
	s_and_b32 s13, exec_lo, s13
	s_or_b32 s15, s13, s15
	s_delay_alu instid0(VALU_DEP_1) | instskip(SKIP_1) | instid1(SALU_CYCLE_1)
	v_min_i32_e32 v8, v8, v2
	s_xor_b32 s13, s17, -1
	s_and_saveexec_b32 s16, s13
	s_cbranch_execz .LBB2_246
; %bb.237:                              ;   in Loop: Header=BB2_222 Depth=2
	v_and_b32_e32 v2, 0x100, v30
	s_mov_b32 s13, -1
                                        ; implicit-def: $vgpr9_vgpr10
	s_delay_alu instid0(VALU_DEP_1)
	v_cmp_ne_u32_e32 vcc_lo, 0, v2
	v_and_b32_e32 v2, 7, v24
	s_and_saveexec_b32 s17, vcc_lo
	s_cbranch_execz .LBB2_241
; %bb.238:                              ;   in Loop: Header=BB2_222 Depth=2
	s_delay_alu instid0(VALU_DEP_1)
	v_mad_u64_u32 v[11:12], null, v2, 24, v[6:7]
	v_ashrrev_i32_e32 v9, 31, v8
	flat_load_b32 v10, v[11:12]
	flat_store_b64 v[11:12], v[8:9] offset:8
	s_waitcnt vmcnt(0) lgkmcnt(1)
	v_cmp_ne_u32_e32 vcc_lo, 1, v10
	v_cmp_eq_u32_e64 s13, 1, v10
                                        ; implicit-def: $vgpr9_vgpr10
	s_delay_alu instid0(VALU_DEP_1)
	s_and_saveexec_b32 s37, s13
	s_cbranch_execz .LBB2_240
; %bb.239:                              ;   in Loop: Header=BB2_222 Depth=2
	flat_load_b32 v9, v[11:12] offset:4 glc
	s_waitcnt vmcnt(0) lgkmcnt(0)
	v_ashrrev_i32_e32 v10, 31, v9
.LBB2_240:                              ;   in Loop: Header=BB2_222 Depth=2
	s_or_b32 exec_lo, exec_lo, s37
	s_delay_alu instid0(SALU_CYCLE_1)
	s_or_not1_b32 s13, vcc_lo, exec_lo
.LBB2_241:                              ;   in Loop: Header=BB2_222 Depth=2
	s_or_b32 exec_lo, exec_lo, s17
	s_and_saveexec_b32 s17, s13
; %bb.242:                              ;   in Loop: Header=BB2_222 Depth=2
	v_mad_i64_i32 v[9:10], null, v2, v80, 0
; %bb.243:                              ;   in Loop: Header=BB2_222 Depth=2
	s_or_b32 exec_lo, exec_lo, s17
	s_delay_alu instid0(VALU_DEP_1) | instskip(SKIP_1) | instid1(VALU_DEP_3)
	v_add_co_u32 v9, vcc_lo, v26, v9
	v_and_b32_e32 v2, 0x2000, v30
	v_add_co_ci_u32_e32 v10, vcc_lo, v27, v10, vcc_lo
	s_mov_b32 s13, exec_lo
	ds_store_b64 v0, v[9:10] offset:784
	v_cmpx_ne_u32_e32 0, v2
	s_cbranch_execz .LBB2_245
; %bb.244:                              ;   in Loop: Header=BB2_222 Depth=2
	ds_load_b64 v[9:10], v0 offset:584
	s_waitcnt lgkmcnt(0)
	v_add_co_u32 v9, vcc_lo, v9, 1
	v_add_co_ci_u32_e32 v10, vcc_lo, 0, v10, vcc_lo
	ds_store_b64 v0, v[9:10] offset:584
.LBB2_245:                              ;   in Loop: Header=BB2_222 Depth=2
	s_or_b32 exec_lo, exec_lo, s13
	v_add_co_u32 v24, vcc_lo, v24, 2
	v_add_co_ci_u32_e32 v25, vcc_lo, 0, v25, vcc_lo
.LBB2_246:                              ;   in Loop: Header=BB2_222 Depth=2
	s_or_b32 exec_lo, exec_lo, s16
	s_and_saveexec_b32 s13, s3
	s_cbranch_execz .LBB2_268
; %bb.247:                              ;   in Loop: Header=BB2_222 Depth=2
	s_and_saveexec_b32 s16, s4
	s_delay_alu instid0(SALU_CYCLE_1)
	s_xor_b32 s16, exec_lo, s16
	s_cbranch_execz .LBB2_265
; %bb.248:                              ;   in Loop: Header=BB2_222 Depth=2
	s_and_saveexec_b32 s17, s1
	s_cbranch_execz .LBB2_264
; %bb.249:                              ;   in Loop: Header=BB2_222 Depth=2
	s_mov_b32 s38, exec_lo
	s_mov_b32 s37, exec_lo
	v_mbcnt_lo_u32_b32 v2, s38, 0
	s_waitcnt vmcnt(0) lgkmcnt(0)
	s_waitcnt_vscnt null, 0x0
	buffer_gl1_inv
	buffer_gl0_inv
	v_cmpx_eq_u32_e32 0, v2
	s_cbranch_execz .LBB2_251
; %bb.250:                              ;   in Loop: Header=BB2_222 Depth=2
	s_bcnt1_i32_b32 vcc_lo, s38
	s_delay_alu instid0(SALU_CYCLE_1)
	v_mov_b32_e32 v2, vcc_lo
	ds_add_u64 v0, v[2:3]
	s_cbranch_execz .LBB2_251
; %bb.7566:
	s_getpc_b64 s[48:49]
.Lpost_getpc47:
	s_add_u32 s48, s48, (.LBB2_7038-.Lpost_getpc47)&4294967295
	s_addc_u32 s49, s49, (.LBB2_7038-.Lpost_getpc47)>>32
	s_setpc_b64 s[48:49]
.LBB2_251:                              ;   in Loop: Header=BB2_222 Depth=2
	s_or_b32 exec_lo, exec_lo, s37
	s_cbranch_execz .LBB2_252
; %bb.7568:
	s_getpc_b64 s[48:49]
.Lpost_getpc48:
	s_add_u32 s48, s48, (.LBB2_7020-.Lpost_getpc48)&4294967295
	s_addc_u32 s49, s49, (.LBB2_7020-.Lpost_getpc48)>>32
	s_setpc_b64 s[48:49]
.LBB2_252:                              ;   in Loop: Header=BB2_222 Depth=2
	ds_load_b64 v[9:10], v0
	v_add_co_u32 v32, vcc_lo, v32, v83
	v_add_co_ci_u32_e32 v33, vcc_lo, 0, v33, vcc_lo
	s_mov_b32 s37, exec_lo
	s_waitcnt lgkmcnt(0)
	s_delay_alu instid0(VALU_DEP_1)
	v_cmpx_lt_u64_e64 v[9:10], v[32:33]
	s_cbranch_execz .LBB2_263
; %bb.253:                              ;   in Loop: Header=BB2_222 Depth=2
	s_mov_b32 s38, 0
	s_mov_b32 s41, 0
                                        ; implicit-def: $sgpr39
                                        ; implicit-def: $sgpr40
	s_branch .LBB2_255
.LBB2_254:                              ;   in Loop: Header=BB2_255 Depth=3
	s_or_b32 exec_lo, exec_lo, s43
	s_delay_alu instid0(SALU_CYCLE_1) | instskip(NEXT) | instid1(SALU_CYCLE_1)
	s_and_b32 vcc_lo, exec_lo, vcc_lo
	s_or_b32 s38, vcc_lo, s38
	s_and_not1_b32 vcc_lo, s39, exec_lo
	s_and_b32 s39, s40, exec_lo
	s_delay_alu instid0(SALU_CYCLE_1)
	s_or_b32 s39, vcc_lo, s39
	s_and_not1_b32 exec_lo, exec_lo, s38
	s_cbranch_execz .LBB2_261
.LBB2_255:                              ;   Parent Loop BB2_51 Depth=1
                                        ;     Parent Loop BB2_222 Depth=2
                                        ; =>    This Inner Loop Header: Depth=3
	s_add_i32 s41, s41, 1
                                        ; implicit-def: $sgpr43
	s_delay_alu instid0(SALU_CYCLE_1) | instskip(SKIP_1) | instid1(SALU_CYCLE_1)
	s_cmpk_lg_i32 s41, 0x2710
	s_cselect_b32 s42, -1, 0
	s_and_b32 vcc_lo, exec_lo, s42
	s_cbranch_vccz .LBB2_259
.LBB2_256:                              ;   in Loop: Header=BB2_255 Depth=3
	s_and_not1_b32 s40, s40, exec_lo
	s_and_b32 s43, s43, exec_lo
	s_mov_b32 vcc_lo, -1
	s_or_b32 s40, s40, s43
	s_and_saveexec_b32 s43, s42
	s_cbranch_execz .LBB2_254
; %bb.257:                              ;   in Loop: Header=BB2_255 Depth=3
	s_sleep 1
	s_cbranch_execz .LBB2_258
; %bb.7570:
	s_getpc_b64 s[48:49]
.Lpost_getpc49:
	s_add_u32 s48, s48, (.LBB2_7068-.Lpost_getpc49)&4294967295
	s_addc_u32 s49, s49, (.LBB2_7068-.Lpost_getpc49)>>32
	s_setpc_b64 s[48:49]
.LBB2_258:                              ;   in Loop: Header=BB2_255 Depth=3
	ds_load_b64 v[9:10], v0
	s_and_not1_b32 s40, s40, exec_lo
	s_waitcnt lgkmcnt(0)
	v_cmp_ge_u64_e32 vcc_lo, v[9:10], v[32:33]
	s_or_not1_b32 vcc_lo, vcc_lo, exec_lo
	s_branch .LBB2_254
.LBB2_259:                              ;   in Loop: Header=BB2_255 Depth=3
	s_cbranch_execz .LBB2_260
; %bb.7572:
	s_getpc_b64 s[48:49]
.Lpost_getpc50:
	s_add_u32 s48, s48, (.LBB2_7074-.Lpost_getpc50)&4294967295
	s_addc_u32 s49, s49, (.LBB2_7074-.Lpost_getpc50)>>32
	s_setpc_b64 s[48:49]
.LBB2_260:                              ;   in Loop: Header=BB2_255 Depth=3
	ds_load_b64 v[9:10], v0
	s_and_not1_b32 s42, s42, exec_lo
	s_mov_b32 s41, 0
	s_mov_b32 s43, -1
	s_waitcnt lgkmcnt(0)
	flat_load_b32 v2, v[9:10] glc
	s_waitcnt vmcnt(0) lgkmcnt(0)
	buffer_gl1_inv
	buffer_gl0_inv
	v_cmp_eq_u32_e32 vcc_lo, 0, v2
	s_and_b32 vcc_lo, vcc_lo, exec_lo
	s_delay_alu instid0(SALU_CYCLE_1)
	s_or_b32 s42, s42, vcc_lo
	s_branch .LBB2_256
.LBB2_261:                              ;   in Loop: Header=BB2_222 Depth=2
	s_or_b32 exec_lo, exec_lo, s38
	s_and_saveexec_b32 vcc_lo, s39
	s_delay_alu instid0(SALU_CYCLE_1)
	s_xor_b32 vcc_lo, exec_lo, vcc_lo
	s_cbranch_execz .LBB2_263
; %bb.262:                              ;   in Loop: Header=BB2_222 Depth=2
	ds_store_b32 v0, v119
	s_cbranch_execz .LBB2_263
; %bb.7574:
	s_getpc_b64 s[48:49]
.Lpost_getpc51:
	s_add_u32 s48, s48, (.LBB2_7282-.Lpost_getpc51)&4294967295
	s_addc_u32 s49, s49, (.LBB2_7282-.Lpost_getpc51)>>32
	s_setpc_b64 s[48:49]
.LBB2_263:                              ;   in Loop: Header=BB2_222 Depth=2
	s_or_b32 exec_lo, exec_lo, s37
	;;#ASMSTART
	s_wakeup
	;;#ASMEND
.LBB2_264:                              ;   in Loop: Header=BB2_222 Depth=2
	s_or_b32 exec_lo, exec_lo, s17
.LBB2_265:                              ;   in Loop: Header=BB2_222 Depth=2
	s_and_not1_saveexec_b32 s16, s16
	s_cbranch_execz .LBB2_267
; %bb.266:                              ;   in Loop: Header=BB2_222 Depth=2
	s_waitcnt vmcnt(0) lgkmcnt(0)
	s_waitcnt_vscnt null, 0x0
	buffer_gl1_inv
	buffer_gl0_inv
	s_barrier
.LBB2_267:                              ;   in Loop: Header=BB2_222 Depth=2
	s_or_b32 exec_lo, exec_lo, s16
.LBB2_268:                              ;   in Loop: Header=BB2_222 Depth=2
	s_delay_alu instid0(SALU_CYCLE_1) | instskip(SKIP_1) | instid1(SALU_CYCLE_1)
	s_or_b32 exec_lo, exec_lo, s13
                                        ; implicit-def: $vgpr2
	s_and_saveexec_b32 s13, s7
	s_xor_b32 s16, exec_lo, s13
	s_cbranch_execz .LBB2_273
; %bb.269:                              ;   in Loop: Header=BB2_222 Depth=2
	s_cbranch_execz .LBB2_270
; %bb.7576:
	s_getpc_b64 s[48:49]
.Lpost_getpc52:
	s_add_u32 s48, s48, (.LBB2_6993-.Lpost_getpc52)&4294967295
	s_addc_u32 s49, s49, (.LBB2_6993-.Lpost_getpc52)>>32
	s_setpc_b64 s[48:49]
.LBB2_270:                              ;   in Loop: Header=BB2_222 Depth=2
	ds_load_b32 v2, v0
	v_cmp_lt_i32_e32 vcc_lo, 0, v8
	s_waitcnt lgkmcnt(0)
	v_readfirstlane_b32 s13, v2
	v_and_b32_e32 v2, 16, v30
	s_delay_alu instid0(VALU_DEP_2) | instskip(NEXT) | instid1(VALU_DEP_1)
	s_cmp_eq_u32 s13, 0
	v_cmp_ne_u32_e64 s13, 0, v2
	s_cselect_b32 s17, -1, 0
	v_and_b32_e32 v2, 16, v30
	s_and_b32 s17, vcc_lo, s17
	s_delay_alu instid0(VALU_DEP_2) | instid1(SALU_CYCLE_1)
	s_and_b32 s17, s13, s17
	s_delay_alu instid0(SALU_CYCLE_1)
	s_and_saveexec_b32 s13, s17
	s_cbranch_execz .LBB2_272
; %bb.271:                              ;   in Loop: Header=BB2_222 Depth=2
	v_mov_b32_e32 v2, 1
	s_waitcnt_vscnt null, 0x0
	s_waitcnt vmcnt(0)
	buffer_gl1_inv
	buffer_gl0_inv
.LBB2_272:                              ;   in Loop: Header=BB2_222 Depth=2
	s_or_b32 exec_lo, exec_lo, s13
.LBB2_273:                              ;   in Loop: Header=BB2_222 Depth=2
	s_and_not1_saveexec_b32 s13, s16
	s_cbranch_execz .LBB2_295
; %bb.274:                              ;   in Loop: Header=BB2_222 Depth=2
	s_and_saveexec_b32 s16, s4
	s_delay_alu instid0(SALU_CYCLE_1)
	s_xor_b32 s16, exec_lo, s16
	s_cbranch_execz .LBB2_292
; %bb.275:                              ;   in Loop: Header=BB2_222 Depth=2
	s_and_saveexec_b32 s17, s1
	s_cbranch_execz .LBB2_291
; %bb.276:                              ;   in Loop: Header=BB2_222 Depth=2
	s_mov_b32 s38, exec_lo
	s_mov_b32 s37, exec_lo
	v_mbcnt_lo_u32_b32 v2, s38, 0
	;;#ASMSTART
	s_waitcnt lgkmcnt(0) vmcnt(0)
	;;#ASMEND
	s_delay_alu instid0(VALU_DEP_1)
	v_cmpx_eq_u32_e32 0, v2
	s_cbranch_execz .LBB2_278
; %bb.277:                              ;   in Loop: Header=BB2_222 Depth=2
	s_bcnt1_i32_b32 vcc_lo, s38
	s_delay_alu instid0(SALU_CYCLE_1)
	v_mov_b32_e32 v2, vcc_lo
	ds_add_u64 v0, v[2:3]
	s_cbranch_execz .LBB2_278
; %bb.7578:
	s_getpc_b64 s[48:49]
.Lpost_getpc53:
	s_add_u32 s48, s48, (.LBB2_7056-.Lpost_getpc53)&4294967295
	s_addc_u32 s49, s49, (.LBB2_7056-.Lpost_getpc53)>>32
	s_setpc_b64 s[48:49]
.LBB2_278:                              ;   in Loop: Header=BB2_222 Depth=2
	s_or_b32 exec_lo, exec_lo, s37
	s_cbranch_execz .LBB2_279
; %bb.7580:
	s_getpc_b64 s[48:49]
.Lpost_getpc54:
	s_add_u32 s48, s48, (.LBB2_7034-.Lpost_getpc54)&4294967295
	s_addc_u32 s49, s49, (.LBB2_7034-.Lpost_getpc54)>>32
	s_setpc_b64 s[48:49]
.LBB2_279:                              ;   in Loop: Header=BB2_222 Depth=2
	ds_load_b64 v[9:10], v0
	v_add_co_u32 v32, vcc_lo, v32, v83
	v_add_co_ci_u32_e32 v33, vcc_lo, 0, v33, vcc_lo
	s_mov_b32 s37, exec_lo
	s_waitcnt lgkmcnt(0)
	s_delay_alu instid0(VALU_DEP_1)
	v_cmpx_lt_u64_e64 v[9:10], v[32:33]
	s_cbranch_execz .LBB2_290
; %bb.280:                              ;   in Loop: Header=BB2_222 Depth=2
	s_mov_b32 s38, 0
	s_mov_b32 s41, 0
                                        ; implicit-def: $sgpr39
                                        ; implicit-def: $sgpr40
	s_branch .LBB2_282
.LBB2_281:                              ;   in Loop: Header=BB2_282 Depth=3
	s_or_b32 exec_lo, exec_lo, s43
	s_delay_alu instid0(SALU_CYCLE_1) | instskip(NEXT) | instid1(SALU_CYCLE_1)
	s_and_b32 vcc_lo, exec_lo, vcc_lo
	s_or_b32 s38, vcc_lo, s38
	s_and_not1_b32 vcc_lo, s39, exec_lo
	s_and_b32 s39, s40, exec_lo
	s_delay_alu instid0(SALU_CYCLE_1)
	s_or_b32 s39, vcc_lo, s39
	s_and_not1_b32 exec_lo, exec_lo, s38
	s_cbranch_execz .LBB2_288
.LBB2_282:                              ;   Parent Loop BB2_51 Depth=1
                                        ;     Parent Loop BB2_222 Depth=2
                                        ; =>    This Inner Loop Header: Depth=3
	s_add_i32 s41, s41, 1
                                        ; implicit-def: $sgpr43
	s_delay_alu instid0(SALU_CYCLE_1) | instskip(SKIP_1) | instid1(SALU_CYCLE_1)
	s_cmpk_lg_i32 s41, 0x2710
	s_cselect_b32 s42, -1, 0
	s_and_b32 vcc_lo, exec_lo, s42
	s_cbranch_vccz .LBB2_286
.LBB2_283:                              ;   in Loop: Header=BB2_282 Depth=3
	s_and_not1_b32 s40, s40, exec_lo
	s_and_b32 s43, s43, exec_lo
	s_mov_b32 vcc_lo, -1
	s_or_b32 s40, s40, s43
	s_and_saveexec_b32 s43, s42
	s_cbranch_execz .LBB2_281
; %bb.284:                              ;   in Loop: Header=BB2_282 Depth=3
	s_sleep 1
	s_cbranch_execz .LBB2_285
; %bb.7582:
	s_getpc_b64 s[48:49]
.Lpost_getpc55:
	s_add_u32 s48, s48, (.LBB2_7080-.Lpost_getpc55)&4294967295
	s_addc_u32 s49, s49, (.LBB2_7080-.Lpost_getpc55)>>32
	s_setpc_b64 s[48:49]
.LBB2_285:                              ;   in Loop: Header=BB2_282 Depth=3
	ds_load_b64 v[9:10], v0
	s_and_not1_b32 s40, s40, exec_lo
	s_waitcnt lgkmcnt(0)
	v_cmp_ge_u64_e32 vcc_lo, v[9:10], v[32:33]
	s_or_not1_b32 vcc_lo, vcc_lo, exec_lo
	s_branch .LBB2_281
.LBB2_286:                              ;   in Loop: Header=BB2_282 Depth=3
	s_cbranch_execz .LBB2_287
; %bb.7584:
	s_getpc_b64 s[48:49]
.Lpost_getpc56:
	s_add_u32 s48, s48, (.LBB2_7092-.Lpost_getpc56)&4294967295
	s_addc_u32 s49, s49, (.LBB2_7092-.Lpost_getpc56)>>32
	s_setpc_b64 s[48:49]
.LBB2_287:                              ;   in Loop: Header=BB2_282 Depth=3
	ds_load_b64 v[9:10], v0
	s_and_not1_b32 s42, s42, exec_lo
	s_mov_b32 s41, 0
	s_mov_b32 s43, -1
	s_waitcnt lgkmcnt(0)
	s_waitcnt_vscnt null, 0x0
	flat_load_b32 v2, v[9:10] glc
	s_waitcnt vmcnt(0) lgkmcnt(0)
	buffer_gl1_inv
	buffer_gl0_inv
	v_cmp_eq_u32_e32 vcc_lo, 0, v2
	s_and_b32 vcc_lo, vcc_lo, exec_lo
	s_delay_alu instid0(SALU_CYCLE_1)
	s_or_b32 s42, s42, vcc_lo
	s_branch .LBB2_283
.LBB2_288:                              ;   in Loop: Header=BB2_222 Depth=2
	s_or_b32 exec_lo, exec_lo, s38
	s_and_saveexec_b32 vcc_lo, s39
	s_delay_alu instid0(SALU_CYCLE_1)
	s_xor_b32 vcc_lo, exec_lo, vcc_lo
	s_cbranch_execz .LBB2_290
; %bb.289:                              ;   in Loop: Header=BB2_222 Depth=2
	ds_store_b32 v0, v119
	s_cbranch_execz .LBB2_290
; %bb.7586:
	s_getpc_b64 s[48:49]
.Lpost_getpc57:
	s_add_u32 s48, s48, (.LBB2_7300-.Lpost_getpc57)&4294967295
	s_addc_u32 s49, s49, (.LBB2_7300-.Lpost_getpc57)>>32
	s_setpc_b64 s[48:49]
.LBB2_290:                              ;   in Loop: Header=BB2_222 Depth=2
	s_or_b32 exec_lo, exec_lo, s37
	;;#ASMSTART
	s_wakeup
	;;#ASMEND
.LBB2_291:                              ;   in Loop: Header=BB2_222 Depth=2
	s_or_b32 exec_lo, exec_lo, s17
.LBB2_292:                              ;   in Loop: Header=BB2_222 Depth=2
	s_and_not1_saveexec_b32 s16, s16
	s_cbranch_execz .LBB2_294
; %bb.293:                              ;   in Loop: Header=BB2_222 Depth=2
	;;#ASMSTART
	s_waitcnt lgkmcnt(0) vmcnt(0)
	;;#ASMEND
	s_waitcnt vmcnt(0) lgkmcnt(0)
	s_waitcnt_vscnt null, 0x0
	s_barrier
.LBB2_294:                              ;   in Loop: Header=BB2_222 Depth=2
	s_or_b32 exec_lo, exec_lo, s16
	v_and_b32_e32 v2, 16, v30
.LBB2_295:                              ;   in Loop: Header=BB2_222 Depth=2
	s_or_b32 exec_lo, exec_lo, s13
	s_delay_alu instid0(SALU_CYCLE_1) | instskip(NEXT) | instid1(VALU_DEP_1)
	s_mov_b32 s13, exec_lo
	v_cmpx_ne_u32_e32 0, v2
	s_cbranch_execz .LBB2_299
; %bb.296:                              ;   in Loop: Header=BB2_222 Depth=2
	s_and_saveexec_b32 s16, s11
	s_cbranch_execz .LBB2_298
; %bb.297:                              ;   in Loop: Header=BB2_222 Depth=2
	s_waitcnt lgkmcnt(0)
	s_waitcnt_vscnt null, 0x0
	flat_store_b32 v[28:29], v119
.LBB2_298:                              ;   in Loop: Header=BB2_222 Depth=2
	s_or_b32 exec_lo, exec_lo, s16
	v_add_co_u32 v24, vcc_lo, v24, 2
	v_add_co_ci_u32_e32 v25, vcc_lo, 0, v25, vcc_lo
	s_waitcnt lgkmcnt(0)
	s_waitcnt_vscnt null, 0x0
	flat_store_b64 v[22:23], v[24:25]
.LBB2_299:                              ;   in Loop: Header=BB2_222 Depth=2
	s_or_b32 exec_lo, exec_lo, s13
	v_add_nc_u32_e32 v55, v8, v55
	s_mov_b32 s13, 0
	s_and_not1_b32 exec_lo, exec_lo, s15
	s_cbranch_execnz .LBB2_222
; %bb.300:                              ;   in Loop: Header=BB2_51 Depth=1
	s_or_b32 exec_lo, exec_lo, s15
.LBB2_301:                              ;   in Loop: Header=BB2_51 Depth=1
	s_delay_alu instid0(SALU_CYCLE_1) | instskip(NEXT) | instid1(SALU_CYCLE_1)
	s_or_b32 exec_lo, exec_lo, s14
	s_and_not1_b32 vcc_lo, exec_lo, s29
                                        ; implicit-def: $vgpr42 : SGPR spill to VGPR lane
	s_cbranch_vccnz .LBB2_2402
; %bb.302:                              ;   in Loop: Header=BB2_51 Depth=1
	s_mov_b32 s15, 2
.LBB2_303:                              ;   Parent Loop BB2_51 Depth=1
                                        ; =>  This Loop Header: Depth=2
                                        ;       Child Loop BB2_305 Depth 3
                                        ;         Child Loop BB2_314 Depth 4
                                        ;         Child Loop BB2_344 Depth 4
	;; [unrolled: 1-line block ×9, first 2 shown]
                                        ;       Child Loop BB2_2317 Depth 3
                                        ;         Child Loop BB2_2323 Depth 4
                                        ;         Child Loop BB2_2355 Depth 4
	;; [unrolled: 1-line block ×3, first 2 shown]
	s_delay_alu instid0(SALU_CYCLE_1) | instskip(SKIP_4) | instid1(SALU_CYCLE_1)
	s_sub_i32 s13, s25, s15
	s_mov_b32 s17, 0
	s_cmp_le_i32 s19, s13
	v_mov_b32_e32 v131, 0
	s_cselect_b32 s14, s19, 0
	s_sub_i32 s13, s13, s14
	s_delay_alu instid0(SALU_CYCLE_1) | instskip(SKIP_3) | instid1(VALU_DEP_1)
	s_ashr_i32 s14, s13, 31
	v_mul_lo_u32 v2, v51, s13
	v_mad_u64_u32 v[64:65], null, v50, s13, 0
	v_mul_lo_u32 v8, v50, s14
	v_add3_u32 v65, v65, v8, v2
	s_delay_alu instid0(VALU_DEP_3) | instskip(NEXT) | instid1(VALU_DEP_2)
	v_sub_co_u32 v8, vcc_lo, v52, v64
	v_sub_co_ci_u32_e32 v9, vcc_lo, v53, v65, vcc_lo
	s_delay_alu instid0(VALU_DEP_1) | instskip(SKIP_1) | instid1(VALU_DEP_1)
	v_cmp_lt_i64_e32 vcc_lo, v[50:51], v[8:9]
	v_cndmask_b32_e32 v8, v8, v50, vcc_lo
	v_max_i32_e32 v130, 0, v8
	v_cmp_lt_i32_e32 vcc_lo, 0, v8
	s_delay_alu instid0(VALU_DEP_2) | instskip(SKIP_1) | instid1(VALU_DEP_1)
	v_add_nc_u32_e32 v2, 31, v130
	s_and_b32 s13, s30, vcc_lo
	v_lshrrev_b32_e32 v2, 1, v2
	s_delay_alu instid0(VALU_DEP_1) | instskip(NEXT) | instid1(VALU_DEP_1)
	v_dual_mov_b32 v2, 0 :: v_dual_and_b32 v9, 0x3ffffff0, v2
	v_max_i32_e32 v54, s28, v9
	s_and_saveexec_b32 s16, s13
	s_cbranch_execz .LBB2_2315
; %bb.304:                              ;   in Loop: Header=BB2_303 Depth=2
	v_mov_b32_e32 v131, 0
	s_mov_b32 s14, 1
	s_mov_b32 s37, -1
.LBB2_305:                              ;   Parent Loop BB2_51 Depth=1
                                        ;     Parent Loop BB2_303 Depth=2
                                        ; =>    This Loop Header: Depth=3
                                        ;         Child Loop BB2_314 Depth 4
                                        ;         Child Loop BB2_344 Depth 4
	;; [unrolled: 1-line block ×9, first 2 shown]
	s_and_saveexec_b32 s13, s0
	s_cbranch_execz .LBB2_308
; %bb.306:                              ;   in Loop: Header=BB2_305 Depth=3
	s_cbranch_execz .LBB2_307
; %bb.7588:
	s_getpc_b64 s[48:49]
.Lpost_getpc58:
	s_add_u32 s48, s48, (.LBB2_7003-.Lpost_getpc58)&4294967295
	s_addc_u32 s49, s49, (.LBB2_7003-.Lpost_getpc58)>>32
	s_setpc_b64 s[48:49]
.LBB2_307:                              ;   in Loop: Header=BB2_305 Depth=3
	ds_load_b64 v[8:9], v0
	s_waitcnt lgkmcnt(0)
	v_add_co_u32 v2, vcc_lo, v8, v128
	v_add_co_ci_u32_e32 v8, vcc_lo, v9, v129, vcc_lo
	v_ashrrev_i32_e32 v9, 31, v131
	s_delay_alu instid0(VALU_DEP_3) | instskip(NEXT) | instid1(VALU_DEP_3)
	v_add_co_u32 v2, vcc_lo, v2, v64
	v_add_co_ci_u32_e32 v10, vcc_lo, v8, v65, vcc_lo
	s_delay_alu instid0(VALU_DEP_2) | instskip(NEXT) | instid1(VALU_DEP_2)
	v_add_co_u32 v8, vcc_lo, v2, v131
	v_add_co_ci_u32_e32 v9, vcc_lo, v10, v9, vcc_lo
	v_mov_b32_e32 v2, v3
	ds_store_b64 v0, v[8:9]
	ds_store_b64 v0, v[2:3]
.LBB2_308:                              ;   in Loop: Header=BB2_305 Depth=3
	s_or_b32 exec_lo, exec_lo, s13
	v_and_b32_e32 v2, 12, v30
	s_mov_b32 s38, -1
	s_mov_b32 s13, exec_lo
	s_delay_alu instid0(VALU_DEP_1)
	v_cmpx_ne_u32_e32 0, v2
	v_writelane_b32 v42, s14, 9
	s_cbranch_execz .LBB2_322
; %bb.309:                              ;   in Loop: Header=BB2_305 Depth=3
	v_and_b32_e32 v2, 8, v30
	s_mov_b32 s14, s37
	s_delay_alu instid0(VALU_DEP_1) | instskip(SKIP_3) | instid1(VALU_DEP_1)
	v_add_co_u32 v10, vcc_lo, v34, v2
	v_add_co_ci_u32_e32 v11, vcc_lo, 0, v35, vcc_lo
	v_add_co_u32 v8, vcc_lo, v24, 2
	v_add_co_ci_u32_e32 v9, vcc_lo, 0, v25, vcc_lo
	v_cmp_lt_u64_e32 vcc_lo, v[10:11], v[8:9]
	v_mov_b32_e32 v10, 1
	s_and_saveexec_b32 s37, vcc_lo
	s_cbranch_execz .LBB2_321
; %bb.310:                              ;   in Loop: Header=BB2_305 Depth=3
	v_mov_b32_e32 v10, 0
	s_mov_b32 s38, 0
                                        ; implicit-def: $sgpr39
	s_branch .LBB2_314
.LBB2_311:                              ;   in Loop: Header=BB2_314 Depth=4
	s_or_b32 exec_lo, exec_lo, s43
	v_mov_b32_e32 v11, 0
	s_or_not1_b32 s42, s42, exec_lo
.LBB2_312:                              ;   in Loop: Header=BB2_314 Depth=4
	s_or_b32 exec_lo, exec_lo, s41
	s_delay_alu instid0(VALU_DEP_1) | instskip(SKIP_2) | instid1(SALU_CYCLE_1)
	v_mov_b32_e32 v10, v11
	s_and_not1_b32 vcc_lo, s39, exec_lo
	s_and_b32 s39, s42, exec_lo
	s_or_b32 s39, vcc_lo, s39
.LBB2_313:                              ;   in Loop: Header=BB2_314 Depth=4
	s_or_b32 exec_lo, exec_lo, s40
	s_waitcnt vmcnt(0) lgkmcnt(0)
	v_add_co_u32 v11, vcc_lo, v34, v2
	v_add_co_ci_u32_e32 v12, vcc_lo, 0, v35, vcc_lo
	s_xor_b32 s40, s39, -1
	s_delay_alu instid0(VALU_DEP_1) | instskip(SKIP_1) | instid1(SALU_CYCLE_1)
	v_cmp_ge_u64_e32 vcc_lo, v[11:12], v[8:9]
	s_or_b32 vcc_lo, s40, vcc_lo
	s_and_b32 vcc_lo, exec_lo, vcc_lo
	s_delay_alu instid0(SALU_CYCLE_1) | instskip(NEXT) | instid1(SALU_CYCLE_1)
	s_or_b32 s38, vcc_lo, s38
	s_and_not1_b32 exec_lo, exec_lo, s38
	s_cbranch_execz .LBB2_320
.LBB2_314:                              ;   Parent Loop BB2_51 Depth=1
                                        ;     Parent Loop BB2_303 Depth=2
                                        ;       Parent Loop BB2_305 Depth=3
                                        ; =>      This Inner Loop Header: Depth=4
	s_sleep 1
	flat_load_b64 v[34:35], v[22:23] glc
	v_and_b32_e32 v11, 64, v30
	s_and_not1_b32 s39, s39, exec_lo
	s_mov_b32 s40, exec_lo
	s_delay_alu instid0(VALU_DEP_1)
	v_cmpx_eq_u32_e32 0, v11
	s_cbranch_execz .LBB2_313
; %bb.315:                              ;   in Loop: Header=BB2_314 Depth=4
	v_add_nc_u32_e32 v11, 1, v10
	s_mov_b32 s42, -1
	s_mov_b32 s41, exec_lo
	v_cmpx_lt_i32_e32 0x270e, v10
	s_cbranch_execz .LBB2_312
; %bb.316:                              ;   in Loop: Header=BB2_314 Depth=4
	s_cbranch_execz .LBB2_317
; %bb.7590:
	s_getpc_b64 s[48:49]
.Lpost_getpc59:
	s_add_u32 s48, s48, (.LBB2_7036-.Lpost_getpc59)&4294967295
	s_addc_u32 s49, s49, (.LBB2_7036-.Lpost_getpc59)>>32
	s_setpc_b64 s[48:49]
.LBB2_317:                              ;   in Loop: Header=BB2_314 Depth=4
	ds_load_b64 v[10:11], v0
	s_mov_b32 s43, exec_lo
	s_waitcnt vmcnt(0) lgkmcnt(0)
	s_waitcnt_vscnt null, 0x0
	flat_load_b32 v10, v[10:11] glc
	s_waitcnt vmcnt(0) lgkmcnt(0)
	buffer_gl1_inv
	buffer_gl0_inv
	v_cmpx_ne_u32_e32 0, v10
	s_cbranch_execz .LBB2_311
; %bb.318:                              ;   in Loop: Header=BB2_314 Depth=4
	ds_store_b32 v0, v10
	s_cbranch_execz .LBB2_319
; %bb.7592:
	s_getpc_b64 s[48:49]
.Lpost_getpc60:
	s_add_u32 s48, s48, (.LBB2_7086-.Lpost_getpc60)&4294967295
	s_addc_u32 s49, s49, (.LBB2_7086-.Lpost_getpc60)>>32
	s_setpc_b64 s[48:49]
.LBB2_319:                              ;   in Loop: Header=BB2_314 Depth=4
	v_or_b32_e32 v30, 64, v30
	s_xor_b32 s42, exec_lo, -1
	s_branch .LBB2_311
.LBB2_320:                              ;   in Loop: Header=BB2_305 Depth=3
	s_or_b32 exec_lo, exec_lo, s38
	v_and_b32_e32 v10, 12, v30
.LBB2_321:                              ;   in Loop: Header=BB2_305 Depth=3
	s_or_b32 exec_lo, exec_lo, s37
	s_delay_alu instid0(VALU_DEP_1)
	v_cmp_eq_u32_e32 vcc_lo, 0, v10
	s_mov_b32 s37, s14
	;;#ASMSTART
	s_wakeup
	;;#ASMEND
	s_or_not1_b32 s38, vcc_lo, exec_lo
.LBB2_322:                              ;   in Loop: Header=BB2_305 Depth=3
	s_or_b32 exec_lo, exec_lo, s13
	v_sub_nc_u32_e32 v2, v130, v131
	s_xor_b32 s13, s38, -1
	s_delay_alu instid0(VALU_DEP_1)
	v_min_i32_e32 v54, v54, v2
	s_and_saveexec_b32 s14, s13
	s_cbranch_execz .LBB2_335
; %bb.323:                              ;   in Loop: Header=BB2_305 Depth=3
	v_and_b32_e32 v2, 0x108, v30
	s_delay_alu instid0(VALU_DEP_1) | instskip(SKIP_2) | instid1(SALU_CYCLE_1)
	v_cmp_ne_u32_e32 vcc_lo, 0x108, v2
	v_and_b32_e32 v2, 7, v24
	s_and_saveexec_b32 s13, vcc_lo
	s_xor_b32 s13, exec_lo, s13
	s_delay_alu instid0(SALU_CYCLE_1)
	s_and_not1_saveexec_b32 s13, s13
	s_cbranch_execz .LBB2_325
; %bb.324:                              ;   in Loop: Header=BB2_305 Depth=3
	v_mad_u64_u32 v[8:9], null, v2, 24, v[6:7]
	v_ashrrev_i32_e32 v55, 31, v54
	flat_store_b64 v[8:9], v[54:55] offset:8
.LBB2_325:                              ;   in Loop: Header=BB2_305 Depth=3
	s_or_b32 exec_lo, exec_lo, s13
	v_and_b32_e32 v8, 0x100, v30
	s_mov_b32 s13, -1
	s_delay_alu instid0(VALU_DEP_1)
	v_cmp_ne_u32_e32 vcc_lo, 0, v8
                                        ; implicit-def: $vgpr8_vgpr9
	s_and_saveexec_b32 s38, vcc_lo
	s_cbranch_execnz .LBB2_328
; %bb.326:                              ;   in Loop: Header=BB2_305 Depth=3
	s_or_b32 exec_lo, exec_lo, s38
	s_and_saveexec_b32 vcc_lo, s13
	s_cbranch_execnz .LBB2_331
.LBB2_327:                              ;   in Loop: Header=BB2_305 Depth=3
	s_or_b32 exec_lo, exec_lo, vcc_lo
	s_cbranch_execz .LBB2_332
; %bb.7594:
	s_getpc_b64 s[48:49]
.Lpost_getpc61:
	s_add_u32 s48, s48, (.LBB2_7030-.Lpost_getpc61)&4294967295
	s_addc_u32 s49, s49, (.LBB2_7030-.Lpost_getpc61)>>32
	s_setpc_b64 s[48:49]
.LBB2_328:                              ;   in Loop: Header=BB2_305 Depth=3
	v_mad_u64_u32 v[10:11], null, v2, 24, v[6:7]
	s_delay_alu instid0(VALU_DEP_1) | instskip(NEXT) | instid1(VALU_DEP_1)
	v_mov_b32_e32 v8, v11
	v_mad_u64_u32 v[11:12], null, v3, 24, v[8:9]
	flat_load_b32 v8, v[10:11]
	s_waitcnt vmcnt(0) lgkmcnt(0)
	v_cmp_ne_u32_e32 vcc_lo, 1, v8
	v_cmp_eq_u32_e64 s13, 1, v8
                                        ; implicit-def: $vgpr8_vgpr9
	s_delay_alu instid0(VALU_DEP_1)
	s_and_saveexec_b32 s39, s13
	s_cbranch_execz .LBB2_330
; %bb.329:                              ;   in Loop: Header=BB2_305 Depth=3
	flat_load_b32 v8, v[10:11] offset:4 glc
	s_waitcnt vmcnt(0) lgkmcnt(0)
	v_ashrrev_i32_e32 v9, 31, v8
.LBB2_330:                              ;   in Loop: Header=BB2_305 Depth=3
	s_or_b32 exec_lo, exec_lo, s39
	s_delay_alu instid0(SALU_CYCLE_1)
	s_or_not1_b32 s13, vcc_lo, exec_lo
	s_or_b32 exec_lo, exec_lo, s38
	s_and_saveexec_b32 vcc_lo, s13
	s_cbranch_execz .LBB2_327
.LBB2_331:                              ;   in Loop: Header=BB2_305 Depth=3
	v_mul_lo_u32 v10, v3, v80
	v_mul_lo_u32 v11, v2, v82
	v_mad_u64_u32 v[8:9], null, v2, v80, 0
	s_delay_alu instid0(VALU_DEP_1)
	v_add3_u32 v9, v9, v11, v10
	s_or_b32 exec_lo, exec_lo, vcc_lo
	s_cbranch_execz .LBB2_332
; %bb.7596:
	s_getpc_b64 s[48:49]
.Lpost_getpc62:
	s_add_u32 s48, s48, (.LBB2_7030-.Lpost_getpc62)&4294967295
	s_addc_u32 s49, s49, (.LBB2_7030-.Lpost_getpc62)>>32
	s_setpc_b64 s[48:49]
.LBB2_332:                              ;   in Loop: Header=BB2_305 Depth=3
	s_delay_alu instid0(VALU_DEP_2)
	v_add_co_u32 v8, vcc_lo, v26, v8
	v_and_b32_e32 v2, 0x2000, v30
	v_add_co_ci_u32_e32 v9, vcc_lo, v27, v9, vcc_lo
	s_mov_b32 s13, exec_lo
	ds_store_b64 v0, v[8:9]
	v_cmpx_ne_u32_e32 0, v2
	s_cbranch_execz .LBB2_334
; %bb.333:                              ;   in Loop: Header=BB2_305 Depth=3
	ds_load_b64 v[8:9], v0 offset:584
	s_waitcnt lgkmcnt(0)
	v_add_co_u32 v8, vcc_lo, v8, 1
	v_add_co_ci_u32_e32 v9, vcc_lo, 0, v9, vcc_lo
	ds_store_b64 v0, v[8:9] offset:584
.LBB2_334:                              ;   in Loop: Header=BB2_305 Depth=3
	s_or_b32 exec_lo, exec_lo, s13
	v_add_co_u32 v24, vcc_lo, v24, 2
	v_add_co_ci_u32_e32 v25, vcc_lo, 0, v25, vcc_lo
.LBB2_335:                              ;   in Loop: Header=BB2_305 Depth=3
	s_or_b32 exec_lo, exec_lo, s14
	v_writelane_b32 v42, s37, 10
	s_and_saveexec_b32 s13, s3
	s_cbranch_execz .LBB2_357
; %bb.336:                              ;   in Loop: Header=BB2_305 Depth=3
	s_and_saveexec_b32 s14, s4
	s_delay_alu instid0(SALU_CYCLE_1)
	s_xor_b32 s14, exec_lo, s14
	s_cbranch_execz .LBB2_354
; %bb.337:                              ;   in Loop: Header=BB2_305 Depth=3
	s_and_saveexec_b32 s37, s1
	s_cbranch_execz .LBB2_353
; %bb.338:                              ;   in Loop: Header=BB2_305 Depth=3
	s_mov_b32 s39, exec_lo
	s_mov_b32 s38, exec_lo
	v_mbcnt_lo_u32_b32 v2, s39, 0
	s_waitcnt vmcnt(0) lgkmcnt(0)
	s_waitcnt_vscnt null, 0x0
	buffer_gl1_inv
	buffer_gl0_inv
	v_cmpx_eq_u32_e32 0, v2
	s_cbranch_execz .LBB2_340
; %bb.339:                              ;   in Loop: Header=BB2_305 Depth=3
	s_bcnt1_i32_b32 vcc_lo, s39
	s_delay_alu instid0(SALU_CYCLE_1)
	v_mov_b32_e32 v2, vcc_lo
	ds_add_u64 v0, v[2:3]
	s_cbranch_execz .LBB2_340
; %bb.7598:
	s_getpc_b64 s[48:49]
.Lpost_getpc63:
	s_add_u32 s48, s48, (.LBB2_7142-.Lpost_getpc63)&4294967295
	s_addc_u32 s49, s49, (.LBB2_7142-.Lpost_getpc63)>>32
	s_setpc_b64 s[48:49]
.LBB2_340:                              ;   in Loop: Header=BB2_305 Depth=3
	s_or_b32 exec_lo, exec_lo, s38
	s_cbranch_execz .LBB2_341
; %bb.7600:
	s_getpc_b64 s[48:49]
.Lpost_getpc64:
	s_add_u32 s48, s48, (.LBB2_7108-.Lpost_getpc64)&4294967295
	s_addc_u32 s49, s49, (.LBB2_7108-.Lpost_getpc64)>>32
	s_setpc_b64 s[48:49]
.LBB2_341:                              ;   in Loop: Header=BB2_305 Depth=3
	ds_load_b64 v[8:9], v0
	v_add_co_u32 v32, vcc_lo, v32, v83
	v_add_co_ci_u32_e32 v33, vcc_lo, 0, v33, vcc_lo
	s_mov_b32 s38, exec_lo
	s_waitcnt lgkmcnt(0)
	s_delay_alu instid0(VALU_DEP_1)
	v_cmpx_lt_u64_e64 v[8:9], v[32:33]
	s_cbranch_execz .LBB2_352
; %bb.342:                              ;   in Loop: Header=BB2_305 Depth=3
	s_mov_b32 s39, 0
	s_mov_b32 s42, 0
                                        ; implicit-def: $sgpr40
                                        ; implicit-def: $sgpr41
	s_branch .LBB2_344
.LBB2_343:                              ;   in Loop: Header=BB2_344 Depth=4
	s_or_b32 exec_lo, exec_lo, s44
	s_delay_alu instid0(SALU_CYCLE_1) | instskip(NEXT) | instid1(SALU_CYCLE_1)
	s_and_b32 vcc_lo, exec_lo, vcc_lo
	s_or_b32 s39, vcc_lo, s39
	s_and_not1_b32 vcc_lo, s40, exec_lo
	s_and_b32 s40, s41, exec_lo
	s_delay_alu instid0(SALU_CYCLE_1)
	s_or_b32 s40, vcc_lo, s40
	s_and_not1_b32 exec_lo, exec_lo, s39
	s_cbranch_execz .LBB2_350
.LBB2_344:                              ;   Parent Loop BB2_51 Depth=1
                                        ;     Parent Loop BB2_303 Depth=2
                                        ;       Parent Loop BB2_305 Depth=3
                                        ; =>      This Inner Loop Header: Depth=4
	s_add_i32 s42, s42, 1
                                        ; implicit-def: $sgpr44
	s_delay_alu instid0(SALU_CYCLE_1) | instskip(SKIP_1) | instid1(SALU_CYCLE_1)
	s_cmpk_lg_i32 s42, 0x2710
	s_cselect_b32 s43, -1, 0
	s_and_b32 vcc_lo, exec_lo, s43
	s_cbranch_vccz .LBB2_348
.LBB2_345:                              ;   in Loop: Header=BB2_344 Depth=4
	s_and_not1_b32 s41, s41, exec_lo
	s_and_b32 s44, s44, exec_lo
	s_mov_b32 vcc_lo, -1
	s_or_b32 s41, s41, s44
	s_and_saveexec_b32 s44, s43
	s_cbranch_execz .LBB2_343
; %bb.346:                              ;   in Loop: Header=BB2_344 Depth=4
	s_sleep 1
	s_cbranch_execz .LBB2_347
; %bb.7602:
	s_getpc_b64 s[48:49]
.Lpost_getpc65:
	s_add_u32 s48, s48, (.LBB2_7190-.Lpost_getpc65)&4294967295
	s_addc_u32 s49, s49, (.LBB2_7190-.Lpost_getpc65)>>32
	s_setpc_b64 s[48:49]
.LBB2_347:                              ;   in Loop: Header=BB2_344 Depth=4
	ds_load_b64 v[8:9], v0
	s_and_not1_b32 s41, s41, exec_lo
	s_waitcnt lgkmcnt(0)
	v_cmp_ge_u64_e32 vcc_lo, v[8:9], v[32:33]
	s_or_not1_b32 vcc_lo, vcc_lo, exec_lo
	s_branch .LBB2_343
.LBB2_348:                              ;   in Loop: Header=BB2_344 Depth=4
	s_cbranch_execz .LBB2_349
; %bb.7604:
	s_getpc_b64 s[48:49]
.Lpost_getpc66:
	s_add_u32 s48, s48, (.LBB2_7198-.Lpost_getpc66)&4294967295
	s_addc_u32 s49, s49, (.LBB2_7198-.Lpost_getpc66)>>32
	s_setpc_b64 s[48:49]
.LBB2_349:                              ;   in Loop: Header=BB2_344 Depth=4
	ds_load_b64 v[8:9], v0
	s_and_not1_b32 s43, s43, exec_lo
	s_mov_b32 s42, 0
	s_mov_b32 s44, -1
	s_waitcnt lgkmcnt(0)
	flat_load_b32 v2, v[8:9] glc
	s_waitcnt vmcnt(0) lgkmcnt(0)
	buffer_gl1_inv
	buffer_gl0_inv
	v_cmp_eq_u32_e32 vcc_lo, 0, v2
	s_and_b32 vcc_lo, vcc_lo, exec_lo
	s_delay_alu instid0(SALU_CYCLE_1)
	s_or_b32 s43, s43, vcc_lo
	s_branch .LBB2_345
.LBB2_350:                              ;   in Loop: Header=BB2_305 Depth=3
	s_or_b32 exec_lo, exec_lo, s39
	s_and_saveexec_b32 vcc_lo, s40
	s_delay_alu instid0(SALU_CYCLE_1)
	s_xor_b32 vcc_lo, exec_lo, vcc_lo
	s_cbranch_execz .LBB2_352
; %bb.351:                              ;   in Loop: Header=BB2_305 Depth=3
	ds_store_b32 v0, v119
	s_cbranch_execz .LBB2_352
; %bb.7606:
	s_getpc_b64 s[48:49]
.Lpost_getpc67:
	s_add_u32 s48, s48, (.LBB2_7400-.Lpost_getpc67)&4294967295
	s_addc_u32 s49, s49, (.LBB2_7400-.Lpost_getpc67)>>32
	s_setpc_b64 s[48:49]
.LBB2_352:                              ;   in Loop: Header=BB2_305 Depth=3
	s_or_b32 exec_lo, exec_lo, s38
	;;#ASMSTART
	s_wakeup
	;;#ASMEND
.LBB2_353:                              ;   in Loop: Header=BB2_305 Depth=3
	s_or_b32 exec_lo, exec_lo, s37
.LBB2_354:                              ;   in Loop: Header=BB2_305 Depth=3
	s_and_not1_saveexec_b32 s14, s14
	s_cbranch_execz .LBB2_356
; %bb.355:                              ;   in Loop: Header=BB2_305 Depth=3
	s_waitcnt vmcnt(0) lgkmcnt(0)
	s_waitcnt_vscnt null, 0x0
	buffer_gl1_inv
	buffer_gl0_inv
	s_barrier
.LBB2_356:                              ;   in Loop: Header=BB2_305 Depth=3
	s_or_b32 exec_lo, exec_lo, s14
.LBB2_357:                              ;   in Loop: Header=BB2_305 Depth=3
	v_writelane_b32 v42, s31, 6
	v_writelane_b32 v42, s34, 5
	;; [unrolled: 1-line block ×4, first 2 shown]
	s_mov_b32 s30, s36
	s_or_b32 exec_lo, exec_lo, s13
	s_cbranch_execz .LBB2_358
; %bb.7608:
	s_getpc_b64 s[48:49]
.Lpost_getpc68:
	s_add_u32 s48, s48, (.LBB2_7009-.Lpost_getpc68)&4294967295
	s_addc_u32 s49, s49, (.LBB2_7009-.Lpost_getpc68)>>32
	s_setpc_b64 s[48:49]
.LBB2_358:                              ;   in Loop: Header=BB2_305 Depth=3
	ds_load_b32 v8, v0
	v_and_b32_e32 v2, 0x4000, v30
	s_xor_b32 s13, s2, -1
	s_delay_alu instid0(VALU_DEP_1) | instskip(SKIP_1) | instid1(SALU_CYCLE_1)
	v_cmp_ne_u32_e32 vcc_lo, 0, v2
	s_and_b32 s14, s13, vcc_lo
	s_and_saveexec_b32 s13, s14
	s_cbranch_execz .LBB2_380
; %bb.359:                              ;   in Loop: Header=BB2_305 Depth=3
	s_and_saveexec_b32 s14, s4
	s_delay_alu instid0(SALU_CYCLE_1)
	s_xor_b32 s14, exec_lo, s14
	s_cbranch_execz .LBB2_377
; %bb.360:                              ;   in Loop: Header=BB2_305 Depth=3
	s_and_saveexec_b32 s31, s1
	s_cbranch_execz .LBB2_376
; %bb.361:                              ;   in Loop: Header=BB2_305 Depth=3
	s_mov_b32 s35, exec_lo
	s_mov_b32 s34, exec_lo
	v_mbcnt_lo_u32_b32 v2, s35, 0
	s_waitcnt vmcnt(0) lgkmcnt(0)
	s_waitcnt_vscnt null, 0x0
	buffer_gl1_inv
	buffer_gl0_inv
	v_cmpx_eq_u32_e32 0, v2
	s_cbranch_execz .LBB2_363
; %bb.362:                              ;   in Loop: Header=BB2_305 Depth=3
	s_bcnt1_i32_b32 vcc_lo, s35
	s_delay_alu instid0(SALU_CYCLE_1)
	v_mov_b32_e32 v2, vcc_lo
	ds_add_u64 v0, v[2:3]
	s_cbranch_execz .LBB2_363
; %bb.7610:
	s_getpc_b64 s[48:49]
.Lpost_getpc69:
	s_add_u32 s48, s48, (.LBB2_7174-.Lpost_getpc69)&4294967295
	s_addc_u32 s49, s49, (.LBB2_7174-.Lpost_getpc69)>>32
	s_setpc_b64 s[48:49]
.LBB2_363:                              ;   in Loop: Header=BB2_305 Depth=3
	s_or_b32 exec_lo, exec_lo, s34
	s_cbranch_execz .LBB2_364
; %bb.7612:
	s_getpc_b64 s[48:49]
.Lpost_getpc70:
	s_add_u32 s48, s48, (.LBB2_7164-.Lpost_getpc70)&4294967295
	s_addc_u32 s49, s49, (.LBB2_7164-.Lpost_getpc70)>>32
	s_setpc_b64 s[48:49]
.LBB2_364:                              ;   in Loop: Header=BB2_305 Depth=3
	ds_load_b64 v[9:10], v0
	v_add_co_u32 v32, vcc_lo, v32, v83
	v_add_co_ci_u32_e32 v33, vcc_lo, 0, v33, vcc_lo
	s_mov_b32 s34, exec_lo
	s_waitcnt lgkmcnt(0)
	s_delay_alu instid0(VALU_DEP_1)
	v_cmpx_lt_u64_e64 v[9:10], v[32:33]
	s_cbranch_execz .LBB2_375
; %bb.365:                              ;   in Loop: Header=BB2_305 Depth=3
	s_mov_b32 s35, 0
	s_mov_b32 s38, 0
                                        ; implicit-def: $sgpr36
                                        ; implicit-def: $sgpr37
	s_branch .LBB2_367
.LBB2_366:                              ;   in Loop: Header=BB2_367 Depth=4
	s_or_b32 exec_lo, exec_lo, s40
	s_delay_alu instid0(SALU_CYCLE_1) | instskip(NEXT) | instid1(SALU_CYCLE_1)
	s_and_b32 vcc_lo, exec_lo, vcc_lo
	s_or_b32 s35, vcc_lo, s35
	s_and_not1_b32 vcc_lo, s36, exec_lo
	s_and_b32 s36, s37, exec_lo
	s_delay_alu instid0(SALU_CYCLE_1)
	s_or_b32 s36, vcc_lo, s36
	s_and_not1_b32 exec_lo, exec_lo, s35
	s_cbranch_execz .LBB2_373
.LBB2_367:                              ;   Parent Loop BB2_51 Depth=1
                                        ;     Parent Loop BB2_303 Depth=2
                                        ;       Parent Loop BB2_305 Depth=3
                                        ; =>      This Inner Loop Header: Depth=4
	s_add_i32 s38, s38, 1
                                        ; implicit-def: $sgpr40
	s_delay_alu instid0(SALU_CYCLE_1) | instskip(SKIP_1) | instid1(SALU_CYCLE_1)
	s_cmpk_lg_i32 s38, 0x2710
	s_cselect_b32 s39, -1, 0
	s_and_b32 vcc_lo, exec_lo, s39
	s_cbranch_vccz .LBB2_371
.LBB2_368:                              ;   in Loop: Header=BB2_367 Depth=4
	s_and_not1_b32 s37, s37, exec_lo
	s_and_b32 s40, s40, exec_lo
	s_mov_b32 vcc_lo, -1
	s_or_b32 s37, s37, s40
	s_and_saveexec_b32 s40, s39
	s_cbranch_execz .LBB2_366
; %bb.369:                              ;   in Loop: Header=BB2_367 Depth=4
	s_sleep 1
	s_cbranch_execz .LBB2_370
; %bb.7614:
	s_getpc_b64 s[48:49]
.Lpost_getpc71:
	s_add_u32 s48, s48, (.LBB2_7236-.Lpost_getpc71)&4294967295
	s_addc_u32 s49, s49, (.LBB2_7236-.Lpost_getpc71)>>32
	s_setpc_b64 s[48:49]
.LBB2_370:                              ;   in Loop: Header=BB2_367 Depth=4
	ds_load_b64 v[9:10], v0
	s_and_not1_b32 s37, s37, exec_lo
	s_waitcnt lgkmcnt(0)
	v_cmp_ge_u64_e32 vcc_lo, v[9:10], v[32:33]
	s_or_not1_b32 vcc_lo, vcc_lo, exec_lo
	s_branch .LBB2_366
.LBB2_371:                              ;   in Loop: Header=BB2_367 Depth=4
	s_cbranch_execz .LBB2_372
; %bb.7616:
	s_getpc_b64 s[48:49]
.Lpost_getpc72:
	s_add_u32 s48, s48, (.LBB2_7250-.Lpost_getpc72)&4294967295
	s_addc_u32 s49, s49, (.LBB2_7250-.Lpost_getpc72)>>32
	s_setpc_b64 s[48:49]
.LBB2_372:                              ;   in Loop: Header=BB2_367 Depth=4
	ds_load_b64 v[9:10], v0
	s_and_not1_b32 s39, s39, exec_lo
	s_mov_b32 s38, 0
	s_mov_b32 s40, -1
	s_waitcnt lgkmcnt(0)
	flat_load_b32 v2, v[9:10] glc
	s_waitcnt vmcnt(0) lgkmcnt(0)
	buffer_gl1_inv
	buffer_gl0_inv
	v_cmp_eq_u32_e32 vcc_lo, 0, v2
	s_and_b32 vcc_lo, vcc_lo, exec_lo
	s_delay_alu instid0(SALU_CYCLE_1)
	s_or_b32 s39, s39, vcc_lo
	s_branch .LBB2_368
.LBB2_373:                              ;   in Loop: Header=BB2_305 Depth=3
	s_or_b32 exec_lo, exec_lo, s35
	s_and_saveexec_b32 vcc_lo, s36
	s_delay_alu instid0(SALU_CYCLE_1)
	s_xor_b32 vcc_lo, exec_lo, vcc_lo
	s_cbranch_execz .LBB2_375
; %bb.374:                              ;   in Loop: Header=BB2_305 Depth=3
	ds_store_b32 v0, v119
	s_cbranch_execz .LBB2_375
; %bb.7618:
	s_getpc_b64 s[48:49]
.Lpost_getpc73:
	s_add_u32 s48, s48, (.LBB2_7432-.Lpost_getpc73)&4294967295
	s_addc_u32 s49, s49, (.LBB2_7432-.Lpost_getpc73)>>32
	s_setpc_b64 s[48:49]
.LBB2_375:                              ;   in Loop: Header=BB2_305 Depth=3
	s_or_b32 exec_lo, exec_lo, s34
	;;#ASMSTART
	s_wakeup
	;;#ASMEND
.LBB2_376:                              ;   in Loop: Header=BB2_305 Depth=3
	s_or_b32 exec_lo, exec_lo, s31
.LBB2_377:                              ;   in Loop: Header=BB2_305 Depth=3
	s_and_not1_saveexec_b32 s14, s14
	s_cbranch_execz .LBB2_379
; %bb.378:                              ;   in Loop: Header=BB2_305 Depth=3
	s_waitcnt vmcnt(0) lgkmcnt(0)
	s_waitcnt_vscnt null, 0x0
	buffer_gl1_inv
	buffer_gl0_inv
	s_barrier
.LBB2_379:                              ;   in Loop: Header=BB2_305 Depth=3
	s_or_b32 exec_lo, exec_lo, s14
.LBB2_380:                              ;   in Loop: Header=BB2_305 Depth=3
	s_delay_alu instid0(SALU_CYCLE_1)
	s_or_b32 exec_lo, exec_lo, s13
	s_cbranch_execz .LBB2_381
; %bb.7620:
	s_getpc_b64 s[48:49]
.Lpost_getpc74:
	s_add_u32 s48, s48, (.LBB2_7052-.Lpost_getpc74)&4294967295
	s_addc_u32 s49, s49, (.LBB2_7052-.Lpost_getpc74)>>32
	s_setpc_b64 s[48:49]
.LBB2_381:                              ;   in Loop: Header=BB2_305 Depth=3
	ds_load_b64 v[9:10], v0
	v_mov_b32_e32 v55, 0
	s_waitcnt lgkmcnt(0)
	v_cmp_eq_u64_e32 vcc_lo, 0, v[9:10]
	s_or_b32 s13, vcc_lo, vcc_lo
	s_delay_alu instid0(SALU_CYCLE_1)
	s_and_b32 vcc_lo, exec_lo, s13
	s_cbranch_vccnz .LBB2_2261
; %bb.382:                              ;   in Loop: Header=BB2_305 Depth=3
	s_cbranch_execz .LBB2_383
; %bb.7622:
	s_getpc_b64 s[48:49]
.Lpost_getpc75:
	s_add_u32 s48, s48, (.LBB2_7106-.Lpost_getpc75)&4294967295
	s_addc_u32 s49, s49, (.LBB2_7106-.Lpost_getpc75)>>32
	s_setpc_b64 s[48:49]
.LBB2_383:                              ;   in Loop: Header=BB2_305 Depth=3
	ds_load_b64 v[9:10], v0
	s_mov_b32 s13, -1
	s_waitcnt lgkmcnt(0)
	v_readfirstlane_b32 s31, v9
	s_and_saveexec_b32 s14, s12
	s_cbranch_execz .LBB2_385
; %bb.384:                              ;   in Loop: Header=BB2_305 Depth=3
	ds_load_b32 v2, v0 offset:720
	s_waitcnt lgkmcnt(0)
	v_and_b32_e32 v2, 15, v2
	s_delay_alu instid0(VALU_DEP_1)
	v_cmp_eq_u32_e32 vcc_lo, 0, v2
	s_or_not1_b32 s13, vcc_lo, exec_lo
.LBB2_385:                              ;   in Loop: Header=BB2_305 Depth=3
	s_or_b32 exec_lo, exec_lo, s14
	s_and_saveexec_b32 s14, s6
	s_cbranch_execz .LBB2_387
; %bb.386:                              ;   in Loop: Header=BB2_305 Depth=3
	ds_load_b32 v2, v0 offset:784
	s_waitcnt lgkmcnt(0)
	v_and_b32_e32 v2, 15, v2
	s_delay_alu instid0(VALU_DEP_1) | instskip(SKIP_3) | instid1(SALU_CYCLE_1)
	v_cmp_eq_u32_e32 vcc_lo, 0, v2
	s_and_b32 vcc_lo, s13, vcc_lo
	s_and_not1_b32 s13, s13, exec_lo
	s_and_b32 vcc_lo, vcc_lo, exec_lo
	s_or_b32 s13, s13, vcc_lo
.LBB2_387:                              ;   in Loop: Header=BB2_305 Depth=3
	s_or_b32 exec_lo, exec_lo, s14
	v_cmp_eq_u32_e32 vcc_lo, 0, v8
	s_xor_b32 s13, s13, -1
	v_mov_b32_e32 v8, v84
	v_cndmask_b32_e64 v2, 0, 1, s13
	;;#ASMSTART
	;;#ASMEND
	v_dual_cndmask_b32 v55, 0, v54 :: v_dual_mov_b32 v14, 0
	s_delay_alu instid0(VALU_DEP_2) | instskip(SKIP_2) | instid1(VALU_DEP_2)
	v_cmp_ne_u32_e32 vcc_lo, 0, v2
	s_mov_b32 s35, -1
	s_waitcnt vmcnt(0)
	v_dual_mov_b32 v66, v0 :: v_dual_mov_b32 v15, v55
	s_cbranch_vccnz .LBB2_1843
; %bb.388:                              ;   in Loop: Header=BB2_305 Depth=3
	v_ashrrev_i32_e32 v2, 31, v55
	s_mov_b32 s34, exec_lo
	s_delay_alu instid0(VALU_DEP_1) | instskip(NEXT) | instid1(VALU_DEP_1)
	v_lshrrev_b32_e32 v2, 23, v2
	v_add_nc_u32_e32 v2, v55, v2
	s_delay_alu instid0(VALU_DEP_1) | instskip(SKIP_2) | instid1(VALU_DEP_3)
	v_and_b32_e32 v132, 0xfffffe00, v2
	v_ashrrev_i32_e32 v8, 9, v2
	v_sub_nc_u32_e32 v2, v55, v116
	v_sub_nc_u32_e32 v134, v55, v132
	s_delay_alu instid0(VALU_DEP_1) | instskip(NEXT) | instid1(VALU_DEP_1)
	v_cmp_lt_i32_e64 s13, 15, v134
	v_add_co_ci_u32_e64 v133, vcc_lo, v8, v117, s13
	s_delay_alu instid0(VALU_DEP_4)
	v_cmpx_lt_i32_e32 15, v2
	s_cbranch_execz .LBB2_1113
; %bb.389:                              ;   in Loop: Header=BB2_305 Depth=3
	s_cbranch_execz .LBB2_390
; %bb.7624:
	s_getpc_b64 s[48:49]
.Lpost_getpc76:
	s_add_u32 s48, s48, (.LBB2_7248-.Lpost_getpc76)&4294967295
	s_addc_u32 s49, s49, (.LBB2_7248-.Lpost_getpc76)>>32
	s_setpc_b64 s[48:49]
.LBB2_390:                              ;   in Loop: Header=BB2_305 Depth=3
	ds_load_b128 v[8:11], v0
	ds_load_b64 v[12:13], v0
	s_bitcmp1_b32 s31, 0
	s_mov_b32 s35, 0
	s_cselect_b32 s36, -1, 0
	s_waitcnt lgkmcnt(1)
	v_add_co_u32 v66, vcc_lo, v8, v116
	v_add_co_ci_u32_e32 v67, vcc_lo, v9, v118, vcc_lo
	v_add_co_u32 v68, vcc_lo, v10, v116
	v_add_co_ci_u32_e32 v69, vcc_lo, v11, v118, vcc_lo
	s_waitcnt lgkmcnt(0)
	v_add_co_u32 v70, vcc_lo, v12, v116
	v_add_co_ci_u32_e32 v71, vcc_lo, v13, v118, vcc_lo
	s_branch .LBB2_394
.LBB2_391:                              ;   in Loop: Header=BB2_394 Depth=4
	s_or_b32 exec_lo, exec_lo, s14
	s_delay_alu instid0(VALU_DEP_1) | instskip(NEXT) | instid1(VALU_DEP_2)
	v_lshrrev_b32_e32 v15, 20, v15
	v_cmp_gt_i32_e32 vcc_lo, 16, v11
	v_min_i32_e32 v160, 15, v11
	v_lshrrev_b32_e32 v161, 24, v162
	s_delay_alu instid0(VALU_DEP_2) | instskip(NEXT) | instid1(VALU_DEP_2)
	v_dual_cndmask_b32 v15, 7, v15 :: v_dual_lshlrev_b32 v160, 3, v160
	v_and_b32_e32 v161, 0x80, v161
	s_delay_alu instid0(VALU_DEP_2) | instskip(SKIP_1) | instid1(VALU_DEP_2)
	v_or_b32_e32 v11, v11, v15
	v_and_b32_e32 v162, 7, v15
	v_cmp_ne_u32_e32 vcc_lo, 0, v11
	v_and_b32_e32 v160, 0xf8, v160
	s_delay_alu instid0(VALU_DEP_1) | instskip(NEXT) | instid1(VALU_DEP_1)
	v_or3_b32 v160, v161, v160, v162
	v_lshlrev_b32_e32 v15, 8, v160
	s_delay_alu instid0(VALU_DEP_1)
	v_cndmask_b32_e32 v11, 0, v15, vcc_lo
.LBB2_392:                              ;   in Loop: Header=BB2_394 Depth=4
	s_or_b32 exec_lo, exec_lo, s38
.LBB2_393:                              ;   in Loop: Header=BB2_394 Depth=4
	s_delay_alu instid0(SALU_CYCLE_1)
	s_or_b32 exec_lo, exec_lo, s37
	v_lshlrev_b32_e32 v15, 8, v146
	v_and_b32_e32 v145, 0xff, v145
	v_or_b32_e32 v9, v9, v147
	v_lshlrev_b32_e32 v144, 8, v144
	v_lshlrev_b32_e32 v146, 8, v148
	v_perm_b32 v12, v15, v12, 0xc0c0500
	v_lshlrev_b32_e32 v15, 16, v145
	v_and_b32_e32 v145, 0xff, v149
	v_lshlrev_b32_e32 v147, 8, v150
	v_lshlrev_b32_e32 v8, 24, v8
	v_perm_b32 v135, v144, v135, 0xc0c0500
	v_lshlrev_b32_e32 v10, 24, v10
	v_lshlrev_b32_e32 v144, 16, v145
	v_perm_b32 v13, v146, v13, 0xc0c0500
	v_perm_b32 v14, v147, v14, 0xc0c0500
	v_or_b32_e32 v11, v11, v151
	v_add_co_u32 v66, vcc_lo, v66, v100
	v_lshl_or_b32 v9, v9, 16, v12
	v_or3_b32 v8, v8, v15, v135
	v_or3_b32 v10, v10, v144, v13
	v_lshl_or_b32 v11, v11, 16, v14
	v_sub_nc_u32_e32 v2, v2, v86
	v_add_co_ci_u32_e32 v67, vcc_lo, v67, v101, vcc_lo
	v_add_co_u32 v68, vcc_lo, v68, v100
	v_add_co_ci_u32_e32 v69, vcc_lo, v69, v101, vcc_lo
	global_store_b128 v[70:71], v[8:11], off glc slc dlc
	v_cmp_gt_i32_e32 vcc_lo, 16, v2
	v_add_co_u32 v70, s14, v70, v100
	s_delay_alu instid0(VALU_DEP_1) | instskip(SKIP_2) | instid1(SALU_CYCLE_1)
	v_add_co_ci_u32_e64 v71, s14, v71, v101, s14
	v_sub_nc_u32_e32 v133, v133, v83
	s_or_b32 s35, vcc_lo, s35
	s_and_not1_b32 exec_lo, exec_lo, s35
	s_cbranch_execz .LBB2_1112
.LBB2_394:                              ;   Parent Loop BB2_51 Depth=1
                                        ;     Parent Loop BB2_303 Depth=2
                                        ;       Parent Loop BB2_305 Depth=3
                                        ; =>      This Inner Loop Header: Depth=4
	global_load_b128 v[12:15], v[66:67], off slc dlc
	global_load_b128 v[8:11], v[68:69], off slc dlc
	s_and_b32 vcc_lo, exec_lo, s36
	s_waitcnt vmcnt(1)
	v_and_b32_e32 v135, 0xff, v12
	s_delay_alu instid0(VALU_DEP_1)
	v_cmp_lt_i16_e64 s14, 0x7f, v135
	s_cbranch_vccz .LBB2_404
; %bb.395:                              ;   in Loop: Header=BB2_394 Depth=4
	s_mov_b32 s37, 0
                                        ; implicit-def: $sgpr38
	s_delay_alu instid0(VALU_DEP_1) | instskip(NEXT) | instid1(SALU_CYCLE_1)
	s_and_saveexec_b32 vcc_lo, s14
	s_xor_b32 s14, exec_lo, vcc_lo
	s_cbranch_execnz .LBB2_856
; %bb.396:                              ;   in Loop: Header=BB2_394 Depth=4
	s_or_saveexec_b32 s14, s14
	v_mov_b32_e32 v144, s38
	s_xor_b32 exec_lo, exec_lo, s14
	s_cbranch_execnz .LBB2_859
.LBB2_397:                              ;   in Loop: Header=BB2_394 Depth=4
	s_or_b32 exec_lo, exec_lo, s14
	s_and_saveexec_b32 s14, s37
	s_cbranch_execz .LBB2_399
.LBB2_398:                              ;   in Loop: Header=BB2_394 Depth=4
	v_bfe_u32 v147, v12, 3, 4
	v_lshlrev_b32_e32 v148, 24, v12
	s_delay_alu instid0(VALU_DEP_2) | instskip(SKIP_1) | instid1(VALU_DEP_1)
	v_cmp_eq_u32_e32 vcc_lo, 0, v147
	v_and_b32_e32 v144, 7, v12
	v_clz_i32_u32_e32 v145, v144
	s_delay_alu instid0(VALU_DEP_1) | instskip(NEXT) | instid1(VALU_DEP_1)
	v_min_u32_e32 v145, 32, v145
	v_subrev_nc_u32_e32 v146, 28, v145
	v_sub_nc_u32_e32 v145, 29, v145
	s_delay_alu instid0(VALU_DEP_1) | instskip(NEXT) | instid1(VALU_DEP_1)
	v_dual_cndmask_b32 v145, v147, v145 :: v_dual_lshlrev_b32 v146, v146, v12
	v_and_b32_e32 v146, 7, v146
	s_delay_alu instid0(VALU_DEP_2) | instskip(NEXT) | instid1(VALU_DEP_2)
	v_lshl_add_u32 v145, v145, 23, 0x3b800000
	v_cndmask_b32_e32 v144, v144, v146, vcc_lo
	v_and_b32_e32 v146, 0x80000000, v148
	s_delay_alu instid0(VALU_DEP_2) | instskip(NEXT) | instid1(VALU_DEP_1)
	v_lshlrev_b32_e32 v144, 20, v144
	v_or3_b32 v144, v146, v145, v144
.LBB2_399:                              ;   in Loop: Header=BB2_394 Depth=4
	s_or_b32 exec_lo, exec_lo, s14
	s_waitcnt vmcnt(0)
	v_and_b32_e32 v146, 0xff, v8
	s_mov_b32 s14, 0
	s_mov_b32 s38, exec_lo
                                        ; implicit-def: $sgpr37
	s_delay_alu instid0(VALU_DEP_1)
	v_cmpx_lt_i16_e64 0x7f, v146
	s_xor_b32 s38, exec_lo, s38
	s_cbranch_execnz .LBB2_860
; %bb.400:                              ;   in Loop: Header=BB2_394 Depth=4
	s_or_saveexec_b32 s38, s38
	v_mov_b32_e32 v145, s37
	s_xor_b32 exec_lo, exec_lo, s38
	s_cbranch_execnz .LBB2_863
.LBB2_401:                              ;   in Loop: Header=BB2_394 Depth=4
	s_or_b32 exec_lo, exec_lo, s38
	s_and_saveexec_b32 s37, s14
	s_cbranch_execz .LBB2_403
.LBB2_402:                              ;   in Loop: Header=BB2_394 Depth=4
	v_bfe_u32 v148, v8, 3, 4
	v_lshlrev_b32_e32 v149, 24, v8
	s_delay_alu instid0(VALU_DEP_2) | instskip(SKIP_1) | instid1(VALU_DEP_1)
	v_cmp_eq_u32_e32 vcc_lo, 0, v148
	v_and_b32_e32 v145, 7, v8
	v_clz_i32_u32_e32 v146, v145
	s_delay_alu instid0(VALU_DEP_1) | instskip(NEXT) | instid1(VALU_DEP_1)
	v_min_u32_e32 v146, 32, v146
	v_subrev_nc_u32_e32 v147, 28, v146
	v_sub_nc_u32_e32 v146, 29, v146
	s_delay_alu instid0(VALU_DEP_1) | instskip(NEXT) | instid1(VALU_DEP_1)
	v_dual_cndmask_b32 v146, v148, v146 :: v_dual_lshlrev_b32 v147, v147, v8
	v_and_b32_e32 v147, 7, v147
	s_delay_alu instid0(VALU_DEP_2) | instskip(NEXT) | instid1(VALU_DEP_2)
	v_lshl_add_u32 v146, v146, 23, 0x3b800000
	v_cndmask_b32_e32 v145, v145, v147, vcc_lo
	v_and_b32_e32 v147, 0x80000000, v149
	s_delay_alu instid0(VALU_DEP_2) | instskip(NEXT) | instid1(VALU_DEP_1)
	v_lshlrev_b32_e32 v145, 20, v145
	v_or3_b32 v145, v147, v146, v145
.LBB2_403:                              ;   in Loop: Header=BB2_394 Depth=4
	s_or_b32 exec_lo, exec_lo, s37
	s_delay_alu instid0(VALU_DEP_1) | instskip(SKIP_1) | instid1(VALU_DEP_1)
	v_dual_max_f32 v145, v145, v145 :: v_dual_max_f32 v144, v144, v144
	s_mov_b32 s14, 0
	v_max_f32_e32 v144, v144, v145
	s_branch .LBB2_405
.LBB2_404:                              ;   in Loop: Header=BB2_394 Depth=4
	s_mov_b32 s14, -1
                                        ; implicit-def: $vgpr144
.LBB2_405:                              ;   in Loop: Header=BB2_394 Depth=4
	s_delay_alu instid0(SALU_CYCLE_1)
	s_and_b32 vcc_lo, exec_lo, s14
	s_cbranch_vccz .LBB2_415
; %bb.406:                              ;   in Loop: Header=BB2_394 Depth=4
	s_mov_b32 s14, 0
	s_mov_b32 s38, exec_lo
                                        ; implicit-def: $sgpr37
	v_cmpx_lt_i16_e64 0x7f, v135
	s_xor_b32 s38, exec_lo, s38
	s_cbranch_execnz .LBB2_864
; %bb.407:                              ;   in Loop: Header=BB2_394 Depth=4
	s_or_saveexec_b32 s38, s38
	v_mov_b32_e32 v144, s37
	s_xor_b32 exec_lo, exec_lo, s38
	s_cbranch_execnz .LBB2_867
.LBB2_408:                              ;   in Loop: Header=BB2_394 Depth=4
	s_or_b32 exec_lo, exec_lo, s38
	s_and_saveexec_b32 s37, s14
	s_cbranch_execz .LBB2_410
.LBB2_409:                              ;   in Loop: Header=BB2_394 Depth=4
	v_and_b32_e32 v135, 7, v12
	v_bfe_u32 v146, v12, 3, 4
	v_lshlrev_b32_e32 v147, 24, v12
	s_delay_alu instid0(VALU_DEP_3) | instskip(NEXT) | instid1(VALU_DEP_3)
	v_clz_i32_u32_e32 v144, v135
	v_cmp_eq_u32_e32 vcc_lo, 0, v146
	s_delay_alu instid0(VALU_DEP_2) | instskip(NEXT) | instid1(VALU_DEP_1)
	v_min_u32_e32 v144, 32, v144
	v_subrev_nc_u32_e32 v145, 28, v144
	v_sub_nc_u32_e32 v144, 29, v144
	s_delay_alu instid0(VALU_DEP_2) | instskip(NEXT) | instid1(VALU_DEP_1)
	v_lshlrev_b32_e32 v145, v145, v12
	v_dual_cndmask_b32 v144, v146, v144 :: v_dual_and_b32 v145, 7, v145
	s_delay_alu instid0(VALU_DEP_1) | instskip(NEXT) | instid1(VALU_DEP_2)
	v_lshl_add_u32 v144, v144, 23, 0x3b800000
	v_cndmask_b32_e32 v135, v135, v145, vcc_lo
	v_and_b32_e32 v145, 0x80000000, v147
	s_delay_alu instid0(VALU_DEP_2) | instskip(NEXT) | instid1(VALU_DEP_1)
	v_lshlrev_b32_e32 v135, 20, v135
	v_or3_b32 v144, v145, v144, v135
.LBB2_410:                              ;   in Loop: Header=BB2_394 Depth=4
	s_or_b32 exec_lo, exec_lo, s37
	s_waitcnt vmcnt(0)
	v_and_b32_e32 v145, 0xff, v8
	s_mov_b32 s14, 0
	s_mov_b32 s38, exec_lo
                                        ; implicit-def: $sgpr37
	s_delay_alu instid0(VALU_DEP_1)
	v_cmpx_lt_i16_e64 0x7f, v145
	s_xor_b32 s38, exec_lo, s38
	s_cbranch_execnz .LBB2_868
; %bb.411:                              ;   in Loop: Header=BB2_394 Depth=4
	s_or_saveexec_b32 s38, s38
	v_mov_b32_e32 v135, s37
	s_xor_b32 exec_lo, exec_lo, s38
	s_cbranch_execnz .LBB2_871
.LBB2_412:                              ;   in Loop: Header=BB2_394 Depth=4
	s_or_b32 exec_lo, exec_lo, s38
	s_and_saveexec_b32 s37, s14
	s_cbranch_execz .LBB2_414
.LBB2_413:                              ;   in Loop: Header=BB2_394 Depth=4
	v_and_b32_e32 v135, 7, v8
	v_bfe_u32 v147, v8, 3, 4
	s_delay_alu instid0(VALU_DEP_2) | instskip(NEXT) | instid1(VALU_DEP_2)
	v_clz_i32_u32_e32 v145, v135
	v_cmp_eq_u32_e32 vcc_lo, 0, v147
	s_delay_alu instid0(VALU_DEP_2) | instskip(NEXT) | instid1(VALU_DEP_1)
	v_min_u32_e32 v145, 32, v145
	v_subrev_nc_u32_e32 v146, 28, v145
	v_sub_nc_u32_e32 v145, 29, v145
	s_delay_alu instid0(VALU_DEP_1) | instskip(NEXT) | instid1(VALU_DEP_1)
	v_dual_cndmask_b32 v145, v147, v145 :: v_dual_lshlrev_b32 v146, v146, v8
	v_and_b32_e32 v146, 7, v146
	v_lshlrev_b32_e32 v148, 24, v8
	s_delay_alu instid0(VALU_DEP_3) | instskip(NEXT) | instid1(VALU_DEP_2)
	v_lshl_add_u32 v145, v145, 23, 0x3b800000
	v_dual_cndmask_b32 v135, v135, v146 :: v_dual_and_b32 v146, 0x80000000, v148
	s_delay_alu instid0(VALU_DEP_1) | instskip(NEXT) | instid1(VALU_DEP_1)
	v_lshlrev_b32_e32 v135, 20, v135
	v_or3_b32 v135, v146, v145, v135
.LBB2_414:                              ;   in Loop: Header=BB2_394 Depth=4
	s_or_b32 exec_lo, exec_lo, s37
	s_delay_alu instid0(VALU_DEP_1) | instskip(NEXT) | instid1(VALU_DEP_1)
	v_dual_max_f32 v135, v135, v135 :: v_dual_max_f32 v144, v144, v144
	v_min_f32_e32 v144, v144, v135
.LBB2_415:                              ;   in Loop: Header=BB2_394 Depth=4
	s_delay_alu instid0(VALU_DEP_1) | instskip(NEXT) | instid1(VALU_DEP_1)
	v_and_b32_e32 v135, 0x7f800000, v144
	v_cmp_ne_u32_e32 vcc_lo, 0x7f800000, v135
	v_mov_b32_e32 v135, 0x80
	s_and_saveexec_b32 s37, vcc_lo
	s_cbranch_execz .LBB2_423
; %bb.416:                              ;   in Loop: Header=BB2_394 Depth=4
	v_mov_b32_e32 v135, 0
	s_mov_b32 s38, exec_lo
	v_cmpx_ne_u32_e32 0, v144
	s_cbranch_execz .LBB2_422
; %bb.417:                              ;   in Loop: Header=BB2_394 Depth=4
	v_bfe_u32 v135, v144, 23, 8
	s_delay_alu instid0(VALU_DEP_1) | instskip(SKIP_1) | instid1(VALU_DEP_2)
	v_sub_nc_u32_e32 v146, 0x78, v135
	v_cmp_gt_u32_e32 vcc_lo, 0x79, v135
	v_dual_cndmask_b32 v146, 0, v146 :: v_dual_and_b32 v145, 0x7fffff, v144
	s_delay_alu instid0(VALU_DEP_1) | instskip(SKIP_2) | instid1(VALU_DEP_4)
	v_or_b32_e32 v147, 0x800000, v145
	v_cmp_eq_u32_e32 vcc_lo, 0, v135
	v_add_nc_u32_e32 v135, 0xffffff89, v135
	v_cndmask_b32_e64 v146, v146, 0x77, vcc_lo
	s_delay_alu instid0(VALU_DEP_2) | instskip(SKIP_1) | instid1(VALU_DEP_3)
	v_cndmask_b32_e64 v135, v135, 0xffffff8a, vcc_lo
	v_cndmask_b32_e32 v145, v147, v145, vcc_lo
	v_lshl_add_u32 v147, 0x100000, v146, -1
	v_lshlrev_b32_e64 v150, v146, 0x80000
	s_delay_alu instid0(VALU_DEP_3) | instskip(SKIP_1) | instid1(VALU_DEP_4)
	v_lshrrev_b32_e32 v148, v146, v145
	v_add_nc_u32_e32 v146, v146, v135
	v_and_b32_e32 v145, v147, v145
	s_delay_alu instid0(VALU_DEP_3) | instskip(NEXT) | instid1(VALU_DEP_2)
	v_bfe_u32 v149, v148, 20, 1
	v_cmp_eq_u32_e64 s14, v145, v150
	s_delay_alu instid0(VALU_DEP_2) | instskip(NEXT) | instid1(VALU_DEP_1)
	v_add_nc_u32_e32 v147, -1, v149
	v_cndmask_b32_e64 v145, 0, v147, s14
	v_lshrrev_b32_e32 v147, 23, v148
	s_mov_b32 s14, exec_lo
	s_delay_alu instid0(VALU_DEP_2) | instskip(NEXT) | instid1(VALU_DEP_2)
	v_add_nc_u32_e32 v145, v145, v148
	v_xor_b32_e32 v147, 1, v147
	s_delay_alu instid0(VALU_DEP_2) | instskip(NEXT) | instid1(VALU_DEP_1)
	v_and_b32_e32 v135, 0xfffff, v145
	v_add_nc_u32_e32 v145, v135, v148
                                        ; implicit-def: $vgpr135
	s_delay_alu instid0(VALU_DEP_3)
	v_cmpx_ne_u32_e64 v146, v147
	s_xor_b32 s14, exec_lo, s14
; %bb.418:                              ;   in Loop: Header=BB2_394 Depth=4
	s_delay_alu instid0(VALU_DEP_2) | instskip(SKIP_2) | instid1(VALU_DEP_2)
	v_cmp_lt_u32_e32 vcc_lo, 0xffffff, v145
	v_sub_nc_u32_e32 v135, v146, v147
	v_cndmask_b32_e64 v146, 0, 1, vcc_lo
	v_add_co_ci_u32_e32 v135, vcc_lo, 0, v135, vcc_lo
	s_delay_alu instid0(VALU_DEP_2)
	v_lshrrev_b32_e32 v145, v146, v145
; %bb.419:                              ;   in Loop: Header=BB2_394 Depth=4
	s_and_not1_saveexec_b32 s14, s14
; %bb.420:                              ;   in Loop: Header=BB2_394 Depth=4
	s_delay_alu instid0(VALU_DEP_1)
	v_bfe_u32 v135, v145, 23, 1
; %bb.421:                              ;   in Loop: Header=BB2_394 Depth=4
	s_or_b32 exec_lo, exec_lo, s14
	v_lshrrev_b32_e32 v145, 20, v145
	s_delay_alu instid0(VALU_DEP_2) | instskip(SKIP_2) | instid1(VALU_DEP_2)
	v_cmp_gt_i32_e32 vcc_lo, 16, v135
	v_lshrrev_b32_e32 v144, 24, v144
	v_min_i32_e32 v146, 15, v135
	v_dual_cndmask_b32 v145, 7, v145 :: v_dual_and_b32 v144, 0x80, v144
	s_delay_alu instid0(VALU_DEP_1) | instskip(SKIP_1) | instid1(VALU_DEP_2)
	v_or_b32_e32 v135, v135, v145
	v_and_b32_e32 v147, 7, v145
	v_cmp_ne_u32_e32 vcc_lo, 0, v135
	v_lshlrev_b32_e32 v146, 3, v146
	s_delay_alu instid0(VALU_DEP_1) | instskip(NEXT) | instid1(VALU_DEP_1)
	v_or3_b32 v144, v146, v144, v147
	v_cndmask_b32_e32 v135, 0, v144, vcc_lo
.LBB2_422:                              ;   in Loop: Header=BB2_394 Depth=4
	s_or_b32 exec_lo, exec_lo, s38
.LBB2_423:                              ;   in Loop: Header=BB2_394 Depth=4
	s_delay_alu instid0(SALU_CYCLE_1) | instskip(SKIP_4) | instid1(VALU_DEP_2)
	s_or_b32 exec_lo, exec_lo, s37
	v_lshrrev_b16 v145, 8, v12
	s_waitcnt vmcnt(0)
	v_lshrrev_b16 v144, 8, v8
	s_and_b32 vcc_lo, exec_lo, s36
	v_cmp_lt_i16_e64 s14, 0x7f, v145
	s_cbranch_vccz .LBB2_433
; %bb.424:                              ;   in Loop: Header=BB2_394 Depth=4
	s_mov_b32 s37, 0
                                        ; implicit-def: $sgpr38
	s_delay_alu instid0(VALU_DEP_1) | instskip(NEXT) | instid1(SALU_CYCLE_1)
	s_and_saveexec_b32 vcc_lo, s14
	s_xor_b32 s14, exec_lo, vcc_lo
	s_cbranch_execnz .LBB2_872
; %bb.425:                              ;   in Loop: Header=BB2_394 Depth=4
	s_or_saveexec_b32 s14, s14
	v_mov_b32_e32 v146, s38
	s_xor_b32 exec_lo, exec_lo, s14
	s_cbranch_execnz .LBB2_875
.LBB2_426:                              ;   in Loop: Header=BB2_394 Depth=4
	s_or_b32 exec_lo, exec_lo, s14
	s_and_saveexec_b32 s14, s37
	s_cbranch_execz .LBB2_428
.LBB2_427:                              ;   in Loop: Header=BB2_394 Depth=4
	v_and_b32_e32 v146, 0xffff, v145
	s_delay_alu instid0(VALU_DEP_1) | instskip(NEXT) | instid1(VALU_DEP_1)
	v_and_b32_e32 v147, 7, v146
	v_clz_i32_u32_e32 v148, v147
	s_delay_alu instid0(VALU_DEP_1) | instskip(NEXT) | instid1(VALU_DEP_1)
	v_min_u32_e32 v148, 32, v148
	v_subrev_nc_u32_e32 v149, 28, v148
	v_sub_nc_u32_e32 v148, 29, v148
	s_delay_alu instid0(VALU_DEP_2) | instskip(SKIP_1) | instid1(VALU_DEP_2)
	v_lshlrev_b32_e32 v149, v149, v146
	v_bfe_u32 v146, v146, 3, 4
	v_and_b32_e32 v149, 7, v149
	s_delay_alu instid0(VALU_DEP_2) | instskip(SKIP_1) | instid1(VALU_DEP_3)
	v_cmp_eq_u32_e32 vcc_lo, 0, v146
	v_cndmask_b32_e32 v146, v146, v148, vcc_lo
	v_dual_cndmask_b32 v147, v147, v149 :: v_dual_lshlrev_b32 v150, 16, v12
	s_delay_alu instid0(VALU_DEP_2) | instskip(NEXT) | instid1(VALU_DEP_2)
	v_lshl_add_u32 v146, v146, 23, 0x3b800000
	v_and_b32_e32 v148, 0x80000000, v150
	s_delay_alu instid0(VALU_DEP_3) | instskip(NEXT) | instid1(VALU_DEP_1)
	v_lshlrev_b32_e32 v147, 20, v147
	v_or3_b32 v146, v148, v146, v147
.LBB2_428:                              ;   in Loop: Header=BB2_394 Depth=4
	s_or_b32 exec_lo, exec_lo, s14
	s_mov_b32 s14, 0
	s_mov_b32 s38, exec_lo
                                        ; implicit-def: $sgpr37
	v_cmpx_lt_i16_e64 0x7f, v144
	s_xor_b32 s38, exec_lo, s38
	s_cbranch_execnz .LBB2_876
; %bb.429:                              ;   in Loop: Header=BB2_394 Depth=4
	s_or_saveexec_b32 s38, s38
	v_mov_b32_e32 v147, s37
	s_xor_b32 exec_lo, exec_lo, s38
	s_cbranch_execnz .LBB2_879
.LBB2_430:                              ;   in Loop: Header=BB2_394 Depth=4
	s_or_b32 exec_lo, exec_lo, s38
	s_and_saveexec_b32 s37, s14
	s_cbranch_execz .LBB2_432
.LBB2_431:                              ;   in Loop: Header=BB2_394 Depth=4
	v_and_b32_e32 v147, 0xffff, v144
	v_lshlrev_b32_e32 v151, 16, v8
	s_delay_alu instid0(VALU_DEP_2) | instskip(NEXT) | instid1(VALU_DEP_1)
	v_and_b32_e32 v148, 7, v147
	v_clz_i32_u32_e32 v149, v148
	s_delay_alu instid0(VALU_DEP_1) | instskip(NEXT) | instid1(VALU_DEP_1)
	v_min_u32_e32 v149, 32, v149
	v_subrev_nc_u32_e32 v150, 28, v149
	v_sub_nc_u32_e32 v149, 29, v149
	s_delay_alu instid0(VALU_DEP_2) | instskip(SKIP_1) | instid1(VALU_DEP_2)
	v_lshlrev_b32_e32 v150, v150, v147
	v_bfe_u32 v147, v147, 3, 4
	v_and_b32_e32 v150, 7, v150
	s_delay_alu instid0(VALU_DEP_2) | instskip(NEXT) | instid1(VALU_DEP_2)
	v_cmp_eq_u32_e32 vcc_lo, 0, v147
	v_dual_cndmask_b32 v147, v147, v149 :: v_dual_cndmask_b32 v148, v148, v150
	v_and_b32_e32 v149, 0x80000000, v151
	s_delay_alu instid0(VALU_DEP_2) | instskip(NEXT) | instid1(VALU_DEP_3)
	v_lshl_add_u32 v147, v147, 23, 0x3b800000
	v_lshlrev_b32_e32 v148, 20, v148
	s_delay_alu instid0(VALU_DEP_1)
	v_or3_b32 v147, v149, v147, v148
.LBB2_432:                              ;   in Loop: Header=BB2_394 Depth=4
	s_or_b32 exec_lo, exec_lo, s37
	s_delay_alu instid0(VALU_DEP_1) | instskip(SKIP_1) | instid1(VALU_DEP_1)
	v_dual_max_f32 v147, v147, v147 :: v_dual_max_f32 v146, v146, v146
	s_mov_b32 s14, 0
	v_max_f32_e32 v146, v146, v147
	s_branch .LBB2_434
.LBB2_433:                              ;   in Loop: Header=BB2_394 Depth=4
	s_mov_b32 s14, -1
                                        ; implicit-def: $vgpr146
.LBB2_434:                              ;   in Loop: Header=BB2_394 Depth=4
	s_delay_alu instid0(SALU_CYCLE_1)
	s_and_b32 vcc_lo, exec_lo, s14
	s_cbranch_vccz .LBB2_444
; %bb.435:                              ;   in Loop: Header=BB2_394 Depth=4
	s_mov_b32 s14, 0
	s_mov_b32 s38, exec_lo
                                        ; implicit-def: $sgpr37
	v_cmpx_lt_i16_e64 0x7f, v145
	s_xor_b32 s38, exec_lo, s38
	s_cbranch_execnz .LBB2_880
; %bb.436:                              ;   in Loop: Header=BB2_394 Depth=4
	s_or_saveexec_b32 s38, s38
	v_mov_b32_e32 v146, s37
	s_xor_b32 exec_lo, exec_lo, s38
	s_cbranch_execnz .LBB2_883
.LBB2_437:                              ;   in Loop: Header=BB2_394 Depth=4
	s_or_b32 exec_lo, exec_lo, s38
	s_and_saveexec_b32 s37, s14
	s_cbranch_execz .LBB2_439
.LBB2_438:                              ;   in Loop: Header=BB2_394 Depth=4
	v_and_b32_e32 v145, 0xffff, v145
	v_lshlrev_b32_e32 v149, 16, v12
	s_delay_alu instid0(VALU_DEP_2) | instskip(NEXT) | instid1(VALU_DEP_1)
	v_and_b32_e32 v146, 7, v145
	v_clz_i32_u32_e32 v147, v146
	s_delay_alu instid0(VALU_DEP_1) | instskip(NEXT) | instid1(VALU_DEP_1)
	v_min_u32_e32 v147, 32, v147
	v_subrev_nc_u32_e32 v148, 28, v147
	v_sub_nc_u32_e32 v147, 29, v147
	s_delay_alu instid0(VALU_DEP_2) | instskip(SKIP_1) | instid1(VALU_DEP_2)
	v_lshlrev_b32_e32 v148, v148, v145
	v_bfe_u32 v145, v145, 3, 4
	v_and_b32_e32 v148, 7, v148
	s_delay_alu instid0(VALU_DEP_2) | instskip(NEXT) | instid1(VALU_DEP_2)
	v_cmp_eq_u32_e32 vcc_lo, 0, v145
	v_dual_cndmask_b32 v145, v145, v147 :: v_dual_cndmask_b32 v146, v146, v148
	v_and_b32_e32 v147, 0x80000000, v149
	s_delay_alu instid0(VALU_DEP_2) | instskip(NEXT) | instid1(VALU_DEP_3)
	v_lshl_add_u32 v145, v145, 23, 0x3b800000
	v_lshlrev_b32_e32 v146, 20, v146
	s_delay_alu instid0(VALU_DEP_1)
	v_or3_b32 v146, v147, v145, v146
.LBB2_439:                              ;   in Loop: Header=BB2_394 Depth=4
	s_or_b32 exec_lo, exec_lo, s37
	s_mov_b32 s14, 0
	s_mov_b32 s38, exec_lo
                                        ; implicit-def: $sgpr37
	v_cmpx_lt_i16_e64 0x7f, v144
	s_xor_b32 s38, exec_lo, s38
	s_cbranch_execnz .LBB2_884
; %bb.440:                              ;   in Loop: Header=BB2_394 Depth=4
	s_or_saveexec_b32 s38, s38
	v_mov_b32_e32 v145, s37
	s_xor_b32 exec_lo, exec_lo, s38
	s_cbranch_execnz .LBB2_887
.LBB2_441:                              ;   in Loop: Header=BB2_394 Depth=4
	s_or_b32 exec_lo, exec_lo, s38
	s_and_saveexec_b32 s37, s14
	s_cbranch_execz .LBB2_443
.LBB2_442:                              ;   in Loop: Header=BB2_394 Depth=4
	v_and_b32_e32 v144, 0xffff, v144
	v_lshlrev_b32_e32 v149, 16, v8
	s_delay_alu instid0(VALU_DEP_2) | instskip(NEXT) | instid1(VALU_DEP_1)
	v_and_b32_e32 v145, 7, v144
	v_clz_i32_u32_e32 v147, v145
	s_delay_alu instid0(VALU_DEP_1) | instskip(NEXT) | instid1(VALU_DEP_1)
	v_min_u32_e32 v147, 32, v147
	v_subrev_nc_u32_e32 v148, 28, v147
	v_sub_nc_u32_e32 v147, 29, v147
	s_delay_alu instid0(VALU_DEP_2) | instskip(SKIP_1) | instid1(VALU_DEP_2)
	v_lshlrev_b32_e32 v148, v148, v144
	v_bfe_u32 v144, v144, 3, 4
	v_and_b32_e32 v148, 7, v148
	s_delay_alu instid0(VALU_DEP_2) | instskip(NEXT) | instid1(VALU_DEP_2)
	v_cmp_eq_u32_e32 vcc_lo, 0, v144
	v_dual_cndmask_b32 v144, v144, v147 :: v_dual_cndmask_b32 v145, v145, v148
	v_and_b32_e32 v147, 0x80000000, v149
	s_delay_alu instid0(VALU_DEP_2) | instskip(NEXT) | instid1(VALU_DEP_3)
	v_lshl_add_u32 v144, v144, 23, 0x3b800000
	v_lshlrev_b32_e32 v145, 20, v145
	s_delay_alu instid0(VALU_DEP_1)
	v_or3_b32 v145, v147, v144, v145
.LBB2_443:                              ;   in Loop: Header=BB2_394 Depth=4
	s_or_b32 exec_lo, exec_lo, s37
	s_delay_alu instid0(VALU_DEP_1) | instskip(NEXT) | instid1(VALU_DEP_1)
	v_dual_max_f32 v144, v145, v145 :: v_dual_max_f32 v145, v146, v146
	v_min_f32_e32 v146, v145, v144
.LBB2_444:                              ;   in Loop: Header=BB2_394 Depth=4
	s_delay_alu instid0(VALU_DEP_1) | instskip(NEXT) | instid1(VALU_DEP_1)
	v_and_b32_e32 v144, 0x7f800000, v146
	v_cmp_ne_u32_e32 vcc_lo, 0x7f800000, v144
	v_mov_b32_e32 v144, 0x80
	s_and_saveexec_b32 s37, vcc_lo
	s_cbranch_execz .LBB2_452
; %bb.445:                              ;   in Loop: Header=BB2_394 Depth=4
	v_mov_b32_e32 v144, 0
	s_mov_b32 s38, exec_lo
	v_cmpx_ne_u32_e32 0, v146
	s_cbranch_execz .LBB2_451
; %bb.446:                              ;   in Loop: Header=BB2_394 Depth=4
	v_bfe_u32 v144, v146, 23, 8
	v_and_b32_e32 v145, 0x7fffff, v146
	s_delay_alu instid0(VALU_DEP_2) | instskip(SKIP_1) | instid1(VALU_DEP_3)
	v_sub_nc_u32_e32 v147, 0x78, v144
	v_cmp_gt_u32_e32 vcc_lo, 0x79, v144
	v_or_b32_e32 v148, 0x800000, v145
	s_delay_alu instid0(VALU_DEP_3) | instskip(SKIP_2) | instid1(VALU_DEP_3)
	v_cndmask_b32_e32 v147, 0, v147, vcc_lo
	v_cmp_eq_u32_e32 vcc_lo, 0, v144
	v_add_nc_u32_e32 v144, 0xffffff89, v144
	v_cndmask_b32_e64 v147, v147, 0x77, vcc_lo
	v_cndmask_b32_e32 v145, v148, v145, vcc_lo
	s_delay_alu instid0(VALU_DEP_3) | instskip(NEXT) | instid1(VALU_DEP_3)
	v_cndmask_b32_e64 v144, v144, 0xffffff8a, vcc_lo
	v_lshl_add_u32 v148, 0x100000, v147, -1
	s_delay_alu instid0(VALU_DEP_3) | instskip(SKIP_1) | instid1(VALU_DEP_4)
	v_lshrrev_b32_e32 v149, v147, v145
	v_lshlrev_b32_e64 v151, v147, 0x80000
	v_add_nc_u32_e32 v147, v147, v144
	s_delay_alu instid0(VALU_DEP_4) | instskip(NEXT) | instid1(VALU_DEP_4)
	v_and_b32_e32 v145, v148, v145
	v_bfe_u32 v150, v149, 20, 1
	s_delay_alu instid0(VALU_DEP_2) | instskip(NEXT) | instid1(VALU_DEP_2)
	v_cmp_eq_u32_e64 s14, v145, v151
	v_add_nc_u32_e32 v148, -1, v150
	s_delay_alu instid0(VALU_DEP_1) | instskip(SKIP_2) | instid1(VALU_DEP_2)
	v_cndmask_b32_e64 v145, 0, v148, s14
	v_lshrrev_b32_e32 v148, 23, v149
	s_mov_b32 s14, exec_lo
	v_add_nc_u32_e32 v145, v145, v149
	s_delay_alu instid0(VALU_DEP_2) | instskip(NEXT) | instid1(VALU_DEP_2)
	v_xor_b32_e32 v148, 1, v148
	v_and_b32_e32 v144, 0xfffff, v145
	s_delay_alu instid0(VALU_DEP_1) | instskip(NEXT) | instid1(VALU_DEP_3)
	v_add_nc_u32_e32 v145, v144, v149
                                        ; implicit-def: $vgpr144
	v_cmpx_ne_u32_e64 v147, v148
	s_xor_b32 s14, exec_lo, s14
; %bb.447:                              ;   in Loop: Header=BB2_394 Depth=4
	s_delay_alu instid0(VALU_DEP_2) | instskip(SKIP_2) | instid1(VALU_DEP_2)
	v_cmp_lt_u32_e32 vcc_lo, 0xffffff, v145
	v_sub_nc_u32_e32 v144, v147, v148
	v_cndmask_b32_e64 v147, 0, 1, vcc_lo
	v_add_co_ci_u32_e32 v144, vcc_lo, 0, v144, vcc_lo
	s_delay_alu instid0(VALU_DEP_2)
	v_lshrrev_b32_e32 v145, v147, v145
; %bb.448:                              ;   in Loop: Header=BB2_394 Depth=4
	s_and_not1_saveexec_b32 s14, s14
; %bb.449:                              ;   in Loop: Header=BB2_394 Depth=4
	s_delay_alu instid0(VALU_DEP_1)
	v_bfe_u32 v144, v145, 23, 1
; %bb.450:                              ;   in Loop: Header=BB2_394 Depth=4
	s_or_b32 exec_lo, exec_lo, s14
	v_lshrrev_b32_e32 v145, 20, v145
	s_delay_alu instid0(VALU_DEP_2) | instskip(SKIP_2) | instid1(VALU_DEP_2)
	v_cmp_gt_i32_e32 vcc_lo, 16, v144
	v_lshrrev_b32_e32 v146, 24, v146
	v_min_i32_e32 v147, 15, v144
	v_dual_cndmask_b32 v145, 7, v145 :: v_dual_and_b32 v146, 0x80, v146
	s_delay_alu instid0(VALU_DEP_1) | instskip(SKIP_1) | instid1(VALU_DEP_2)
	v_or_b32_e32 v144, v144, v145
	v_and_b32_e32 v148, 7, v145
	v_cmp_ne_u32_e32 vcc_lo, 0, v144
	v_lshlrev_b32_e32 v147, 3, v147
	s_delay_alu instid0(VALU_DEP_1) | instskip(NEXT) | instid1(VALU_DEP_1)
	v_or3_b32 v145, v147, v146, v148
	v_cndmask_b32_e32 v144, 0, v145, vcc_lo
.LBB2_451:                              ;   in Loop: Header=BB2_394 Depth=4
	s_or_b32 exec_lo, exec_lo, s38
.LBB2_452:                              ;   in Loop: Header=BB2_394 Depth=4
	s_delay_alu instid0(SALU_CYCLE_1) | instskip(SKIP_3) | instid1(VALU_DEP_2)
	s_or_b32 exec_lo, exec_lo, s37
	v_lshrrev_b32_e32 v146, 16, v12
	v_lshrrev_b32_e32 v145, 16, v8
	s_and_b32 vcc_lo, exec_lo, s36
	v_and_b32_e32 v147, 0xff, v146
	s_delay_alu instid0(VALU_DEP_1)
	v_cmp_lt_i16_e64 s14, 0x7f, v147
	s_cbranch_vccz .LBB2_462
; %bb.453:                              ;   in Loop: Header=BB2_394 Depth=4
	s_mov_b32 s37, 0
                                        ; implicit-def: $sgpr38
	s_delay_alu instid0(VALU_DEP_1) | instskip(NEXT) | instid1(SALU_CYCLE_1)
	s_and_saveexec_b32 vcc_lo, s14
	s_xor_b32 s14, exec_lo, vcc_lo
	s_cbranch_execnz .LBB2_888
; %bb.454:                              ;   in Loop: Header=BB2_394 Depth=4
	s_or_saveexec_b32 s14, s14
	v_mov_b32_e32 v148, s38
	s_xor_b32 exec_lo, exec_lo, s14
	s_cbranch_execnz .LBB2_891
.LBB2_455:                              ;   in Loop: Header=BB2_394 Depth=4
	s_or_b32 exec_lo, exec_lo, s14
	s_and_saveexec_b32 s14, s37
	s_cbranch_execz .LBB2_457
.LBB2_456:                              ;   in Loop: Header=BB2_394 Depth=4
	v_bfe_u32 v148, v12, 16, 3
	v_bfe_u32 v151, v12, 19, 4
	v_lshlrev_b32_e32 v160, 24, v146
	s_delay_alu instid0(VALU_DEP_3) | instskip(NEXT) | instid1(VALU_DEP_3)
	v_clz_i32_u32_e32 v149, v148
	v_cmp_eq_u32_e32 vcc_lo, 0, v151
	s_delay_alu instid0(VALU_DEP_2) | instskip(NEXT) | instid1(VALU_DEP_1)
	v_min_u32_e32 v149, 32, v149
	v_subrev_nc_u32_e32 v150, 28, v149
	v_sub_nc_u32_e32 v149, 29, v149
	s_delay_alu instid0(VALU_DEP_1) | instskip(NEXT) | instid1(VALU_DEP_1)
	v_dual_cndmask_b32 v149, v151, v149 :: v_dual_lshlrev_b32 v150, v150, v146
	v_and_b32_e32 v150, 7, v150
	s_delay_alu instid0(VALU_DEP_2) | instskip(NEXT) | instid1(VALU_DEP_2)
	v_lshl_add_u32 v149, v149, 23, 0x3b800000
	v_cndmask_b32_e32 v148, v148, v150, vcc_lo
	v_and_b32_e32 v150, 0x80000000, v160
	s_delay_alu instid0(VALU_DEP_2) | instskip(NEXT) | instid1(VALU_DEP_1)
	v_lshlrev_b32_e32 v148, 20, v148
	v_or3_b32 v148, v150, v149, v148
.LBB2_457:                              ;   in Loop: Header=BB2_394 Depth=4
	s_or_b32 exec_lo, exec_lo, s14
	v_and_b32_e32 v150, 0xff, v145
	s_mov_b32 s14, 0
	s_mov_b32 s38, exec_lo
                                        ; implicit-def: $sgpr37
	s_delay_alu instid0(VALU_DEP_1)
	v_cmpx_lt_i16_e64 0x7f, v150
	s_xor_b32 s38, exec_lo, s38
	s_cbranch_execnz .LBB2_892
; %bb.458:                              ;   in Loop: Header=BB2_394 Depth=4
	s_or_saveexec_b32 s38, s38
	v_mov_b32_e32 v149, s37
	s_xor_b32 exec_lo, exec_lo, s38
	s_cbranch_execnz .LBB2_895
.LBB2_459:                              ;   in Loop: Header=BB2_394 Depth=4
	s_or_b32 exec_lo, exec_lo, s38
	s_and_saveexec_b32 s37, s14
	s_cbranch_execz .LBB2_461
.LBB2_460:                              ;   in Loop: Header=BB2_394 Depth=4
	v_bfe_u32 v149, v8, 16, 3
	v_bfe_u32 v160, v8, 19, 4
	v_lshlrev_b32_e32 v161, 24, v145
	s_delay_alu instid0(VALU_DEP_3) | instskip(NEXT) | instid1(VALU_DEP_3)
	v_clz_i32_u32_e32 v150, v149
	v_cmp_eq_u32_e32 vcc_lo, 0, v160
	s_delay_alu instid0(VALU_DEP_2) | instskip(NEXT) | instid1(VALU_DEP_1)
	v_min_u32_e32 v150, 32, v150
	v_subrev_nc_u32_e32 v151, 28, v150
	v_sub_nc_u32_e32 v150, 29, v150
	s_delay_alu instid0(VALU_DEP_1) | instskip(NEXT) | instid1(VALU_DEP_1)
	v_dual_cndmask_b32 v150, v160, v150 :: v_dual_lshlrev_b32 v151, v151, v145
	v_and_b32_e32 v151, 7, v151
	s_delay_alu instid0(VALU_DEP_2) | instskip(NEXT) | instid1(VALU_DEP_2)
	v_lshl_add_u32 v150, v150, 23, 0x3b800000
	v_cndmask_b32_e32 v149, v149, v151, vcc_lo
	v_and_b32_e32 v151, 0x80000000, v161
	s_delay_alu instid0(VALU_DEP_2) | instskip(NEXT) | instid1(VALU_DEP_1)
	v_lshlrev_b32_e32 v149, 20, v149
	v_or3_b32 v149, v151, v150, v149
.LBB2_461:                              ;   in Loop: Header=BB2_394 Depth=4
	s_or_b32 exec_lo, exec_lo, s37
	s_delay_alu instid0(VALU_DEP_1) | instskip(SKIP_1) | instid1(VALU_DEP_1)
	v_dual_max_f32 v149, v149, v149 :: v_dual_max_f32 v148, v148, v148
	s_mov_b32 s14, 0
	v_max_f32_e32 v148, v148, v149
	s_branch .LBB2_463
.LBB2_462:                              ;   in Loop: Header=BB2_394 Depth=4
	s_mov_b32 s14, -1
                                        ; implicit-def: $vgpr148
.LBB2_463:                              ;   in Loop: Header=BB2_394 Depth=4
	s_delay_alu instid0(SALU_CYCLE_1)
	s_and_b32 vcc_lo, exec_lo, s14
	s_cbranch_vccz .LBB2_473
; %bb.464:                              ;   in Loop: Header=BB2_394 Depth=4
	s_mov_b32 s14, 0
	s_mov_b32 s38, exec_lo
                                        ; implicit-def: $sgpr37
	v_cmpx_lt_i16_e64 0x7f, v147
	s_xor_b32 s38, exec_lo, s38
	s_cbranch_execnz .LBB2_896
; %bb.465:                              ;   in Loop: Header=BB2_394 Depth=4
	s_or_saveexec_b32 s38, s38
	v_mov_b32_e32 v148, s37
	s_xor_b32 exec_lo, exec_lo, s38
	s_cbranch_execnz .LBB2_899
.LBB2_466:                              ;   in Loop: Header=BB2_394 Depth=4
	s_or_b32 exec_lo, exec_lo, s38
	s_and_saveexec_b32 s37, s14
	s_cbranch_execz .LBB2_468
.LBB2_467:                              ;   in Loop: Header=BB2_394 Depth=4
	v_bfe_u32 v147, v12, 16, 3
	v_bfe_u32 v150, v12, 19, 4
	s_delay_alu instid0(VALU_DEP_2) | instskip(NEXT) | instid1(VALU_DEP_2)
	v_clz_i32_u32_e32 v148, v147
	v_cmp_eq_u32_e32 vcc_lo, 0, v150
	s_delay_alu instid0(VALU_DEP_2) | instskip(NEXT) | instid1(VALU_DEP_1)
	v_min_u32_e32 v148, 32, v148
	v_subrev_nc_u32_e32 v149, 28, v148
	v_sub_nc_u32_e32 v148, 29, v148
	s_delay_alu instid0(VALU_DEP_1) | instskip(NEXT) | instid1(VALU_DEP_1)
	v_dual_cndmask_b32 v148, v150, v148 :: v_dual_lshlrev_b32 v149, v149, v146
	v_and_b32_e32 v149, 7, v149
	v_lshlrev_b32_e32 v146, 24, v146
	s_delay_alu instid0(VALU_DEP_3) | instskip(NEXT) | instid1(VALU_DEP_2)
	v_lshl_add_u32 v148, v148, 23, 0x3b800000
	v_dual_cndmask_b32 v147, v147, v149 :: v_dual_and_b32 v146, 0x80000000, v146
	s_delay_alu instid0(VALU_DEP_1) | instskip(NEXT) | instid1(VALU_DEP_1)
	v_lshlrev_b32_e32 v147, 20, v147
	v_or3_b32 v148, v146, v148, v147
.LBB2_468:                              ;   in Loop: Header=BB2_394 Depth=4
	s_or_b32 exec_lo, exec_lo, s37
	v_and_b32_e32 v147, 0xff, v145
	s_mov_b32 s14, 0
	s_mov_b32 s38, exec_lo
                                        ; implicit-def: $sgpr37
	s_delay_alu instid0(VALU_DEP_1)
	v_cmpx_lt_i16_e64 0x7f, v147
	s_xor_b32 s38, exec_lo, s38
	s_cbranch_execnz .LBB2_900
; %bb.469:                              ;   in Loop: Header=BB2_394 Depth=4
	s_or_saveexec_b32 s38, s38
	v_mov_b32_e32 v146, s37
	s_xor_b32 exec_lo, exec_lo, s38
	s_cbranch_execnz .LBB2_903
.LBB2_470:                              ;   in Loop: Header=BB2_394 Depth=4
	s_or_b32 exec_lo, exec_lo, s38
	s_and_saveexec_b32 s37, s14
	s_cbranch_execz .LBB2_472
.LBB2_471:                              ;   in Loop: Header=BB2_394 Depth=4
	v_bfe_u32 v146, v8, 16, 3
	v_bfe_u32 v150, v8, 19, 4
	s_delay_alu instid0(VALU_DEP_2) | instskip(NEXT) | instid1(VALU_DEP_2)
	v_clz_i32_u32_e32 v147, v146
	v_cmp_eq_u32_e32 vcc_lo, 0, v150
	s_delay_alu instid0(VALU_DEP_2) | instskip(NEXT) | instid1(VALU_DEP_1)
	v_min_u32_e32 v147, 32, v147
	v_subrev_nc_u32_e32 v149, 28, v147
	v_sub_nc_u32_e32 v147, 29, v147
	s_delay_alu instid0(VALU_DEP_2) | instskip(SKIP_1) | instid1(VALU_DEP_2)
	v_lshlrev_b32_e32 v149, v149, v145
	v_lshlrev_b32_e32 v145, 24, v145
	v_and_b32_e32 v149, 7, v149
	s_delay_alu instid0(VALU_DEP_2) | instskip(NEXT) | instid1(VALU_DEP_2)
	v_and_b32_e32 v145, 0x80000000, v145
	v_cndmask_b32_e32 v146, v146, v149, vcc_lo
	s_delay_alu instid0(VALU_DEP_1) | instskip(NEXT) | instid1(VALU_DEP_1)
	v_dual_cndmask_b32 v147, v150, v147 :: v_dual_lshlrev_b32 v146, 20, v146
	v_lshl_add_u32 v147, v147, 23, 0x3b800000
	s_delay_alu instid0(VALU_DEP_1)
	v_or3_b32 v146, v145, v147, v146
.LBB2_472:                              ;   in Loop: Header=BB2_394 Depth=4
	s_or_b32 exec_lo, exec_lo, s37
	s_delay_alu instid0(VALU_DEP_1) | instskip(NEXT) | instid1(VALU_DEP_1)
	v_dual_max_f32 v145, v146, v146 :: v_dual_max_f32 v146, v148, v148
	v_min_f32_e32 v148, v146, v145
.LBB2_473:                              ;   in Loop: Header=BB2_394 Depth=4
	s_delay_alu instid0(VALU_DEP_1) | instskip(NEXT) | instid1(VALU_DEP_1)
	v_and_b32_e32 v145, 0x7f800000, v148
	v_cmp_ne_u32_e32 vcc_lo, 0x7f800000, v145
	v_mov_b32_e32 v145, 0x80
	s_and_saveexec_b32 s37, vcc_lo
	s_cbranch_execz .LBB2_481
; %bb.474:                              ;   in Loop: Header=BB2_394 Depth=4
	v_mov_b32_e32 v145, 0
	s_mov_b32 s38, exec_lo
	v_cmpx_ne_u32_e32 0, v148
	s_cbranch_execz .LBB2_480
; %bb.475:                              ;   in Loop: Header=BB2_394 Depth=4
	v_bfe_u32 v145, v148, 23, 8
	s_delay_alu instid0(VALU_DEP_1) | instskip(SKIP_1) | instid1(VALU_DEP_2)
	v_sub_nc_u32_e32 v147, 0x78, v145
	v_cmp_gt_u32_e32 vcc_lo, 0x79, v145
	v_dual_cndmask_b32 v147, 0, v147 :: v_dual_and_b32 v146, 0x7fffff, v148
	s_delay_alu instid0(VALU_DEP_1) | instskip(SKIP_2) | instid1(VALU_DEP_4)
	v_or_b32_e32 v149, 0x800000, v146
	v_cmp_eq_u32_e32 vcc_lo, 0, v145
	v_add_nc_u32_e32 v145, 0xffffff89, v145
	v_cndmask_b32_e64 v147, v147, 0x77, vcc_lo
	s_delay_alu instid0(VALU_DEP_4) | instskip(NEXT) | instid1(VALU_DEP_3)
	v_cndmask_b32_e32 v146, v149, v146, vcc_lo
	v_cndmask_b32_e64 v145, v145, 0xffffff8a, vcc_lo
	s_delay_alu instid0(VALU_DEP_3) | instskip(NEXT) | instid1(VALU_DEP_3)
	v_lshl_add_u32 v149, 0x100000, v147, -1
	v_lshrrev_b32_e32 v150, v147, v146
	v_lshlrev_b32_e64 v160, v147, 0x80000
	s_delay_alu instid0(VALU_DEP_4) | instskip(NEXT) | instid1(VALU_DEP_4)
	v_add_nc_u32_e32 v147, v147, v145
	v_and_b32_e32 v146, v149, v146
	s_delay_alu instid0(VALU_DEP_4) | instskip(NEXT) | instid1(VALU_DEP_2)
	v_bfe_u32 v151, v150, 20, 1
	v_cmp_eq_u32_e64 s14, v146, v160
	s_delay_alu instid0(VALU_DEP_2) | instskip(NEXT) | instid1(VALU_DEP_1)
	v_add_nc_u32_e32 v149, -1, v151
	v_cndmask_b32_e64 v146, 0, v149, s14
	v_lshrrev_b32_e32 v149, 23, v150
	s_mov_b32 s14, exec_lo
	s_delay_alu instid0(VALU_DEP_2) | instskip(NEXT) | instid1(VALU_DEP_2)
	v_add_nc_u32_e32 v146, v146, v150
	v_xor_b32_e32 v149, 1, v149
	s_delay_alu instid0(VALU_DEP_2) | instskip(NEXT) | instid1(VALU_DEP_1)
	v_and_b32_e32 v145, 0xfffff, v146
	v_add_nc_u32_e32 v146, v145, v150
                                        ; implicit-def: $vgpr145
	s_delay_alu instid0(VALU_DEP_3)
	v_cmpx_ne_u32_e64 v147, v149
	s_xor_b32 s14, exec_lo, s14
; %bb.476:                              ;   in Loop: Header=BB2_394 Depth=4
	s_delay_alu instid0(VALU_DEP_2) | instskip(SKIP_2) | instid1(VALU_DEP_2)
	v_cmp_lt_u32_e32 vcc_lo, 0xffffff, v146
	v_sub_nc_u32_e32 v145, v147, v149
	v_cndmask_b32_e64 v147, 0, 1, vcc_lo
	v_add_co_ci_u32_e32 v145, vcc_lo, 0, v145, vcc_lo
	s_delay_alu instid0(VALU_DEP_2)
	v_lshrrev_b32_e32 v146, v147, v146
; %bb.477:                              ;   in Loop: Header=BB2_394 Depth=4
	s_and_not1_saveexec_b32 s14, s14
; %bb.478:                              ;   in Loop: Header=BB2_394 Depth=4
	s_delay_alu instid0(VALU_DEP_1)
	v_bfe_u32 v145, v146, 23, 1
; %bb.479:                              ;   in Loop: Header=BB2_394 Depth=4
	s_or_b32 exec_lo, exec_lo, s14
	v_lshrrev_b32_e32 v146, 20, v146
	s_delay_alu instid0(VALU_DEP_2) | instskip(SKIP_2) | instid1(VALU_DEP_2)
	v_cmp_gt_i32_e32 vcc_lo, 16, v145
	v_lshrrev_b32_e32 v147, 24, v148
	v_min_i32_e32 v148, 15, v145
	v_dual_cndmask_b32 v146, 7, v146 :: v_dual_and_b32 v147, 0x80, v147
	s_delay_alu instid0(VALU_DEP_1) | instskip(SKIP_1) | instid1(VALU_DEP_2)
	v_or_b32_e32 v145, v145, v146
	v_and_b32_e32 v149, 7, v146
	v_cmp_ne_u32_e32 vcc_lo, 0, v145
	v_lshlrev_b32_e32 v148, 3, v148
	s_delay_alu instid0(VALU_DEP_1) | instskip(NEXT) | instid1(VALU_DEP_1)
	v_or3_b32 v146, v148, v147, v149
	v_cndmask_b32_e32 v145, 0, v146, vcc_lo
.LBB2_480:                              ;   in Loop: Header=BB2_394 Depth=4
	s_or_b32 exec_lo, exec_lo, s38
.LBB2_481:                              ;   in Loop: Header=BB2_394 Depth=4
	s_delay_alu instid0(SALU_CYCLE_1) | instskip(SKIP_3) | instid1(VALU_DEP_2)
	s_or_b32 exec_lo, exec_lo, s37
	v_lshrrev_b32_e32 v147, 24, v12
	v_lshrrev_b32_e32 v146, 24, v8
	s_and_b32 vcc_lo, exec_lo, s36
	v_cmp_lt_i16_e64 s14, 0x7f, v147
	s_cbranch_vccz .LBB2_491
; %bb.482:                              ;   in Loop: Header=BB2_394 Depth=4
	s_mov_b32 s37, 0
                                        ; implicit-def: $sgpr38
	s_delay_alu instid0(VALU_DEP_1) | instskip(NEXT) | instid1(SALU_CYCLE_1)
	s_and_saveexec_b32 vcc_lo, s14
	s_xor_b32 s14, exec_lo, vcc_lo
	s_cbranch_execnz .LBB2_904
; %bb.483:                              ;   in Loop: Header=BB2_394 Depth=4
	s_or_saveexec_b32 s14, s14
	v_mov_b32_e32 v148, s38
	s_xor_b32 exec_lo, exec_lo, s14
	s_cbranch_execnz .LBB2_907
.LBB2_484:                              ;   in Loop: Header=BB2_394 Depth=4
	s_or_b32 exec_lo, exec_lo, s14
	s_and_saveexec_b32 s14, s37
	s_cbranch_execz .LBB2_486
.LBB2_485:                              ;   in Loop: Header=BB2_394 Depth=4
	v_bfe_u32 v148, v12, 24, 3
	v_bfe_u32 v151, v12, 27, 4
	s_delay_alu instid0(VALU_DEP_2) | instskip(NEXT) | instid1(VALU_DEP_2)
	v_clz_i32_u32_e32 v149, v148
	v_cmp_eq_u32_e32 vcc_lo, 0, v151
	s_delay_alu instid0(VALU_DEP_2) | instskip(NEXT) | instid1(VALU_DEP_1)
	v_min_u32_e32 v149, 32, v149
	v_subrev_nc_u32_e32 v150, 28, v149
	v_sub_nc_u32_e32 v149, 29, v149
	s_delay_alu instid0(VALU_DEP_1) | instskip(NEXT) | instid1(VALU_DEP_1)
	v_dual_cndmask_b32 v149, v151, v149 :: v_dual_lshlrev_b32 v150, v150, v147
	v_and_b32_e32 v150, 7, v150
	s_delay_alu instid0(VALU_DEP_2) | instskip(NEXT) | instid1(VALU_DEP_2)
	v_lshl_add_u32 v149, v149, 23, 0x3b800000
	v_cndmask_b32_e32 v148, v148, v150, vcc_lo
	v_and_b32_e32 v150, 0x80000000, v12
	s_delay_alu instid0(VALU_DEP_2) | instskip(NEXT) | instid1(VALU_DEP_1)
	v_lshlrev_b32_e32 v148, 20, v148
	v_or3_b32 v148, v150, v149, v148
.LBB2_486:                              ;   in Loop: Header=BB2_394 Depth=4
	s_or_b32 exec_lo, exec_lo, s14
	s_mov_b32 s14, 0
	s_mov_b32 s38, exec_lo
                                        ; implicit-def: $sgpr37
	v_cmpx_lt_i16_e64 0x7f, v146
	s_xor_b32 s38, exec_lo, s38
	s_cbranch_execnz .LBB2_908
; %bb.487:                              ;   in Loop: Header=BB2_394 Depth=4
	s_or_saveexec_b32 s38, s38
	v_mov_b32_e32 v149, s37
	s_xor_b32 exec_lo, exec_lo, s38
	s_cbranch_execnz .LBB2_911
.LBB2_488:                              ;   in Loop: Header=BB2_394 Depth=4
	s_or_b32 exec_lo, exec_lo, s38
	s_and_saveexec_b32 s37, s14
	s_cbranch_execz .LBB2_490
.LBB2_489:                              ;   in Loop: Header=BB2_394 Depth=4
	v_bfe_u32 v149, v8, 24, 3
	v_bfe_u32 v160, v8, 27, 4
	s_delay_alu instid0(VALU_DEP_2) | instskip(NEXT) | instid1(VALU_DEP_2)
	v_clz_i32_u32_e32 v150, v149
	v_cmp_eq_u32_e32 vcc_lo, 0, v160
	s_delay_alu instid0(VALU_DEP_2) | instskip(NEXT) | instid1(VALU_DEP_1)
	v_min_u32_e32 v150, 32, v150
	v_subrev_nc_u32_e32 v151, 28, v150
	v_sub_nc_u32_e32 v150, 29, v150
	s_delay_alu instid0(VALU_DEP_2) | instskip(NEXT) | instid1(VALU_DEP_1)
	v_lshlrev_b32_e32 v151, v151, v146
	v_dual_cndmask_b32 v150, v160, v150 :: v_dual_and_b32 v151, 7, v151
	s_delay_alu instid0(VALU_DEP_1) | instskip(NEXT) | instid1(VALU_DEP_2)
	v_lshl_add_u32 v150, v150, 23, 0x3b800000
	v_cndmask_b32_e32 v149, v149, v151, vcc_lo
	v_and_b32_e32 v151, 0x80000000, v8
	s_delay_alu instid0(VALU_DEP_2) | instskip(NEXT) | instid1(VALU_DEP_1)
	v_lshlrev_b32_e32 v149, 20, v149
	v_or3_b32 v149, v151, v150, v149
.LBB2_490:                              ;   in Loop: Header=BB2_394 Depth=4
	s_or_b32 exec_lo, exec_lo, s37
	s_delay_alu instid0(VALU_DEP_1) | instskip(SKIP_1) | instid1(VALU_DEP_1)
	v_dual_max_f32 v149, v149, v149 :: v_dual_max_f32 v148, v148, v148
	s_mov_b32 s14, 0
	v_max_f32_e32 v148, v148, v149
	s_branch .LBB2_492
.LBB2_491:                              ;   in Loop: Header=BB2_394 Depth=4
	s_mov_b32 s14, -1
                                        ; implicit-def: $vgpr148
.LBB2_492:                              ;   in Loop: Header=BB2_394 Depth=4
	s_delay_alu instid0(SALU_CYCLE_1)
	s_and_b32 vcc_lo, exec_lo, s14
	s_cbranch_vccz .LBB2_502
; %bb.493:                              ;   in Loop: Header=BB2_394 Depth=4
	s_mov_b32 s14, 0
	s_mov_b32 s38, exec_lo
                                        ; implicit-def: $sgpr37
	v_cmpx_lt_i16_e64 0x7f, v147
	s_xor_b32 s38, exec_lo, s38
	s_cbranch_execnz .LBB2_912
; %bb.494:                              ;   in Loop: Header=BB2_394 Depth=4
	s_or_saveexec_b32 s38, s38
	v_mov_b32_e32 v148, s37
	s_xor_b32 exec_lo, exec_lo, s38
	s_cbranch_execnz .LBB2_915
.LBB2_495:                              ;   in Loop: Header=BB2_394 Depth=4
	s_or_b32 exec_lo, exec_lo, s38
	s_and_saveexec_b32 s37, s14
	s_cbranch_execz .LBB2_497
.LBB2_496:                              ;   in Loop: Header=BB2_394 Depth=4
	v_bfe_u32 v148, v12, 24, 3
	s_delay_alu instid0(VALU_DEP_1) | instskip(NEXT) | instid1(VALU_DEP_1)
	v_clz_i32_u32_e32 v149, v148
	v_min_u32_e32 v149, 32, v149
	s_delay_alu instid0(VALU_DEP_1) | instskip(SKIP_1) | instid1(VALU_DEP_2)
	v_subrev_nc_u32_e32 v150, 28, v149
	v_sub_nc_u32_e32 v149, 29, v149
	v_lshlrev_b32_e32 v147, v150, v147
	v_bfe_u32 v150, v12, 27, 4
	v_and_b32_e32 v12, 0x80000000, v12
	s_delay_alu instid0(VALU_DEP_3) | instskip(NEXT) | instid1(VALU_DEP_3)
	v_and_b32_e32 v147, 7, v147
	v_cmp_eq_u32_e32 vcc_lo, 0, v150
	v_cndmask_b32_e32 v149, v150, v149, vcc_lo
	s_delay_alu instid0(VALU_DEP_3) | instskip(NEXT) | instid1(VALU_DEP_2)
	v_cndmask_b32_e32 v147, v148, v147, vcc_lo
	v_lshl_add_u32 v148, v149, 23, 0x3b800000
	s_delay_alu instid0(VALU_DEP_2) | instskip(NEXT) | instid1(VALU_DEP_1)
	v_lshlrev_b32_e32 v147, 20, v147
	v_or3_b32 v148, v12, v148, v147
.LBB2_497:                              ;   in Loop: Header=BB2_394 Depth=4
	s_or_b32 exec_lo, exec_lo, s37
	s_mov_b32 s14, 0
	s_mov_b32 s38, exec_lo
                                        ; implicit-def: $sgpr37
	v_cmpx_lt_i16_e64 0x7f, v146
	s_xor_b32 s38, exec_lo, s38
	s_cbranch_execnz .LBB2_916
; %bb.498:                              ;   in Loop: Header=BB2_394 Depth=4
	s_or_saveexec_b32 s38, s38
	v_mov_b32_e32 v12, s37
	s_xor_b32 exec_lo, exec_lo, s38
	s_cbranch_execnz .LBB2_919
.LBB2_499:                              ;   in Loop: Header=BB2_394 Depth=4
	s_or_b32 exec_lo, exec_lo, s38
	s_and_saveexec_b32 s37, s14
	s_cbranch_execz .LBB2_501
.LBB2_500:                              ;   in Loop: Header=BB2_394 Depth=4
	v_bfe_u32 v12, v8, 24, 3
	s_delay_alu instid0(VALU_DEP_1) | instskip(NEXT) | instid1(VALU_DEP_1)
	v_clz_i32_u32_e32 v147, v12
	v_min_u32_e32 v147, 32, v147
	s_delay_alu instid0(VALU_DEP_1) | instskip(SKIP_1) | instid1(VALU_DEP_2)
	v_subrev_nc_u32_e32 v149, 28, v147
	v_sub_nc_u32_e32 v147, 29, v147
	v_lshlrev_b32_e32 v146, v149, v146
	v_bfe_u32 v149, v8, 27, 4
	v_and_b32_e32 v8, 0x80000000, v8
	s_delay_alu instid0(VALU_DEP_2) | instskip(NEXT) | instid1(VALU_DEP_4)
	v_cmp_eq_u32_e32 vcc_lo, 0, v149
	v_dual_cndmask_b32 v147, v149, v147 :: v_dual_and_b32 v146, 7, v146
	s_delay_alu instid0(VALU_DEP_1) | instskip(NEXT) | instid1(VALU_DEP_2)
	v_cndmask_b32_e32 v12, v12, v146, vcc_lo
	v_lshl_add_u32 v146, v147, 23, 0x3b800000
	s_delay_alu instid0(VALU_DEP_2) | instskip(NEXT) | instid1(VALU_DEP_1)
	v_lshlrev_b32_e32 v12, 20, v12
	v_or3_b32 v12, v8, v146, v12
.LBB2_501:                              ;   in Loop: Header=BB2_394 Depth=4
	s_or_b32 exec_lo, exec_lo, s37
	s_delay_alu instid0(VALU_DEP_1) | instskip(SKIP_1) | instid1(VALU_DEP_1)
	v_max_f32_e32 v8, v12, v12
	v_max_f32_e32 v12, v148, v148
	v_min_f32_e32 v148, v12, v8
.LBB2_502:                              ;   in Loop: Header=BB2_394 Depth=4
	s_delay_alu instid0(VALU_DEP_1) | instskip(NEXT) | instid1(VALU_DEP_1)
	v_and_b32_e32 v8, 0x7f800000, v148
	v_cmp_ne_u32_e32 vcc_lo, 0x7f800000, v8
	v_mov_b32_e32 v8, 0x80
	s_and_saveexec_b32 s37, vcc_lo
	s_cbranch_execz .LBB2_510
; %bb.503:                              ;   in Loop: Header=BB2_394 Depth=4
	v_mov_b32_e32 v8, 0
	s_mov_b32 s38, exec_lo
	v_cmpx_ne_u32_e32 0, v148
	s_cbranch_execz .LBB2_509
; %bb.504:                              ;   in Loop: Header=BB2_394 Depth=4
	v_bfe_u32 v8, v148, 23, 8
	v_and_b32_e32 v12, 0x7fffff, v148
	s_delay_alu instid0(VALU_DEP_2) | instskip(SKIP_1) | instid1(VALU_DEP_3)
	v_sub_nc_u32_e32 v146, 0x78, v8
	v_cmp_gt_u32_e32 vcc_lo, 0x79, v8
	v_or_b32_e32 v147, 0x800000, v12
	s_delay_alu instid0(VALU_DEP_3) | instskip(SKIP_2) | instid1(VALU_DEP_3)
	v_cndmask_b32_e32 v146, 0, v146, vcc_lo
	v_cmp_eq_u32_e32 vcc_lo, 0, v8
	v_add_nc_u32_e32 v8, 0xffffff89, v8
	v_cndmask_b32_e64 v146, v146, 0x77, vcc_lo
	v_cndmask_b32_e32 v12, v147, v12, vcc_lo
	s_delay_alu instid0(VALU_DEP_3) | instskip(NEXT) | instid1(VALU_DEP_3)
	v_cndmask_b32_e64 v8, v8, 0xffffff8a, vcc_lo
	v_lshl_add_u32 v147, 0x100000, v146, -1
	s_delay_alu instid0(VALU_DEP_3) | instskip(SKIP_1) | instid1(VALU_DEP_4)
	v_lshrrev_b32_e32 v149, v146, v12
	v_lshlrev_b32_e64 v151, v146, 0x80000
	v_add_nc_u32_e32 v146, v146, v8
	s_delay_alu instid0(VALU_DEP_4) | instskip(NEXT) | instid1(VALU_DEP_4)
	v_and_b32_e32 v12, v147, v12
	v_bfe_u32 v150, v149, 20, 1
	s_delay_alu instid0(VALU_DEP_2) | instskip(NEXT) | instid1(VALU_DEP_2)
	v_cmp_eq_u32_e64 s14, v12, v151
	v_add_nc_u32_e32 v147, -1, v150
	s_delay_alu instid0(VALU_DEP_1) | instskip(SKIP_2) | instid1(VALU_DEP_2)
	v_cndmask_b32_e64 v12, 0, v147, s14
	v_lshrrev_b32_e32 v147, 23, v149
	s_mov_b32 s14, exec_lo
	v_add_nc_u32_e32 v12, v12, v149
	s_delay_alu instid0(VALU_DEP_2) | instskip(NEXT) | instid1(VALU_DEP_2)
	v_xor_b32_e32 v147, 1, v147
	v_and_b32_e32 v8, 0xfffff, v12
	s_delay_alu instid0(VALU_DEP_1) | instskip(NEXT) | instid1(VALU_DEP_3)
	v_add_nc_u32_e32 v12, v8, v149
                                        ; implicit-def: $vgpr8
	v_cmpx_ne_u32_e64 v146, v147
	s_xor_b32 s14, exec_lo, s14
; %bb.505:                              ;   in Loop: Header=BB2_394 Depth=4
	s_delay_alu instid0(VALU_DEP_2) | instskip(SKIP_2) | instid1(VALU_DEP_2)
	v_cmp_lt_u32_e32 vcc_lo, 0xffffff, v12
	v_sub_nc_u32_e32 v8, v146, v147
	v_cndmask_b32_e64 v146, 0, 1, vcc_lo
	v_add_co_ci_u32_e32 v8, vcc_lo, 0, v8, vcc_lo
	s_delay_alu instid0(VALU_DEP_2)
	v_lshrrev_b32_e32 v12, v146, v12
; %bb.506:                              ;   in Loop: Header=BB2_394 Depth=4
	s_and_not1_saveexec_b32 s14, s14
; %bb.507:                              ;   in Loop: Header=BB2_394 Depth=4
	s_delay_alu instid0(VALU_DEP_1)
	v_bfe_u32 v8, v12, 23, 1
; %bb.508:                              ;   in Loop: Header=BB2_394 Depth=4
	s_or_b32 exec_lo, exec_lo, s14
	v_lshrrev_b32_e32 v12, 20, v12
	s_delay_alu instid0(VALU_DEP_2) | instskip(SKIP_2) | instid1(VALU_DEP_4)
	v_cmp_gt_i32_e32 vcc_lo, 16, v8
	v_lshrrev_b32_e32 v146, 24, v148
	v_min_i32_e32 v147, 15, v8
	v_cndmask_b32_e32 v12, 7, v12, vcc_lo
	s_delay_alu instid0(VALU_DEP_3) | instskip(NEXT) | instid1(VALU_DEP_3)
	v_and_b32_e32 v146, 0x80, v146
	v_lshlrev_b32_e32 v147, 3, v147
	s_delay_alu instid0(VALU_DEP_3) | instskip(SKIP_1) | instid1(VALU_DEP_2)
	v_and_b32_e32 v148, 7, v12
	v_or_b32_e32 v8, v8, v12
	v_or3_b32 v12, v147, v146, v148
	s_delay_alu instid0(VALU_DEP_2) | instskip(NEXT) | instid1(VALU_DEP_2)
	v_cmp_ne_u32_e32 vcc_lo, 0, v8
	v_cndmask_b32_e32 v8, 0, v12, vcc_lo
.LBB2_509:                              ;   in Loop: Header=BB2_394 Depth=4
	s_or_b32 exec_lo, exec_lo, s38
.LBB2_510:                              ;   in Loop: Header=BB2_394 Depth=4
	s_delay_alu instid0(SALU_CYCLE_1) | instskip(SKIP_2) | instid1(VALU_DEP_1)
	s_or_b32 exec_lo, exec_lo, s37
	v_and_b32_e32 v12, 0xff, v13
	s_and_b32 vcc_lo, exec_lo, s36
	v_cmp_lt_i16_e64 s14, 0x7f, v12
	s_cbranch_vccz .LBB2_520
; %bb.511:                              ;   in Loop: Header=BB2_394 Depth=4
	s_mov_b32 s37, 0
                                        ; implicit-def: $sgpr38
	s_delay_alu instid0(VALU_DEP_1) | instskip(NEXT) | instid1(SALU_CYCLE_1)
	s_and_saveexec_b32 vcc_lo, s14
	s_xor_b32 s14, exec_lo, vcc_lo
	s_cbranch_execnz .LBB2_920
; %bb.512:                              ;   in Loop: Header=BB2_394 Depth=4
	s_or_saveexec_b32 s14, s14
	v_mov_b32_e32 v146, s38
	s_xor_b32 exec_lo, exec_lo, s14
	s_cbranch_execnz .LBB2_923
.LBB2_513:                              ;   in Loop: Header=BB2_394 Depth=4
	s_or_b32 exec_lo, exec_lo, s14
	s_and_saveexec_b32 s14, s37
	s_cbranch_execz .LBB2_515
.LBB2_514:                              ;   in Loop: Header=BB2_394 Depth=4
	v_bfe_u32 v149, v13, 3, 4
	v_lshlrev_b32_e32 v150, 24, v13
	s_delay_alu instid0(VALU_DEP_2) | instskip(SKIP_1) | instid1(VALU_DEP_1)
	v_cmp_eq_u32_e32 vcc_lo, 0, v149
	v_and_b32_e32 v146, 7, v13
	v_clz_i32_u32_e32 v147, v146
	s_delay_alu instid0(VALU_DEP_1) | instskip(NEXT) | instid1(VALU_DEP_1)
	v_min_u32_e32 v147, 32, v147
	v_subrev_nc_u32_e32 v148, 28, v147
	v_sub_nc_u32_e32 v147, 29, v147
	s_delay_alu instid0(VALU_DEP_1) | instskip(NEXT) | instid1(VALU_DEP_1)
	v_dual_cndmask_b32 v147, v149, v147 :: v_dual_lshlrev_b32 v148, v148, v13
	v_and_b32_e32 v148, 7, v148
	s_delay_alu instid0(VALU_DEP_2) | instskip(NEXT) | instid1(VALU_DEP_2)
	v_lshl_add_u32 v147, v147, 23, 0x3b800000
	v_cndmask_b32_e32 v146, v146, v148, vcc_lo
	v_and_b32_e32 v148, 0x80000000, v150
	s_delay_alu instid0(VALU_DEP_2) | instskip(NEXT) | instid1(VALU_DEP_1)
	v_lshlrev_b32_e32 v146, 20, v146
	v_or3_b32 v146, v148, v147, v146
.LBB2_515:                              ;   in Loop: Header=BB2_394 Depth=4
	s_or_b32 exec_lo, exec_lo, s14
	v_and_b32_e32 v148, 0xff, v9
	s_mov_b32 s14, 0
	s_mov_b32 s38, exec_lo
                                        ; implicit-def: $sgpr37
	s_delay_alu instid0(VALU_DEP_1)
	v_cmpx_lt_i16_e64 0x7f, v148
	s_xor_b32 s38, exec_lo, s38
	s_cbranch_execnz .LBB2_924
; %bb.516:                              ;   in Loop: Header=BB2_394 Depth=4
	s_or_saveexec_b32 s38, s38
	v_mov_b32_e32 v147, s37
	s_xor_b32 exec_lo, exec_lo, s38
	s_cbranch_execnz .LBB2_927
.LBB2_517:                              ;   in Loop: Header=BB2_394 Depth=4
	s_or_b32 exec_lo, exec_lo, s38
	s_and_saveexec_b32 s37, s14
	s_cbranch_execz .LBB2_519
.LBB2_518:                              ;   in Loop: Header=BB2_394 Depth=4
	v_bfe_u32 v150, v9, 3, 4
	v_lshlrev_b32_e32 v151, 24, v9
	s_delay_alu instid0(VALU_DEP_2) | instskip(SKIP_1) | instid1(VALU_DEP_1)
	v_cmp_eq_u32_e32 vcc_lo, 0, v150
	v_and_b32_e32 v147, 7, v9
	v_clz_i32_u32_e32 v148, v147
	s_delay_alu instid0(VALU_DEP_1) | instskip(NEXT) | instid1(VALU_DEP_1)
	v_min_u32_e32 v148, 32, v148
	v_subrev_nc_u32_e32 v149, 28, v148
	v_sub_nc_u32_e32 v148, 29, v148
	s_delay_alu instid0(VALU_DEP_1) | instskip(NEXT) | instid1(VALU_DEP_1)
	v_dual_cndmask_b32 v148, v150, v148 :: v_dual_lshlrev_b32 v149, v149, v9
	v_and_b32_e32 v149, 7, v149
	s_delay_alu instid0(VALU_DEP_2) | instskip(NEXT) | instid1(VALU_DEP_2)
	v_lshl_add_u32 v148, v148, 23, 0x3b800000
	v_cndmask_b32_e32 v147, v147, v149, vcc_lo
	v_and_b32_e32 v149, 0x80000000, v151
	s_delay_alu instid0(VALU_DEP_2) | instskip(NEXT) | instid1(VALU_DEP_1)
	v_lshlrev_b32_e32 v147, 20, v147
	v_or3_b32 v147, v149, v148, v147
.LBB2_519:                              ;   in Loop: Header=BB2_394 Depth=4
	s_or_b32 exec_lo, exec_lo, s37
	s_delay_alu instid0(VALU_DEP_1) | instskip(SKIP_1) | instid1(VALU_DEP_1)
	v_dual_max_f32 v147, v147, v147 :: v_dual_max_f32 v146, v146, v146
	s_mov_b32 s14, 0
	v_max_f32_e32 v146, v146, v147
	s_branch .LBB2_521
.LBB2_520:                              ;   in Loop: Header=BB2_394 Depth=4
	s_mov_b32 s14, -1
                                        ; implicit-def: $vgpr146
.LBB2_521:                              ;   in Loop: Header=BB2_394 Depth=4
	s_delay_alu instid0(SALU_CYCLE_1)
	s_and_b32 vcc_lo, exec_lo, s14
	s_cbranch_vccz .LBB2_531
; %bb.522:                              ;   in Loop: Header=BB2_394 Depth=4
	s_mov_b32 s14, 0
	s_mov_b32 s38, exec_lo
                                        ; implicit-def: $sgpr37
	v_cmpx_lt_i16_e32 0x7f, v12
	s_xor_b32 s38, exec_lo, s38
	s_cbranch_execnz .LBB2_928
; %bb.523:                              ;   in Loop: Header=BB2_394 Depth=4
	s_or_saveexec_b32 s38, s38
	v_mov_b32_e32 v146, s37
	s_xor_b32 exec_lo, exec_lo, s38
	s_cbranch_execnz .LBB2_931
.LBB2_524:                              ;   in Loop: Header=BB2_394 Depth=4
	s_or_b32 exec_lo, exec_lo, s38
	s_and_saveexec_b32 s37, s14
	s_cbranch_execz .LBB2_526
.LBB2_525:                              ;   in Loop: Header=BB2_394 Depth=4
	v_and_b32_e32 v12, 7, v13
	v_bfe_u32 v148, v13, 3, 4
	s_delay_alu instid0(VALU_DEP_2) | instskip(NEXT) | instid1(VALU_DEP_2)
	v_clz_i32_u32_e32 v146, v12
	v_cmp_eq_u32_e32 vcc_lo, 0, v148
	s_delay_alu instid0(VALU_DEP_2) | instskip(NEXT) | instid1(VALU_DEP_1)
	v_min_u32_e32 v146, 32, v146
	v_subrev_nc_u32_e32 v147, 28, v146
	v_sub_nc_u32_e32 v146, 29, v146
	s_delay_alu instid0(VALU_DEP_1) | instskip(NEXT) | instid1(VALU_DEP_1)
	v_dual_cndmask_b32 v146, v148, v146 :: v_dual_lshlrev_b32 v147, v147, v13
	v_and_b32_e32 v147, 7, v147
	v_lshlrev_b32_e32 v149, 24, v13
	s_delay_alu instid0(VALU_DEP_3) | instskip(NEXT) | instid1(VALU_DEP_2)
	v_lshl_add_u32 v146, v146, 23, 0x3b800000
	v_dual_cndmask_b32 v12, v12, v147 :: v_dual_and_b32 v147, 0x80000000, v149
	s_delay_alu instid0(VALU_DEP_1) | instskip(NEXT) | instid1(VALU_DEP_1)
	v_lshlrev_b32_e32 v12, 20, v12
	v_or3_b32 v146, v147, v146, v12
.LBB2_526:                              ;   in Loop: Header=BB2_394 Depth=4
	s_or_b32 exec_lo, exec_lo, s37
	v_and_b32_e32 v147, 0xff, v9
	s_mov_b32 s14, 0
	s_mov_b32 s38, exec_lo
                                        ; implicit-def: $sgpr37
	s_delay_alu instid0(VALU_DEP_1)
	v_cmpx_lt_i16_e64 0x7f, v147
	s_xor_b32 s38, exec_lo, s38
	s_cbranch_execnz .LBB2_932
; %bb.527:                              ;   in Loop: Header=BB2_394 Depth=4
	s_or_saveexec_b32 s38, s38
	v_mov_b32_e32 v12, s37
	s_xor_b32 exec_lo, exec_lo, s38
	s_cbranch_execnz .LBB2_935
.LBB2_528:                              ;   in Loop: Header=BB2_394 Depth=4
	s_or_b32 exec_lo, exec_lo, s38
	s_and_saveexec_b32 s37, s14
	s_cbranch_execz .LBB2_530
.LBB2_529:                              ;   in Loop: Header=BB2_394 Depth=4
	v_bfe_u32 v149, v9, 3, 4
	v_lshlrev_b32_e32 v150, 24, v9
	s_delay_alu instid0(VALU_DEP_2) | instskip(SKIP_1) | instid1(VALU_DEP_1)
	v_cmp_eq_u32_e32 vcc_lo, 0, v149
	v_and_b32_e32 v12, 7, v9
	v_clz_i32_u32_e32 v147, v12
	s_delay_alu instid0(VALU_DEP_1) | instskip(NEXT) | instid1(VALU_DEP_1)
	v_min_u32_e32 v147, 32, v147
	v_subrev_nc_u32_e32 v148, 28, v147
	v_sub_nc_u32_e32 v147, 29, v147
	s_delay_alu instid0(VALU_DEP_1) | instskip(NEXT) | instid1(VALU_DEP_1)
	v_dual_cndmask_b32 v147, v149, v147 :: v_dual_lshlrev_b32 v148, v148, v9
	v_and_b32_e32 v148, 7, v148
	s_delay_alu instid0(VALU_DEP_2) | instskip(NEXT) | instid1(VALU_DEP_2)
	v_lshl_add_u32 v147, v147, 23, 0x3b800000
	v_cndmask_b32_e32 v12, v12, v148, vcc_lo
	v_and_b32_e32 v148, 0x80000000, v150
	s_delay_alu instid0(VALU_DEP_2) | instskip(NEXT) | instid1(VALU_DEP_1)
	v_lshlrev_b32_e32 v12, 20, v12
	v_or3_b32 v12, v148, v147, v12
.LBB2_530:                              ;   in Loop: Header=BB2_394 Depth=4
	s_or_b32 exec_lo, exec_lo, s37
	s_delay_alu instid0(VALU_DEP_1) | instskip(SKIP_1) | instid1(VALU_DEP_1)
	v_max_f32_e32 v12, v12, v12
	v_max_f32_e32 v146, v146, v146
	v_min_f32_e32 v146, v146, v12
.LBB2_531:                              ;   in Loop: Header=BB2_394 Depth=4
	s_delay_alu instid0(VALU_DEP_1) | instskip(NEXT) | instid1(VALU_DEP_1)
	v_and_b32_e32 v12, 0x7f800000, v146
	v_cmp_ne_u32_e32 vcc_lo, 0x7f800000, v12
	v_mov_b32_e32 v12, 0x80
	s_and_saveexec_b32 s37, vcc_lo
	s_cbranch_execz .LBB2_539
; %bb.532:                              ;   in Loop: Header=BB2_394 Depth=4
	v_mov_b32_e32 v12, 0
	s_mov_b32 s38, exec_lo
	v_cmpx_ne_u32_e32 0, v146
	s_cbranch_execz .LBB2_538
; %bb.533:                              ;   in Loop: Header=BB2_394 Depth=4
	v_bfe_u32 v12, v146, 23, 8
	s_delay_alu instid0(VALU_DEP_1) | instskip(SKIP_1) | instid1(VALU_DEP_2)
	v_sub_nc_u32_e32 v148, 0x78, v12
	v_cmp_gt_u32_e32 vcc_lo, 0x79, v12
	v_dual_cndmask_b32 v148, 0, v148 :: v_dual_and_b32 v147, 0x7fffff, v146
	s_delay_alu instid0(VALU_DEP_1) | instskip(SKIP_2) | instid1(VALU_DEP_4)
	v_or_b32_e32 v149, 0x800000, v147
	v_cmp_eq_u32_e32 vcc_lo, 0, v12
	v_add_nc_u32_e32 v12, 0xffffff89, v12
	v_cndmask_b32_e64 v148, v148, 0x77, vcc_lo
	s_delay_alu instid0(VALU_DEP_4) | instskip(NEXT) | instid1(VALU_DEP_3)
	v_cndmask_b32_e32 v147, v149, v147, vcc_lo
	v_cndmask_b32_e64 v12, v12, 0xffffff8a, vcc_lo
	s_delay_alu instid0(VALU_DEP_3) | instskip(NEXT) | instid1(VALU_DEP_3)
	v_lshl_add_u32 v149, 0x100000, v148, -1
	v_lshrrev_b32_e32 v150, v148, v147
	v_lshlrev_b32_e64 v160, v148, 0x80000
	s_delay_alu instid0(VALU_DEP_4) | instskip(NEXT) | instid1(VALU_DEP_4)
	v_add_nc_u32_e32 v148, v148, v12
	v_and_b32_e32 v147, v149, v147
	s_delay_alu instid0(VALU_DEP_4) | instskip(NEXT) | instid1(VALU_DEP_2)
	v_bfe_u32 v151, v150, 20, 1
	v_cmp_eq_u32_e64 s14, v147, v160
	s_delay_alu instid0(VALU_DEP_2) | instskip(NEXT) | instid1(VALU_DEP_1)
	v_add_nc_u32_e32 v149, -1, v151
	v_cndmask_b32_e64 v147, 0, v149, s14
	v_lshrrev_b32_e32 v149, 23, v150
	s_mov_b32 s14, exec_lo
	s_delay_alu instid0(VALU_DEP_2) | instskip(NEXT) | instid1(VALU_DEP_2)
	v_add_nc_u32_e32 v147, v147, v150
	v_xor_b32_e32 v149, 1, v149
	s_delay_alu instid0(VALU_DEP_2) | instskip(NEXT) | instid1(VALU_DEP_1)
	v_and_b32_e32 v12, 0xfffff, v147
	v_add_nc_u32_e32 v147, v12, v150
                                        ; implicit-def: $vgpr12
	s_delay_alu instid0(VALU_DEP_3)
	v_cmpx_ne_u32_e64 v148, v149
	s_xor_b32 s14, exec_lo, s14
; %bb.534:                              ;   in Loop: Header=BB2_394 Depth=4
	s_delay_alu instid0(VALU_DEP_2) | instskip(SKIP_2) | instid1(VALU_DEP_2)
	v_cmp_lt_u32_e32 vcc_lo, 0xffffff, v147
	v_sub_nc_u32_e32 v12, v148, v149
	v_cndmask_b32_e64 v148, 0, 1, vcc_lo
	v_add_co_ci_u32_e32 v12, vcc_lo, 0, v12, vcc_lo
	s_delay_alu instid0(VALU_DEP_2)
	v_lshrrev_b32_e32 v147, v148, v147
; %bb.535:                              ;   in Loop: Header=BB2_394 Depth=4
	s_and_not1_saveexec_b32 s14, s14
; %bb.536:                              ;   in Loop: Header=BB2_394 Depth=4
	s_delay_alu instid0(VALU_DEP_1)
	v_bfe_u32 v12, v147, 23, 1
; %bb.537:                              ;   in Loop: Header=BB2_394 Depth=4
	s_or_b32 exec_lo, exec_lo, s14
	v_lshrrev_b32_e32 v147, 20, v147
	s_delay_alu instid0(VALU_DEP_2) | instskip(SKIP_2) | instid1(VALU_DEP_2)
	v_cmp_gt_i32_e32 vcc_lo, 16, v12
	v_lshrrev_b32_e32 v146, 24, v146
	v_min_i32_e32 v148, 15, v12
	v_dual_cndmask_b32 v147, 7, v147 :: v_dual_and_b32 v146, 0x80, v146
	s_delay_alu instid0(VALU_DEP_2) | instskip(NEXT) | instid1(VALU_DEP_2)
	v_lshlrev_b32_e32 v148, 3, v148
	v_or_b32_e32 v12, v12, v147
	s_delay_alu instid0(VALU_DEP_1) | instskip(SKIP_1) | instid1(VALU_DEP_1)
	v_cmp_ne_u32_e32 vcc_lo, 0, v12
	v_and_b32_e32 v149, 7, v147
	v_or3_b32 v146, v148, v146, v149
	s_delay_alu instid0(VALU_DEP_1)
	v_cndmask_b32_e32 v12, 0, v146, vcc_lo
.LBB2_538:                              ;   in Loop: Header=BB2_394 Depth=4
	s_or_b32 exec_lo, exec_lo, s38
.LBB2_539:                              ;   in Loop: Header=BB2_394 Depth=4
	s_delay_alu instid0(SALU_CYCLE_1) | instskip(SKIP_3) | instid1(VALU_DEP_2)
	s_or_b32 exec_lo, exec_lo, s37
	v_lshrrev_b16 v147, 8, v13
	v_lshrrev_b16 v146, 8, v9
	s_and_b32 vcc_lo, exec_lo, s36
	v_cmp_lt_i16_e64 s14, 0x7f, v147
	s_cbranch_vccz .LBB2_549
; %bb.540:                              ;   in Loop: Header=BB2_394 Depth=4
	s_mov_b32 s37, 0
                                        ; implicit-def: $sgpr38
	s_delay_alu instid0(VALU_DEP_1) | instskip(NEXT) | instid1(SALU_CYCLE_1)
	s_and_saveexec_b32 vcc_lo, s14
	s_xor_b32 s14, exec_lo, vcc_lo
	s_cbranch_execnz .LBB2_936
; %bb.541:                              ;   in Loop: Header=BB2_394 Depth=4
	s_or_saveexec_b32 s14, s14
	v_mov_b32_e32 v148, s38
	s_xor_b32 exec_lo, exec_lo, s14
	s_cbranch_execnz .LBB2_939
.LBB2_542:                              ;   in Loop: Header=BB2_394 Depth=4
	s_or_b32 exec_lo, exec_lo, s14
	s_and_saveexec_b32 s14, s37
	s_cbranch_execz .LBB2_544
.LBB2_543:                              ;   in Loop: Header=BB2_394 Depth=4
	v_and_b32_e32 v148, 0xffff, v147
	s_delay_alu instid0(VALU_DEP_1) | instskip(NEXT) | instid1(VALU_DEP_1)
	v_and_b32_e32 v149, 7, v148
	v_clz_i32_u32_e32 v150, v149
	s_delay_alu instid0(VALU_DEP_1) | instskip(NEXT) | instid1(VALU_DEP_1)
	v_min_u32_e32 v150, 32, v150
	v_subrev_nc_u32_e32 v151, 28, v150
	v_sub_nc_u32_e32 v150, 29, v150
	s_delay_alu instid0(VALU_DEP_2) | instskip(SKIP_1) | instid1(VALU_DEP_2)
	v_lshlrev_b32_e32 v151, v151, v148
	v_bfe_u32 v148, v148, 3, 4
	v_and_b32_e32 v151, 7, v151
	s_delay_alu instid0(VALU_DEP_2) | instskip(SKIP_1) | instid1(VALU_DEP_3)
	v_cmp_eq_u32_e32 vcc_lo, 0, v148
	v_cndmask_b32_e32 v148, v148, v150, vcc_lo
	v_dual_cndmask_b32 v149, v149, v151 :: v_dual_lshlrev_b32 v160, 16, v13
	s_delay_alu instid0(VALU_DEP_2) | instskip(NEXT) | instid1(VALU_DEP_2)
	v_lshl_add_u32 v148, v148, 23, 0x3b800000
	v_and_b32_e32 v150, 0x80000000, v160
	s_delay_alu instid0(VALU_DEP_3) | instskip(NEXT) | instid1(VALU_DEP_1)
	v_lshlrev_b32_e32 v149, 20, v149
	v_or3_b32 v148, v150, v148, v149
.LBB2_544:                              ;   in Loop: Header=BB2_394 Depth=4
	s_or_b32 exec_lo, exec_lo, s14
	s_mov_b32 s14, 0
	s_mov_b32 s38, exec_lo
                                        ; implicit-def: $sgpr37
	v_cmpx_lt_i16_e64 0x7f, v146
	s_xor_b32 s38, exec_lo, s38
	s_cbranch_execnz .LBB2_940
; %bb.545:                              ;   in Loop: Header=BB2_394 Depth=4
	s_or_saveexec_b32 s38, s38
	v_mov_b32_e32 v149, s37
	s_xor_b32 exec_lo, exec_lo, s38
	s_cbranch_execnz .LBB2_943
.LBB2_546:                              ;   in Loop: Header=BB2_394 Depth=4
	s_or_b32 exec_lo, exec_lo, s38
	s_and_saveexec_b32 s37, s14
	s_cbranch_execz .LBB2_548
.LBB2_547:                              ;   in Loop: Header=BB2_394 Depth=4
	v_and_b32_e32 v149, 0xffff, v146
	v_lshlrev_b32_e32 v161, 16, v9
	s_delay_alu instid0(VALU_DEP_2) | instskip(NEXT) | instid1(VALU_DEP_1)
	v_and_b32_e32 v150, 7, v149
	v_clz_i32_u32_e32 v151, v150
	s_delay_alu instid0(VALU_DEP_1) | instskip(NEXT) | instid1(VALU_DEP_1)
	v_min_u32_e32 v151, 32, v151
	v_subrev_nc_u32_e32 v160, 28, v151
	v_sub_nc_u32_e32 v151, 29, v151
	s_delay_alu instid0(VALU_DEP_2) | instskip(SKIP_1) | instid1(VALU_DEP_2)
	v_lshlrev_b32_e32 v160, v160, v149
	v_bfe_u32 v149, v149, 3, 4
	v_and_b32_e32 v160, 7, v160
	s_delay_alu instid0(VALU_DEP_2) | instskip(NEXT) | instid1(VALU_DEP_2)
	v_cmp_eq_u32_e32 vcc_lo, 0, v149
	v_dual_cndmask_b32 v149, v149, v151 :: v_dual_cndmask_b32 v150, v150, v160
	v_and_b32_e32 v151, 0x80000000, v161
	s_delay_alu instid0(VALU_DEP_2) | instskip(NEXT) | instid1(VALU_DEP_3)
	v_lshl_add_u32 v149, v149, 23, 0x3b800000
	v_lshlrev_b32_e32 v150, 20, v150
	s_delay_alu instid0(VALU_DEP_1)
	v_or3_b32 v149, v151, v149, v150
.LBB2_548:                              ;   in Loop: Header=BB2_394 Depth=4
	s_or_b32 exec_lo, exec_lo, s37
	s_delay_alu instid0(VALU_DEP_1) | instskip(SKIP_1) | instid1(VALU_DEP_1)
	v_dual_max_f32 v149, v149, v149 :: v_dual_max_f32 v148, v148, v148
	s_mov_b32 s14, 0
	v_max_f32_e32 v148, v148, v149
	s_branch .LBB2_550
.LBB2_549:                              ;   in Loop: Header=BB2_394 Depth=4
	s_mov_b32 s14, -1
                                        ; implicit-def: $vgpr148
.LBB2_550:                              ;   in Loop: Header=BB2_394 Depth=4
	s_delay_alu instid0(SALU_CYCLE_1)
	s_and_b32 vcc_lo, exec_lo, s14
	s_cbranch_vccz .LBB2_560
; %bb.551:                              ;   in Loop: Header=BB2_394 Depth=4
	s_mov_b32 s14, 0
	s_mov_b32 s38, exec_lo
                                        ; implicit-def: $sgpr37
	v_cmpx_lt_i16_e64 0x7f, v147
	s_xor_b32 s38, exec_lo, s38
	s_cbranch_execnz .LBB2_944
; %bb.552:                              ;   in Loop: Header=BB2_394 Depth=4
	s_or_saveexec_b32 s38, s38
	v_mov_b32_e32 v148, s37
	s_xor_b32 exec_lo, exec_lo, s38
	s_cbranch_execnz .LBB2_947
.LBB2_553:                              ;   in Loop: Header=BB2_394 Depth=4
	s_or_b32 exec_lo, exec_lo, s38
	s_and_saveexec_b32 s37, s14
	s_cbranch_execz .LBB2_555
.LBB2_554:                              ;   in Loop: Header=BB2_394 Depth=4
	v_and_b32_e32 v147, 0xffff, v147
	v_lshlrev_b32_e32 v151, 16, v13
	s_delay_alu instid0(VALU_DEP_2) | instskip(NEXT) | instid1(VALU_DEP_1)
	v_and_b32_e32 v148, 7, v147
	v_clz_i32_u32_e32 v149, v148
	s_delay_alu instid0(VALU_DEP_1) | instskip(NEXT) | instid1(VALU_DEP_1)
	v_min_u32_e32 v149, 32, v149
	v_subrev_nc_u32_e32 v150, 28, v149
	v_sub_nc_u32_e32 v149, 29, v149
	s_delay_alu instid0(VALU_DEP_2) | instskip(SKIP_1) | instid1(VALU_DEP_2)
	v_lshlrev_b32_e32 v150, v150, v147
	v_bfe_u32 v147, v147, 3, 4
	v_and_b32_e32 v150, 7, v150
	s_delay_alu instid0(VALU_DEP_2) | instskip(NEXT) | instid1(VALU_DEP_2)
	v_cmp_eq_u32_e32 vcc_lo, 0, v147
	v_dual_cndmask_b32 v147, v147, v149 :: v_dual_cndmask_b32 v148, v148, v150
	v_and_b32_e32 v149, 0x80000000, v151
	s_delay_alu instid0(VALU_DEP_2) | instskip(NEXT) | instid1(VALU_DEP_3)
	v_lshl_add_u32 v147, v147, 23, 0x3b800000
	v_lshlrev_b32_e32 v148, 20, v148
	s_delay_alu instid0(VALU_DEP_1)
	v_or3_b32 v148, v149, v147, v148
.LBB2_555:                              ;   in Loop: Header=BB2_394 Depth=4
	s_or_b32 exec_lo, exec_lo, s37
	s_mov_b32 s14, 0
	s_mov_b32 s38, exec_lo
                                        ; implicit-def: $sgpr37
	v_cmpx_lt_i16_e64 0x7f, v146
	s_xor_b32 s38, exec_lo, s38
	s_cbranch_execnz .LBB2_948
; %bb.556:                              ;   in Loop: Header=BB2_394 Depth=4
	s_or_saveexec_b32 s38, s38
	v_mov_b32_e32 v147, s37
	s_xor_b32 exec_lo, exec_lo, s38
	s_cbranch_execnz .LBB2_951
.LBB2_557:                              ;   in Loop: Header=BB2_394 Depth=4
	s_or_b32 exec_lo, exec_lo, s38
	s_and_saveexec_b32 s37, s14
	s_cbranch_execz .LBB2_559
.LBB2_558:                              ;   in Loop: Header=BB2_394 Depth=4
	v_and_b32_e32 v146, 0xffff, v146
	v_lshlrev_b32_e32 v151, 16, v9
	s_delay_alu instid0(VALU_DEP_2) | instskip(NEXT) | instid1(VALU_DEP_1)
	v_and_b32_e32 v147, 7, v146
	v_clz_i32_u32_e32 v149, v147
	s_delay_alu instid0(VALU_DEP_1) | instskip(NEXT) | instid1(VALU_DEP_1)
	v_min_u32_e32 v149, 32, v149
	v_subrev_nc_u32_e32 v150, 28, v149
	v_sub_nc_u32_e32 v149, 29, v149
	s_delay_alu instid0(VALU_DEP_2) | instskip(SKIP_1) | instid1(VALU_DEP_2)
	v_lshlrev_b32_e32 v150, v150, v146
	v_bfe_u32 v146, v146, 3, 4
	v_and_b32_e32 v150, 7, v150
	s_delay_alu instid0(VALU_DEP_2) | instskip(NEXT) | instid1(VALU_DEP_2)
	v_cmp_eq_u32_e32 vcc_lo, 0, v146
	v_dual_cndmask_b32 v146, v146, v149 :: v_dual_cndmask_b32 v147, v147, v150
	v_and_b32_e32 v149, 0x80000000, v151
	s_delay_alu instid0(VALU_DEP_2) | instskip(NEXT) | instid1(VALU_DEP_3)
	v_lshl_add_u32 v146, v146, 23, 0x3b800000
	v_lshlrev_b32_e32 v147, 20, v147
	s_delay_alu instid0(VALU_DEP_1)
	v_or3_b32 v147, v149, v146, v147
.LBB2_559:                              ;   in Loop: Header=BB2_394 Depth=4
	s_or_b32 exec_lo, exec_lo, s37
	s_delay_alu instid0(VALU_DEP_1) | instskip(NEXT) | instid1(VALU_DEP_1)
	v_dual_max_f32 v146, v147, v147 :: v_dual_max_f32 v147, v148, v148
	v_min_f32_e32 v148, v147, v146
.LBB2_560:                              ;   in Loop: Header=BB2_394 Depth=4
	s_delay_alu instid0(VALU_DEP_1) | instskip(NEXT) | instid1(VALU_DEP_1)
	v_and_b32_e32 v146, 0x7f800000, v148
	v_cmp_ne_u32_e32 vcc_lo, 0x7f800000, v146
	v_mov_b32_e32 v146, 0x80
	s_and_saveexec_b32 s37, vcc_lo
	s_cbranch_execz .LBB2_568
; %bb.561:                              ;   in Loop: Header=BB2_394 Depth=4
	v_mov_b32_e32 v146, 0
	s_mov_b32 s38, exec_lo
	v_cmpx_ne_u32_e32 0, v148
	s_cbranch_execz .LBB2_567
; %bb.562:                              ;   in Loop: Header=BB2_394 Depth=4
	v_bfe_u32 v146, v148, 23, 8
	v_and_b32_e32 v147, 0x7fffff, v148
	s_delay_alu instid0(VALU_DEP_2) | instskip(SKIP_1) | instid1(VALU_DEP_3)
	v_sub_nc_u32_e32 v149, 0x78, v146
	v_cmp_gt_u32_e32 vcc_lo, 0x79, v146
	v_or_b32_e32 v150, 0x800000, v147
	s_delay_alu instid0(VALU_DEP_3) | instskip(SKIP_2) | instid1(VALU_DEP_3)
	v_cndmask_b32_e32 v149, 0, v149, vcc_lo
	v_cmp_eq_u32_e32 vcc_lo, 0, v146
	v_add_nc_u32_e32 v146, 0xffffff89, v146
	v_cndmask_b32_e64 v149, v149, 0x77, vcc_lo
	v_cndmask_b32_e32 v147, v150, v147, vcc_lo
	s_delay_alu instid0(VALU_DEP_3) | instskip(NEXT) | instid1(VALU_DEP_3)
	v_cndmask_b32_e64 v146, v146, 0xffffff8a, vcc_lo
	v_lshl_add_u32 v150, 0x100000, v149, -1
	s_delay_alu instid0(VALU_DEP_3) | instskip(SKIP_1) | instid1(VALU_DEP_4)
	v_lshrrev_b32_e32 v151, v149, v147
	v_lshlrev_b32_e64 v161, v149, 0x80000
	v_add_nc_u32_e32 v149, v149, v146
	s_delay_alu instid0(VALU_DEP_4) | instskip(NEXT) | instid1(VALU_DEP_4)
	v_and_b32_e32 v147, v150, v147
	v_bfe_u32 v160, v151, 20, 1
	s_delay_alu instid0(VALU_DEP_2) | instskip(NEXT) | instid1(VALU_DEP_2)
	v_cmp_eq_u32_e64 s14, v147, v161
	v_add_nc_u32_e32 v150, -1, v160
	s_delay_alu instid0(VALU_DEP_1) | instskip(SKIP_2) | instid1(VALU_DEP_2)
	v_cndmask_b32_e64 v147, 0, v150, s14
	v_lshrrev_b32_e32 v150, 23, v151
	s_mov_b32 s14, exec_lo
	v_add_nc_u32_e32 v147, v147, v151
	s_delay_alu instid0(VALU_DEP_2) | instskip(NEXT) | instid1(VALU_DEP_2)
	v_xor_b32_e32 v150, 1, v150
	v_and_b32_e32 v146, 0xfffff, v147
	s_delay_alu instid0(VALU_DEP_1) | instskip(NEXT) | instid1(VALU_DEP_3)
	v_add_nc_u32_e32 v147, v146, v151
                                        ; implicit-def: $vgpr146
	v_cmpx_ne_u32_e64 v149, v150
	s_xor_b32 s14, exec_lo, s14
; %bb.563:                              ;   in Loop: Header=BB2_394 Depth=4
	s_delay_alu instid0(VALU_DEP_2) | instskip(SKIP_2) | instid1(VALU_DEP_2)
	v_cmp_lt_u32_e32 vcc_lo, 0xffffff, v147
	v_sub_nc_u32_e32 v146, v149, v150
	v_cndmask_b32_e64 v149, 0, 1, vcc_lo
	v_add_co_ci_u32_e32 v146, vcc_lo, 0, v146, vcc_lo
	s_delay_alu instid0(VALU_DEP_2)
	v_lshrrev_b32_e32 v147, v149, v147
; %bb.564:                              ;   in Loop: Header=BB2_394 Depth=4
	s_and_not1_saveexec_b32 s14, s14
; %bb.565:                              ;   in Loop: Header=BB2_394 Depth=4
	s_delay_alu instid0(VALU_DEP_1)
	v_bfe_u32 v146, v147, 23, 1
; %bb.566:                              ;   in Loop: Header=BB2_394 Depth=4
	s_or_b32 exec_lo, exec_lo, s14
	v_lshrrev_b32_e32 v147, 20, v147
	s_delay_alu instid0(VALU_DEP_2) | instskip(SKIP_2) | instid1(VALU_DEP_2)
	v_cmp_gt_i32_e32 vcc_lo, 16, v146
	v_lshrrev_b32_e32 v148, 24, v148
	v_min_i32_e32 v149, 15, v146
	v_dual_cndmask_b32 v147, 7, v147 :: v_dual_and_b32 v148, 0x80, v148
	s_delay_alu instid0(VALU_DEP_1) | instskip(SKIP_1) | instid1(VALU_DEP_2)
	v_or_b32_e32 v146, v146, v147
	v_and_b32_e32 v150, 7, v147
	v_cmp_ne_u32_e32 vcc_lo, 0, v146
	v_lshlrev_b32_e32 v149, 3, v149
	s_delay_alu instid0(VALU_DEP_1) | instskip(NEXT) | instid1(VALU_DEP_1)
	v_or3_b32 v147, v149, v148, v150
	v_cndmask_b32_e32 v146, 0, v147, vcc_lo
.LBB2_567:                              ;   in Loop: Header=BB2_394 Depth=4
	s_or_b32 exec_lo, exec_lo, s38
.LBB2_568:                              ;   in Loop: Header=BB2_394 Depth=4
	s_delay_alu instid0(SALU_CYCLE_1) | instskip(SKIP_3) | instid1(VALU_DEP_2)
	s_or_b32 exec_lo, exec_lo, s37
	v_lshrrev_b32_e32 v148, 16, v13
	v_lshrrev_b32_e32 v147, 16, v9
	s_and_b32 vcc_lo, exec_lo, s36
	v_and_b32_e32 v149, 0xff, v148
	s_delay_alu instid0(VALU_DEP_1)
	v_cmp_lt_i16_e64 s14, 0x7f, v149
	s_cbranch_vccz .LBB2_578
; %bb.569:                              ;   in Loop: Header=BB2_394 Depth=4
	s_mov_b32 s37, 0
                                        ; implicit-def: $sgpr38
	s_delay_alu instid0(VALU_DEP_1) | instskip(NEXT) | instid1(SALU_CYCLE_1)
	s_and_saveexec_b32 vcc_lo, s14
	s_xor_b32 s14, exec_lo, vcc_lo
	s_cbranch_execnz .LBB2_952
; %bb.570:                              ;   in Loop: Header=BB2_394 Depth=4
	s_or_saveexec_b32 s14, s14
	v_mov_b32_e32 v150, s38
	s_xor_b32 exec_lo, exec_lo, s14
	s_cbranch_execnz .LBB2_955
.LBB2_571:                              ;   in Loop: Header=BB2_394 Depth=4
	s_or_b32 exec_lo, exec_lo, s14
	s_and_saveexec_b32 s14, s37
	s_cbranch_execz .LBB2_573
.LBB2_572:                              ;   in Loop: Header=BB2_394 Depth=4
	v_bfe_u32 v150, v13, 16, 3
	v_bfe_u32 v161, v13, 19, 4
	v_lshlrev_b32_e32 v162, 24, v148
	s_delay_alu instid0(VALU_DEP_3) | instskip(NEXT) | instid1(VALU_DEP_3)
	v_clz_i32_u32_e32 v151, v150
	v_cmp_eq_u32_e32 vcc_lo, 0, v161
	s_delay_alu instid0(VALU_DEP_2) | instskip(NEXT) | instid1(VALU_DEP_1)
	v_min_u32_e32 v151, 32, v151
	v_subrev_nc_u32_e32 v160, 28, v151
	v_sub_nc_u32_e32 v151, 29, v151
	s_delay_alu instid0(VALU_DEP_1) | instskip(NEXT) | instid1(VALU_DEP_1)
	v_dual_cndmask_b32 v151, v161, v151 :: v_dual_lshlrev_b32 v160, v160, v148
	v_and_b32_e32 v160, 7, v160
	s_delay_alu instid0(VALU_DEP_2) | instskip(NEXT) | instid1(VALU_DEP_2)
	v_lshl_add_u32 v151, v151, 23, 0x3b800000
	v_cndmask_b32_e32 v150, v150, v160, vcc_lo
	v_and_b32_e32 v160, 0x80000000, v162
	s_delay_alu instid0(VALU_DEP_2) | instskip(NEXT) | instid1(VALU_DEP_1)
	v_lshlrev_b32_e32 v150, 20, v150
	v_or3_b32 v150, v160, v151, v150
.LBB2_573:                              ;   in Loop: Header=BB2_394 Depth=4
	s_or_b32 exec_lo, exec_lo, s14
	v_and_b32_e32 v160, 0xff, v147
	s_mov_b32 s14, 0
	s_mov_b32 s38, exec_lo
                                        ; implicit-def: $sgpr37
	s_delay_alu instid0(VALU_DEP_1)
	v_cmpx_lt_i16_e64 0x7f, v160
	s_xor_b32 s38, exec_lo, s38
	s_cbranch_execnz .LBB2_956
; %bb.574:                              ;   in Loop: Header=BB2_394 Depth=4
	s_or_saveexec_b32 s38, s38
	v_mov_b32_e32 v151, s37
	s_xor_b32 exec_lo, exec_lo, s38
	s_cbranch_execnz .LBB2_959
.LBB2_575:                              ;   in Loop: Header=BB2_394 Depth=4
	s_or_b32 exec_lo, exec_lo, s38
	s_and_saveexec_b32 s37, s14
	s_cbranch_execz .LBB2_577
.LBB2_576:                              ;   in Loop: Header=BB2_394 Depth=4
	v_bfe_u32 v151, v9, 16, 3
	v_bfe_u32 v162, v9, 19, 4
	v_lshlrev_b32_e32 v163, 24, v147
	s_delay_alu instid0(VALU_DEP_3) | instskip(NEXT) | instid1(VALU_DEP_3)
	v_clz_i32_u32_e32 v160, v151
	v_cmp_eq_u32_e32 vcc_lo, 0, v162
	s_delay_alu instid0(VALU_DEP_2) | instskip(NEXT) | instid1(VALU_DEP_1)
	v_min_u32_e32 v160, 32, v160
	v_subrev_nc_u32_e32 v161, 28, v160
	v_sub_nc_u32_e32 v160, 29, v160
	s_delay_alu instid0(VALU_DEP_1) | instskip(NEXT) | instid1(VALU_DEP_1)
	v_dual_cndmask_b32 v160, v162, v160 :: v_dual_lshlrev_b32 v161, v161, v147
	v_and_b32_e32 v161, 7, v161
	s_delay_alu instid0(VALU_DEP_2) | instskip(NEXT) | instid1(VALU_DEP_2)
	v_lshl_add_u32 v160, v160, 23, 0x3b800000
	v_cndmask_b32_e32 v151, v151, v161, vcc_lo
	v_and_b32_e32 v161, 0x80000000, v163
	s_delay_alu instid0(VALU_DEP_2) | instskip(NEXT) | instid1(VALU_DEP_1)
	v_lshlrev_b32_e32 v151, 20, v151
	v_or3_b32 v151, v161, v160, v151
.LBB2_577:                              ;   in Loop: Header=BB2_394 Depth=4
	s_or_b32 exec_lo, exec_lo, s37
	s_delay_alu instid0(VALU_DEP_1) | instskip(SKIP_1) | instid1(VALU_DEP_1)
	v_dual_max_f32 v151, v151, v151 :: v_dual_max_f32 v150, v150, v150
	s_mov_b32 s14, 0
	v_max_f32_e32 v150, v150, v151
	s_branch .LBB2_579
.LBB2_578:                              ;   in Loop: Header=BB2_394 Depth=4
	s_mov_b32 s14, -1
                                        ; implicit-def: $vgpr150
.LBB2_579:                              ;   in Loop: Header=BB2_394 Depth=4
	s_delay_alu instid0(SALU_CYCLE_1)
	s_and_b32 vcc_lo, exec_lo, s14
	s_cbranch_vccz .LBB2_589
; %bb.580:                              ;   in Loop: Header=BB2_394 Depth=4
	s_mov_b32 s14, 0
	s_mov_b32 s38, exec_lo
                                        ; implicit-def: $sgpr37
	v_cmpx_lt_i16_e64 0x7f, v149
	s_xor_b32 s38, exec_lo, s38
	s_cbranch_execnz .LBB2_960
; %bb.581:                              ;   in Loop: Header=BB2_394 Depth=4
	s_or_saveexec_b32 s38, s38
	v_mov_b32_e32 v150, s37
	s_xor_b32 exec_lo, exec_lo, s38
	s_cbranch_execnz .LBB2_963
.LBB2_582:                              ;   in Loop: Header=BB2_394 Depth=4
	s_or_b32 exec_lo, exec_lo, s38
	s_and_saveexec_b32 s37, s14
	s_cbranch_execz .LBB2_584
.LBB2_583:                              ;   in Loop: Header=BB2_394 Depth=4
	v_bfe_u32 v149, v13, 16, 3
	v_bfe_u32 v160, v13, 19, 4
	s_delay_alu instid0(VALU_DEP_2) | instskip(NEXT) | instid1(VALU_DEP_2)
	v_clz_i32_u32_e32 v150, v149
	v_cmp_eq_u32_e32 vcc_lo, 0, v160
	s_delay_alu instid0(VALU_DEP_2) | instskip(NEXT) | instid1(VALU_DEP_1)
	v_min_u32_e32 v150, 32, v150
	v_subrev_nc_u32_e32 v151, 28, v150
	v_sub_nc_u32_e32 v150, 29, v150
	s_delay_alu instid0(VALU_DEP_1) | instskip(NEXT) | instid1(VALU_DEP_1)
	v_dual_cndmask_b32 v150, v160, v150 :: v_dual_lshlrev_b32 v151, v151, v148
	v_and_b32_e32 v151, 7, v151
	v_lshlrev_b32_e32 v148, 24, v148
	s_delay_alu instid0(VALU_DEP_3) | instskip(NEXT) | instid1(VALU_DEP_2)
	v_lshl_add_u32 v150, v150, 23, 0x3b800000
	v_dual_cndmask_b32 v149, v149, v151 :: v_dual_and_b32 v148, 0x80000000, v148
	s_delay_alu instid0(VALU_DEP_1) | instskip(NEXT) | instid1(VALU_DEP_1)
	v_lshlrev_b32_e32 v149, 20, v149
	v_or3_b32 v150, v148, v150, v149
.LBB2_584:                              ;   in Loop: Header=BB2_394 Depth=4
	s_or_b32 exec_lo, exec_lo, s37
	v_and_b32_e32 v149, 0xff, v147
	s_mov_b32 s14, 0
	s_mov_b32 s38, exec_lo
                                        ; implicit-def: $sgpr37
	s_delay_alu instid0(VALU_DEP_1)
	v_cmpx_lt_i16_e64 0x7f, v149
	s_xor_b32 s38, exec_lo, s38
	s_cbranch_execnz .LBB2_964
; %bb.585:                              ;   in Loop: Header=BB2_394 Depth=4
	s_or_saveexec_b32 s38, s38
	v_mov_b32_e32 v148, s37
	s_xor_b32 exec_lo, exec_lo, s38
	s_cbranch_execnz .LBB2_967
.LBB2_586:                              ;   in Loop: Header=BB2_394 Depth=4
	s_or_b32 exec_lo, exec_lo, s38
	s_and_saveexec_b32 s37, s14
	s_cbranch_execz .LBB2_588
.LBB2_587:                              ;   in Loop: Header=BB2_394 Depth=4
	v_bfe_u32 v148, v9, 16, 3
	v_bfe_u32 v160, v9, 19, 4
	s_delay_alu instid0(VALU_DEP_2) | instskip(NEXT) | instid1(VALU_DEP_2)
	v_clz_i32_u32_e32 v149, v148
	v_cmp_eq_u32_e32 vcc_lo, 0, v160
	s_delay_alu instid0(VALU_DEP_2) | instskip(NEXT) | instid1(VALU_DEP_1)
	v_min_u32_e32 v149, 32, v149
	v_subrev_nc_u32_e32 v151, 28, v149
	v_sub_nc_u32_e32 v149, 29, v149
	s_delay_alu instid0(VALU_DEP_2) | instskip(SKIP_1) | instid1(VALU_DEP_2)
	v_lshlrev_b32_e32 v151, v151, v147
	v_lshlrev_b32_e32 v147, 24, v147
	v_and_b32_e32 v151, 7, v151
	s_delay_alu instid0(VALU_DEP_2) | instskip(NEXT) | instid1(VALU_DEP_2)
	v_and_b32_e32 v147, 0x80000000, v147
	v_cndmask_b32_e32 v148, v148, v151, vcc_lo
	s_delay_alu instid0(VALU_DEP_1) | instskip(NEXT) | instid1(VALU_DEP_1)
	v_dual_cndmask_b32 v149, v160, v149 :: v_dual_lshlrev_b32 v148, 20, v148
	v_lshl_add_u32 v149, v149, 23, 0x3b800000
	s_delay_alu instid0(VALU_DEP_1)
	v_or3_b32 v148, v147, v149, v148
.LBB2_588:                              ;   in Loop: Header=BB2_394 Depth=4
	s_or_b32 exec_lo, exec_lo, s37
	s_delay_alu instid0(VALU_DEP_1) | instskip(NEXT) | instid1(VALU_DEP_1)
	v_dual_max_f32 v147, v148, v148 :: v_dual_max_f32 v148, v150, v150
	v_min_f32_e32 v150, v148, v147
.LBB2_589:                              ;   in Loop: Header=BB2_394 Depth=4
	s_delay_alu instid0(VALU_DEP_1) | instskip(NEXT) | instid1(VALU_DEP_1)
	v_and_b32_e32 v147, 0x7f800000, v150
	v_cmp_ne_u32_e32 vcc_lo, 0x7f800000, v147
	v_mov_b32_e32 v147, 0x80
	s_and_saveexec_b32 s37, vcc_lo
	s_cbranch_execz .LBB2_597
; %bb.590:                              ;   in Loop: Header=BB2_394 Depth=4
	v_mov_b32_e32 v147, 0
	s_mov_b32 s38, exec_lo
	v_cmpx_ne_u32_e32 0, v150
	s_cbranch_execz .LBB2_596
; %bb.591:                              ;   in Loop: Header=BB2_394 Depth=4
	v_bfe_u32 v147, v150, 23, 8
	s_delay_alu instid0(VALU_DEP_1) | instskip(SKIP_1) | instid1(VALU_DEP_2)
	v_sub_nc_u32_e32 v149, 0x78, v147
	v_cmp_gt_u32_e32 vcc_lo, 0x79, v147
	v_dual_cndmask_b32 v149, 0, v149 :: v_dual_and_b32 v148, 0x7fffff, v150
	s_delay_alu instid0(VALU_DEP_1) | instskip(SKIP_2) | instid1(VALU_DEP_4)
	v_or_b32_e32 v151, 0x800000, v148
	v_cmp_eq_u32_e32 vcc_lo, 0, v147
	v_add_nc_u32_e32 v147, 0xffffff89, v147
	v_cndmask_b32_e64 v149, v149, 0x77, vcc_lo
	s_delay_alu instid0(VALU_DEP_4) | instskip(NEXT) | instid1(VALU_DEP_3)
	v_cndmask_b32_e32 v148, v151, v148, vcc_lo
	v_cndmask_b32_e64 v147, v147, 0xffffff8a, vcc_lo
	s_delay_alu instid0(VALU_DEP_3) | instskip(NEXT) | instid1(VALU_DEP_3)
	v_lshl_add_u32 v151, 0x100000, v149, -1
	v_lshrrev_b32_e32 v160, v149, v148
	v_lshlrev_b32_e64 v162, v149, 0x80000
	s_delay_alu instid0(VALU_DEP_4) | instskip(NEXT) | instid1(VALU_DEP_4)
	v_add_nc_u32_e32 v149, v149, v147
	v_and_b32_e32 v148, v151, v148
	s_delay_alu instid0(VALU_DEP_4) | instskip(NEXT) | instid1(VALU_DEP_2)
	v_bfe_u32 v161, v160, 20, 1
	v_cmp_eq_u32_e64 s14, v148, v162
	s_delay_alu instid0(VALU_DEP_2) | instskip(NEXT) | instid1(VALU_DEP_1)
	v_add_nc_u32_e32 v151, -1, v161
	v_cndmask_b32_e64 v148, 0, v151, s14
	v_lshrrev_b32_e32 v151, 23, v160
	s_mov_b32 s14, exec_lo
	s_delay_alu instid0(VALU_DEP_2) | instskip(NEXT) | instid1(VALU_DEP_2)
	v_add_nc_u32_e32 v148, v148, v160
	v_xor_b32_e32 v151, 1, v151
	s_delay_alu instid0(VALU_DEP_2) | instskip(NEXT) | instid1(VALU_DEP_1)
	v_and_b32_e32 v147, 0xfffff, v148
	v_add_nc_u32_e32 v148, v147, v160
                                        ; implicit-def: $vgpr147
	s_delay_alu instid0(VALU_DEP_3)
	v_cmpx_ne_u32_e64 v149, v151
	s_xor_b32 s14, exec_lo, s14
; %bb.592:                              ;   in Loop: Header=BB2_394 Depth=4
	s_delay_alu instid0(VALU_DEP_2) | instskip(SKIP_2) | instid1(VALU_DEP_2)
	v_cmp_lt_u32_e32 vcc_lo, 0xffffff, v148
	v_sub_nc_u32_e32 v147, v149, v151
	v_cndmask_b32_e64 v149, 0, 1, vcc_lo
	v_add_co_ci_u32_e32 v147, vcc_lo, 0, v147, vcc_lo
	s_delay_alu instid0(VALU_DEP_2)
	v_lshrrev_b32_e32 v148, v149, v148
; %bb.593:                              ;   in Loop: Header=BB2_394 Depth=4
	s_and_not1_saveexec_b32 s14, s14
; %bb.594:                              ;   in Loop: Header=BB2_394 Depth=4
	s_delay_alu instid0(VALU_DEP_1)
	v_bfe_u32 v147, v148, 23, 1
; %bb.595:                              ;   in Loop: Header=BB2_394 Depth=4
	s_or_b32 exec_lo, exec_lo, s14
	v_lshrrev_b32_e32 v148, 20, v148
	s_delay_alu instid0(VALU_DEP_2) | instskip(SKIP_2) | instid1(VALU_DEP_2)
	v_cmp_gt_i32_e32 vcc_lo, 16, v147
	v_min_i32_e32 v149, 15, v147
	v_lshrrev_b32_e32 v150, 24, v150
	v_dual_cndmask_b32 v148, 7, v148 :: v_dual_lshlrev_b32 v149, 3, v149
	s_delay_alu instid0(VALU_DEP_1) | instskip(SKIP_1) | instid1(VALU_DEP_3)
	v_or_b32_e32 v147, v147, v148
	v_and_b32_e32 v151, 7, v148
	v_and_b32_e32 v149, 0xf8, v149
	s_delay_alu instid0(VALU_DEP_3) | instskip(SKIP_1) | instid1(VALU_DEP_1)
	v_cmp_ne_u32_e32 vcc_lo, 0, v147
	v_and_b32_e32 v150, 0x80, v150
	v_or3_b32 v148, v149, v150, v151
	s_delay_alu instid0(VALU_DEP_1)
	v_cndmask_b32_e32 v147, 0, v148, vcc_lo
.LBB2_596:                              ;   in Loop: Header=BB2_394 Depth=4
	s_or_b32 exec_lo, exec_lo, s38
.LBB2_597:                              ;   in Loop: Header=BB2_394 Depth=4
	s_delay_alu instid0(SALU_CYCLE_1) | instskip(SKIP_3) | instid1(VALU_DEP_2)
	s_or_b32 exec_lo, exec_lo, s37
	v_lshrrev_b32_e32 v149, 24, v13
	v_lshrrev_b32_e32 v148, 24, v9
	s_and_b32 vcc_lo, exec_lo, s36
	v_cmp_lt_i16_e64 s14, 0x7f, v149
	s_cbranch_vccz .LBB2_607
; %bb.598:                              ;   in Loop: Header=BB2_394 Depth=4
	s_mov_b32 s37, 0
                                        ; implicit-def: $sgpr38
	s_delay_alu instid0(VALU_DEP_1) | instskip(NEXT) | instid1(SALU_CYCLE_1)
	s_and_saveexec_b32 vcc_lo, s14
	s_xor_b32 s14, exec_lo, vcc_lo
	s_cbranch_execnz .LBB2_968
; %bb.599:                              ;   in Loop: Header=BB2_394 Depth=4
	s_or_saveexec_b32 s14, s14
	v_mov_b32_e32 v150, s38
	s_xor_b32 exec_lo, exec_lo, s14
	s_cbranch_execnz .LBB2_971
.LBB2_600:                              ;   in Loop: Header=BB2_394 Depth=4
	s_or_b32 exec_lo, exec_lo, s14
	s_and_saveexec_b32 s14, s37
	s_cbranch_execz .LBB2_602
.LBB2_601:                              ;   in Loop: Header=BB2_394 Depth=4
	v_bfe_u32 v150, v13, 24, 3
	v_bfe_u32 v161, v13, 27, 4
	s_delay_alu instid0(VALU_DEP_2) | instskip(NEXT) | instid1(VALU_DEP_2)
	v_clz_i32_u32_e32 v151, v150
	v_cmp_eq_u32_e32 vcc_lo, 0, v161
	s_delay_alu instid0(VALU_DEP_2) | instskip(NEXT) | instid1(VALU_DEP_1)
	v_min_u32_e32 v151, 32, v151
	v_subrev_nc_u32_e32 v160, 28, v151
	v_sub_nc_u32_e32 v151, 29, v151
	s_delay_alu instid0(VALU_DEP_1) | instskip(NEXT) | instid1(VALU_DEP_1)
	v_dual_cndmask_b32 v151, v161, v151 :: v_dual_lshlrev_b32 v160, v160, v149
	v_and_b32_e32 v160, 7, v160
	s_delay_alu instid0(VALU_DEP_2) | instskip(NEXT) | instid1(VALU_DEP_2)
	v_lshl_add_u32 v151, v151, 23, 0x3b800000
	v_cndmask_b32_e32 v150, v150, v160, vcc_lo
	v_and_b32_e32 v160, 0x80000000, v13
	s_delay_alu instid0(VALU_DEP_2) | instskip(NEXT) | instid1(VALU_DEP_1)
	v_lshlrev_b32_e32 v150, 20, v150
	v_or3_b32 v150, v160, v151, v150
.LBB2_602:                              ;   in Loop: Header=BB2_394 Depth=4
	s_or_b32 exec_lo, exec_lo, s14
	s_mov_b32 s14, 0
	s_mov_b32 s38, exec_lo
                                        ; implicit-def: $sgpr37
	v_cmpx_lt_i16_e64 0x7f, v148
	s_xor_b32 s38, exec_lo, s38
	s_cbranch_execnz .LBB2_972
; %bb.603:                              ;   in Loop: Header=BB2_394 Depth=4
	s_or_saveexec_b32 s38, s38
	v_mov_b32_e32 v151, s37
	s_xor_b32 exec_lo, exec_lo, s38
	s_cbranch_execnz .LBB2_975
.LBB2_604:                              ;   in Loop: Header=BB2_394 Depth=4
	s_or_b32 exec_lo, exec_lo, s38
	s_and_saveexec_b32 s37, s14
	s_cbranch_execz .LBB2_606
.LBB2_605:                              ;   in Loop: Header=BB2_394 Depth=4
	v_bfe_u32 v151, v9, 24, 3
	v_bfe_u32 v162, v9, 27, 4
	s_delay_alu instid0(VALU_DEP_2) | instskip(NEXT) | instid1(VALU_DEP_2)
	v_clz_i32_u32_e32 v160, v151
	v_cmp_eq_u32_e32 vcc_lo, 0, v162
	s_delay_alu instid0(VALU_DEP_2) | instskip(NEXT) | instid1(VALU_DEP_1)
	v_min_u32_e32 v160, 32, v160
	v_subrev_nc_u32_e32 v161, 28, v160
	v_sub_nc_u32_e32 v160, 29, v160
	s_delay_alu instid0(VALU_DEP_2) | instskip(NEXT) | instid1(VALU_DEP_1)
	v_lshlrev_b32_e32 v161, v161, v148
	v_dual_cndmask_b32 v160, v162, v160 :: v_dual_and_b32 v161, 7, v161
	s_delay_alu instid0(VALU_DEP_1) | instskip(NEXT) | instid1(VALU_DEP_2)
	v_lshl_add_u32 v160, v160, 23, 0x3b800000
	v_cndmask_b32_e32 v151, v151, v161, vcc_lo
	v_and_b32_e32 v161, 0x80000000, v9
	s_delay_alu instid0(VALU_DEP_2) | instskip(NEXT) | instid1(VALU_DEP_1)
	v_lshlrev_b32_e32 v151, 20, v151
	v_or3_b32 v151, v161, v160, v151
.LBB2_606:                              ;   in Loop: Header=BB2_394 Depth=4
	s_or_b32 exec_lo, exec_lo, s37
	s_delay_alu instid0(VALU_DEP_1) | instskip(SKIP_1) | instid1(VALU_DEP_1)
	v_dual_max_f32 v151, v151, v151 :: v_dual_max_f32 v150, v150, v150
	s_mov_b32 s14, 0
	v_max_f32_e32 v150, v150, v151
	s_branch .LBB2_608
.LBB2_607:                              ;   in Loop: Header=BB2_394 Depth=4
	s_mov_b32 s14, -1
                                        ; implicit-def: $vgpr150
.LBB2_608:                              ;   in Loop: Header=BB2_394 Depth=4
	s_delay_alu instid0(SALU_CYCLE_1)
	s_and_b32 vcc_lo, exec_lo, s14
	s_cbranch_vccz .LBB2_618
; %bb.609:                              ;   in Loop: Header=BB2_394 Depth=4
	s_mov_b32 s14, 0
	s_mov_b32 s38, exec_lo
                                        ; implicit-def: $sgpr37
	v_cmpx_lt_i16_e64 0x7f, v149
	s_xor_b32 s38, exec_lo, s38
	s_cbranch_execnz .LBB2_976
; %bb.610:                              ;   in Loop: Header=BB2_394 Depth=4
	s_or_saveexec_b32 s38, s38
	v_mov_b32_e32 v150, s37
	s_xor_b32 exec_lo, exec_lo, s38
	s_cbranch_execnz .LBB2_979
.LBB2_611:                              ;   in Loop: Header=BB2_394 Depth=4
	s_or_b32 exec_lo, exec_lo, s38
	s_and_saveexec_b32 s37, s14
	s_cbranch_execz .LBB2_613
.LBB2_612:                              ;   in Loop: Header=BB2_394 Depth=4
	v_bfe_u32 v150, v13, 24, 3
	s_delay_alu instid0(VALU_DEP_1) | instskip(NEXT) | instid1(VALU_DEP_1)
	v_clz_i32_u32_e32 v151, v150
	v_min_u32_e32 v151, 32, v151
	s_delay_alu instid0(VALU_DEP_1) | instskip(SKIP_1) | instid1(VALU_DEP_2)
	v_subrev_nc_u32_e32 v160, 28, v151
	v_sub_nc_u32_e32 v151, 29, v151
	v_lshlrev_b32_e32 v149, v160, v149
	v_bfe_u32 v160, v13, 27, 4
	v_and_b32_e32 v13, 0x80000000, v13
	s_delay_alu instid0(VALU_DEP_3) | instskip(NEXT) | instid1(VALU_DEP_3)
	v_and_b32_e32 v149, 7, v149
	v_cmp_eq_u32_e32 vcc_lo, 0, v160
	v_cndmask_b32_e32 v151, v160, v151, vcc_lo
	s_delay_alu instid0(VALU_DEP_3) | instskip(NEXT) | instid1(VALU_DEP_2)
	v_cndmask_b32_e32 v149, v150, v149, vcc_lo
	v_lshl_add_u32 v150, v151, 23, 0x3b800000
	s_delay_alu instid0(VALU_DEP_2) | instskip(NEXT) | instid1(VALU_DEP_1)
	v_lshlrev_b32_e32 v149, 20, v149
	v_or3_b32 v150, v13, v150, v149
.LBB2_613:                              ;   in Loop: Header=BB2_394 Depth=4
	s_or_b32 exec_lo, exec_lo, s37
	s_mov_b32 s14, 0
	s_mov_b32 s38, exec_lo
                                        ; implicit-def: $sgpr37
	v_cmpx_lt_i16_e64 0x7f, v148
	s_xor_b32 s38, exec_lo, s38
	s_cbranch_execnz .LBB2_980
; %bb.614:                              ;   in Loop: Header=BB2_394 Depth=4
	s_or_saveexec_b32 s38, s38
	v_mov_b32_e32 v13, s37
	s_xor_b32 exec_lo, exec_lo, s38
	s_cbranch_execnz .LBB2_983
.LBB2_615:                              ;   in Loop: Header=BB2_394 Depth=4
	s_or_b32 exec_lo, exec_lo, s38
	s_and_saveexec_b32 s37, s14
	s_cbranch_execz .LBB2_617
.LBB2_616:                              ;   in Loop: Header=BB2_394 Depth=4
	v_bfe_u32 v13, v9, 24, 3
	s_delay_alu instid0(VALU_DEP_1) | instskip(NEXT) | instid1(VALU_DEP_1)
	v_clz_i32_u32_e32 v149, v13
	v_min_u32_e32 v149, 32, v149
	s_delay_alu instid0(VALU_DEP_1) | instskip(SKIP_1) | instid1(VALU_DEP_2)
	v_subrev_nc_u32_e32 v151, 28, v149
	v_sub_nc_u32_e32 v149, 29, v149
	v_lshlrev_b32_e32 v148, v151, v148
	v_bfe_u32 v151, v9, 27, 4
	v_and_b32_e32 v9, 0x80000000, v9
	s_delay_alu instid0(VALU_DEP_2) | instskip(NEXT) | instid1(VALU_DEP_4)
	v_cmp_eq_u32_e32 vcc_lo, 0, v151
	v_dual_cndmask_b32 v149, v151, v149 :: v_dual_and_b32 v148, 7, v148
	s_delay_alu instid0(VALU_DEP_1) | instskip(NEXT) | instid1(VALU_DEP_2)
	v_cndmask_b32_e32 v13, v13, v148, vcc_lo
	v_lshl_add_u32 v148, v149, 23, 0x3b800000
	s_delay_alu instid0(VALU_DEP_2) | instskip(NEXT) | instid1(VALU_DEP_1)
	v_lshlrev_b32_e32 v13, 20, v13
	v_or3_b32 v13, v9, v148, v13
.LBB2_617:                              ;   in Loop: Header=BB2_394 Depth=4
	s_or_b32 exec_lo, exec_lo, s37
	s_delay_alu instid0(VALU_DEP_1) | instskip(SKIP_1) | instid1(VALU_DEP_1)
	v_max_f32_e32 v9, v13, v13
	v_max_f32_e32 v13, v150, v150
	v_min_f32_e32 v150, v13, v9
.LBB2_618:                              ;   in Loop: Header=BB2_394 Depth=4
	s_delay_alu instid0(VALU_DEP_1) | instskip(NEXT) | instid1(VALU_DEP_1)
	v_and_b32_e32 v9, 0x7f800000, v150
	v_cmp_ne_u32_e32 vcc_lo, 0x7f800000, v9
	v_mov_b32_e32 v9, 0x8000
	s_and_saveexec_b32 s37, vcc_lo
	s_cbranch_execz .LBB2_626
; %bb.619:                              ;   in Loop: Header=BB2_394 Depth=4
	v_mov_b32_e32 v9, 0
	s_mov_b32 s38, exec_lo
	v_cmpx_ne_u32_e32 0, v150
	s_cbranch_execz .LBB2_625
; %bb.620:                              ;   in Loop: Header=BB2_394 Depth=4
	v_bfe_u32 v9, v150, 23, 8
	s_delay_alu instid0(VALU_DEP_1) | instskip(SKIP_1) | instid1(VALU_DEP_2)
	v_sub_nc_u32_e32 v148, 0x78, v9
	v_cmp_gt_u32_e32 vcc_lo, 0x79, v9
	v_dual_cndmask_b32 v148, 0, v148 :: v_dual_and_b32 v13, 0x7fffff, v150
	s_delay_alu instid0(VALU_DEP_1) | instskip(SKIP_2) | instid1(VALU_DEP_4)
	v_or_b32_e32 v149, 0x800000, v13
	v_cmp_eq_u32_e32 vcc_lo, 0, v9
	v_add_nc_u32_e32 v9, 0xffffff89, v9
	v_cndmask_b32_e64 v148, v148, 0x77, vcc_lo
	s_delay_alu instid0(VALU_DEP_4) | instskip(NEXT) | instid1(VALU_DEP_3)
	v_cndmask_b32_e32 v13, v149, v13, vcc_lo
	v_cndmask_b32_e64 v9, v9, 0xffffff8a, vcc_lo
	s_delay_alu instid0(VALU_DEP_3) | instskip(NEXT) | instid1(VALU_DEP_3)
	v_lshl_add_u32 v149, 0x100000, v148, -1
	v_lshrrev_b32_e32 v151, v148, v13
	v_lshlrev_b32_e64 v161, v148, 0x80000
	s_delay_alu instid0(VALU_DEP_4) | instskip(NEXT) | instid1(VALU_DEP_4)
	v_add_nc_u32_e32 v148, v148, v9
	v_and_b32_e32 v13, v149, v13
	s_delay_alu instid0(VALU_DEP_4) | instskip(NEXT) | instid1(VALU_DEP_2)
	v_bfe_u32 v160, v151, 20, 1
	v_cmp_eq_u32_e64 s14, v13, v161
	s_delay_alu instid0(VALU_DEP_2) | instskip(NEXT) | instid1(VALU_DEP_1)
	v_add_nc_u32_e32 v149, -1, v160
	v_cndmask_b32_e64 v13, 0, v149, s14
	v_lshrrev_b32_e32 v149, 23, v151
	s_mov_b32 s14, exec_lo
	s_delay_alu instid0(VALU_DEP_2) | instskip(NEXT) | instid1(VALU_DEP_2)
	v_add_nc_u32_e32 v13, v13, v151
	v_xor_b32_e32 v149, 1, v149
	s_delay_alu instid0(VALU_DEP_2) | instskip(NEXT) | instid1(VALU_DEP_1)
	v_and_b32_e32 v9, 0xfffff, v13
	v_add_nc_u32_e32 v13, v9, v151
                                        ; implicit-def: $vgpr9
	s_delay_alu instid0(VALU_DEP_3)
	v_cmpx_ne_u32_e64 v148, v149
	s_xor_b32 s14, exec_lo, s14
; %bb.621:                              ;   in Loop: Header=BB2_394 Depth=4
	s_delay_alu instid0(VALU_DEP_2) | instskip(SKIP_2) | instid1(VALU_DEP_2)
	v_cmp_lt_u32_e32 vcc_lo, 0xffffff, v13
	v_sub_nc_u32_e32 v9, v148, v149
	v_cndmask_b32_e64 v148, 0, 1, vcc_lo
	v_add_co_ci_u32_e32 v9, vcc_lo, 0, v9, vcc_lo
	s_delay_alu instid0(VALU_DEP_2)
	v_lshrrev_b32_e32 v13, v148, v13
; %bb.622:                              ;   in Loop: Header=BB2_394 Depth=4
	s_and_not1_saveexec_b32 s14, s14
; %bb.623:                              ;   in Loop: Header=BB2_394 Depth=4
	s_delay_alu instid0(VALU_DEP_1)
	v_bfe_u32 v9, v13, 23, 1
; %bb.624:                              ;   in Loop: Header=BB2_394 Depth=4
	s_or_b32 exec_lo, exec_lo, s14
	v_lshrrev_b32_e32 v13, 20, v13
	s_delay_alu instid0(VALU_DEP_2) | instskip(SKIP_2) | instid1(VALU_DEP_2)
	v_cmp_gt_i32_e32 vcc_lo, 16, v9
	v_min_i32_e32 v148, 15, v9
	v_lshrrev_b32_e32 v149, 24, v150
	v_dual_cndmask_b32 v13, 7, v13 :: v_dual_lshlrev_b32 v148, 3, v148
	s_delay_alu instid0(VALU_DEP_2) | instskip(NEXT) | instid1(VALU_DEP_2)
	v_and_b32_e32 v149, 0x80, v149
	v_or_b32_e32 v9, v9, v13
	v_and_b32_e32 v150, 7, v13
	s_delay_alu instid0(VALU_DEP_2) | instskip(SKIP_1) | instid1(VALU_DEP_1)
	v_cmp_ne_u32_e32 vcc_lo, 0, v9
	v_and_b32_e32 v148, 0xf8, v148
	v_or3_b32 v148, v149, v148, v150
	s_delay_alu instid0(VALU_DEP_1) | instskip(NEXT) | instid1(VALU_DEP_1)
	v_lshlrev_b32_e32 v13, 8, v148
	v_cndmask_b32_e32 v9, 0, v13, vcc_lo
.LBB2_625:                              ;   in Loop: Header=BB2_394 Depth=4
	s_or_b32 exec_lo, exec_lo, s38
.LBB2_626:                              ;   in Loop: Header=BB2_394 Depth=4
	s_delay_alu instid0(SALU_CYCLE_1) | instskip(SKIP_2) | instid1(VALU_DEP_1)
	s_or_b32 exec_lo, exec_lo, s37
	v_and_b32_e32 v13, 0xff, v14
	s_and_b32 vcc_lo, exec_lo, s36
	v_cmp_lt_i16_e64 s14, 0x7f, v13
	s_cbranch_vccz .LBB2_636
; %bb.627:                              ;   in Loop: Header=BB2_394 Depth=4
	s_mov_b32 s37, 0
                                        ; implicit-def: $sgpr38
	s_delay_alu instid0(VALU_DEP_1) | instskip(NEXT) | instid1(SALU_CYCLE_1)
	s_and_saveexec_b32 vcc_lo, s14
	s_xor_b32 s14, exec_lo, vcc_lo
	s_cbranch_execnz .LBB2_984
; %bb.628:                              ;   in Loop: Header=BB2_394 Depth=4
	s_or_saveexec_b32 s14, s14
	v_mov_b32_e32 v148, s38
	s_xor_b32 exec_lo, exec_lo, s14
	s_cbranch_execnz .LBB2_987
.LBB2_629:                              ;   in Loop: Header=BB2_394 Depth=4
	s_or_b32 exec_lo, exec_lo, s14
	s_and_saveexec_b32 s14, s37
	s_cbranch_execz .LBB2_631
.LBB2_630:                              ;   in Loop: Header=BB2_394 Depth=4
	v_bfe_u32 v151, v14, 3, 4
	v_lshlrev_b32_e32 v160, 24, v14
	s_delay_alu instid0(VALU_DEP_2) | instskip(SKIP_1) | instid1(VALU_DEP_1)
	v_cmp_eq_u32_e32 vcc_lo, 0, v151
	v_and_b32_e32 v148, 7, v14
	v_clz_i32_u32_e32 v149, v148
	s_delay_alu instid0(VALU_DEP_1) | instskip(NEXT) | instid1(VALU_DEP_1)
	v_min_u32_e32 v149, 32, v149
	v_subrev_nc_u32_e32 v150, 28, v149
	v_sub_nc_u32_e32 v149, 29, v149
	s_delay_alu instid0(VALU_DEP_1) | instskip(NEXT) | instid1(VALU_DEP_1)
	v_dual_cndmask_b32 v149, v151, v149 :: v_dual_lshlrev_b32 v150, v150, v14
	v_and_b32_e32 v150, 7, v150
	s_delay_alu instid0(VALU_DEP_2) | instskip(NEXT) | instid1(VALU_DEP_2)
	v_lshl_add_u32 v149, v149, 23, 0x3b800000
	v_cndmask_b32_e32 v148, v148, v150, vcc_lo
	v_and_b32_e32 v150, 0x80000000, v160
	s_delay_alu instid0(VALU_DEP_2) | instskip(NEXT) | instid1(VALU_DEP_1)
	v_lshlrev_b32_e32 v148, 20, v148
	v_or3_b32 v148, v150, v149, v148
.LBB2_631:                              ;   in Loop: Header=BB2_394 Depth=4
	s_or_b32 exec_lo, exec_lo, s14
	v_and_b32_e32 v150, 0xff, v10
	s_mov_b32 s14, 0
	s_mov_b32 s38, exec_lo
                                        ; implicit-def: $sgpr37
	s_delay_alu instid0(VALU_DEP_1)
	v_cmpx_lt_i16_e64 0x7f, v150
	s_xor_b32 s38, exec_lo, s38
	s_cbranch_execnz .LBB2_988
; %bb.632:                              ;   in Loop: Header=BB2_394 Depth=4
	s_or_saveexec_b32 s38, s38
	v_mov_b32_e32 v149, s37
	s_xor_b32 exec_lo, exec_lo, s38
	s_cbranch_execnz .LBB2_991
.LBB2_633:                              ;   in Loop: Header=BB2_394 Depth=4
	s_or_b32 exec_lo, exec_lo, s38
	s_and_saveexec_b32 s37, s14
	s_cbranch_execz .LBB2_635
.LBB2_634:                              ;   in Loop: Header=BB2_394 Depth=4
	v_and_b32_e32 v149, 7, v10
	v_bfe_u32 v160, v10, 3, 4
	v_lshlrev_b32_e32 v161, 24, v10
	s_delay_alu instid0(VALU_DEP_3) | instskip(NEXT) | instid1(VALU_DEP_3)
	v_clz_i32_u32_e32 v150, v149
	v_cmp_eq_u32_e32 vcc_lo, 0, v160
	s_delay_alu instid0(VALU_DEP_2) | instskip(NEXT) | instid1(VALU_DEP_1)
	v_min_u32_e32 v150, 32, v150
	v_subrev_nc_u32_e32 v151, 28, v150
	v_sub_nc_u32_e32 v150, 29, v150
	s_delay_alu instid0(VALU_DEP_2) | instskip(NEXT) | instid1(VALU_DEP_1)
	v_lshlrev_b32_e32 v151, v151, v10
	v_dual_cndmask_b32 v150, v160, v150 :: v_dual_and_b32 v151, 7, v151
	s_delay_alu instid0(VALU_DEP_1) | instskip(NEXT) | instid1(VALU_DEP_2)
	v_lshl_add_u32 v150, v150, 23, 0x3b800000
	v_cndmask_b32_e32 v149, v149, v151, vcc_lo
	v_and_b32_e32 v151, 0x80000000, v161
	s_delay_alu instid0(VALU_DEP_2) | instskip(NEXT) | instid1(VALU_DEP_1)
	v_lshlrev_b32_e32 v149, 20, v149
	v_or3_b32 v149, v151, v150, v149
.LBB2_635:                              ;   in Loop: Header=BB2_394 Depth=4
	s_or_b32 exec_lo, exec_lo, s37
	s_delay_alu instid0(VALU_DEP_1) | instskip(SKIP_1) | instid1(VALU_DEP_1)
	v_dual_max_f32 v149, v149, v149 :: v_dual_max_f32 v148, v148, v148
	s_mov_b32 s14, 0
	v_max_f32_e32 v148, v148, v149
	s_branch .LBB2_637
.LBB2_636:                              ;   in Loop: Header=BB2_394 Depth=4
	s_mov_b32 s14, -1
                                        ; implicit-def: $vgpr148
.LBB2_637:                              ;   in Loop: Header=BB2_394 Depth=4
	s_delay_alu instid0(SALU_CYCLE_1)
	s_and_b32 vcc_lo, exec_lo, s14
	s_cbranch_vccz .LBB2_647
; %bb.638:                              ;   in Loop: Header=BB2_394 Depth=4
	s_mov_b32 s14, 0
	s_mov_b32 s38, exec_lo
                                        ; implicit-def: $sgpr37
	v_cmpx_lt_i16_e32 0x7f, v13
	s_xor_b32 s38, exec_lo, s38
	s_cbranch_execnz .LBB2_992
; %bb.639:                              ;   in Loop: Header=BB2_394 Depth=4
	s_or_saveexec_b32 s38, s38
	v_mov_b32_e32 v148, s37
	s_xor_b32 exec_lo, exec_lo, s38
	s_cbranch_execnz .LBB2_995
.LBB2_640:                              ;   in Loop: Header=BB2_394 Depth=4
	s_or_b32 exec_lo, exec_lo, s38
	s_and_saveexec_b32 s37, s14
	s_cbranch_execz .LBB2_642
.LBB2_641:                              ;   in Loop: Header=BB2_394 Depth=4
	v_bfe_u32 v150, v14, 3, 4
	v_lshlrev_b32_e32 v151, 24, v14
	s_delay_alu instid0(VALU_DEP_2) | instskip(SKIP_1) | instid1(VALU_DEP_1)
	v_cmp_eq_u32_e32 vcc_lo, 0, v150
	v_and_b32_e32 v13, 7, v14
	v_clz_i32_u32_e32 v148, v13
	s_delay_alu instid0(VALU_DEP_1) | instskip(NEXT) | instid1(VALU_DEP_1)
	v_min_u32_e32 v148, 32, v148
	v_subrev_nc_u32_e32 v149, 28, v148
	v_sub_nc_u32_e32 v148, 29, v148
	s_delay_alu instid0(VALU_DEP_1) | instskip(NEXT) | instid1(VALU_DEP_1)
	v_dual_cndmask_b32 v148, v150, v148 :: v_dual_lshlrev_b32 v149, v149, v14
	v_and_b32_e32 v149, 7, v149
	s_delay_alu instid0(VALU_DEP_2) | instskip(NEXT) | instid1(VALU_DEP_2)
	v_lshl_add_u32 v148, v148, 23, 0x3b800000
	v_cndmask_b32_e32 v13, v13, v149, vcc_lo
	v_and_b32_e32 v149, 0x80000000, v151
	s_delay_alu instid0(VALU_DEP_2) | instskip(NEXT) | instid1(VALU_DEP_1)
	v_lshlrev_b32_e32 v13, 20, v13
	v_or3_b32 v148, v149, v148, v13
.LBB2_642:                              ;   in Loop: Header=BB2_394 Depth=4
	s_or_b32 exec_lo, exec_lo, s37
	v_and_b32_e32 v149, 0xff, v10
	s_mov_b32 s14, 0
	s_mov_b32 s38, exec_lo
                                        ; implicit-def: $sgpr37
	s_delay_alu instid0(VALU_DEP_1)
	v_cmpx_lt_i16_e64 0x7f, v149
	s_xor_b32 s38, exec_lo, s38
	s_cbranch_execnz .LBB2_996
; %bb.643:                              ;   in Loop: Header=BB2_394 Depth=4
	s_or_saveexec_b32 s38, s38
	v_mov_b32_e32 v13, s37
	s_xor_b32 exec_lo, exec_lo, s38
	s_cbranch_execnz .LBB2_999
.LBB2_644:                              ;   in Loop: Header=BB2_394 Depth=4
	s_or_b32 exec_lo, exec_lo, s38
	s_and_saveexec_b32 s37, s14
	s_cbranch_execz .LBB2_646
.LBB2_645:                              ;   in Loop: Header=BB2_394 Depth=4
	v_and_b32_e32 v13, 7, v10
	v_bfe_u32 v151, v10, 3, 4
	v_lshlrev_b32_e32 v160, 24, v10
	s_delay_alu instid0(VALU_DEP_3) | instskip(NEXT) | instid1(VALU_DEP_3)
	v_clz_i32_u32_e32 v149, v13
	v_cmp_eq_u32_e32 vcc_lo, 0, v151
	s_delay_alu instid0(VALU_DEP_2) | instskip(NEXT) | instid1(VALU_DEP_1)
	v_min_u32_e32 v149, 32, v149
	v_subrev_nc_u32_e32 v150, 28, v149
	v_sub_nc_u32_e32 v149, 29, v149
	s_delay_alu instid0(VALU_DEP_1) | instskip(NEXT) | instid1(VALU_DEP_1)
	v_dual_cndmask_b32 v149, v151, v149 :: v_dual_lshlrev_b32 v150, v150, v10
	v_and_b32_e32 v150, 7, v150
	s_delay_alu instid0(VALU_DEP_2) | instskip(NEXT) | instid1(VALU_DEP_2)
	v_lshl_add_u32 v149, v149, 23, 0x3b800000
	v_dual_cndmask_b32 v13, v13, v150 :: v_dual_and_b32 v150, 0x80000000, v160
	s_delay_alu instid0(VALU_DEP_1) | instskip(NEXT) | instid1(VALU_DEP_1)
	v_lshlrev_b32_e32 v13, 20, v13
	v_or3_b32 v13, v150, v149, v13
.LBB2_646:                              ;   in Loop: Header=BB2_394 Depth=4
	s_or_b32 exec_lo, exec_lo, s37
	s_delay_alu instid0(VALU_DEP_1) | instskip(NEXT) | instid1(VALU_DEP_1)
	v_dual_max_f32 v13, v13, v13 :: v_dual_max_f32 v148, v148, v148
	v_min_f32_e32 v148, v148, v13
.LBB2_647:                              ;   in Loop: Header=BB2_394 Depth=4
	s_delay_alu instid0(VALU_DEP_1) | instskip(NEXT) | instid1(VALU_DEP_1)
	v_and_b32_e32 v13, 0x7f800000, v148
	v_cmp_ne_u32_e32 vcc_lo, 0x7f800000, v13
	v_mov_b32_e32 v13, 0x80
	s_and_saveexec_b32 s37, vcc_lo
	s_cbranch_execz .LBB2_655
; %bb.648:                              ;   in Loop: Header=BB2_394 Depth=4
	v_mov_b32_e32 v13, 0
	s_mov_b32 s38, exec_lo
	v_cmpx_ne_u32_e32 0, v148
	s_cbranch_execz .LBB2_654
; %bb.649:                              ;   in Loop: Header=BB2_394 Depth=4
	v_bfe_u32 v13, v148, 23, 8
	s_delay_alu instid0(VALU_DEP_1) | instskip(SKIP_1) | instid1(VALU_DEP_2)
	v_sub_nc_u32_e32 v150, 0x78, v13
	v_cmp_gt_u32_e32 vcc_lo, 0x79, v13
	v_dual_cndmask_b32 v150, 0, v150 :: v_dual_and_b32 v149, 0x7fffff, v148
	s_delay_alu instid0(VALU_DEP_1) | instskip(SKIP_2) | instid1(VALU_DEP_4)
	v_or_b32_e32 v151, 0x800000, v149
	v_cmp_eq_u32_e32 vcc_lo, 0, v13
	v_add_nc_u32_e32 v13, 0xffffff89, v13
	v_cndmask_b32_e64 v150, v150, 0x77, vcc_lo
	s_delay_alu instid0(VALU_DEP_4) | instskip(NEXT) | instid1(VALU_DEP_3)
	v_cndmask_b32_e32 v149, v151, v149, vcc_lo
	v_cndmask_b32_e64 v13, v13, 0xffffff8a, vcc_lo
	s_delay_alu instid0(VALU_DEP_3) | instskip(NEXT) | instid1(VALU_DEP_3)
	v_lshl_add_u32 v151, 0x100000, v150, -1
	v_lshrrev_b32_e32 v160, v150, v149
	v_lshlrev_b32_e64 v162, v150, 0x80000
	s_delay_alu instid0(VALU_DEP_4) | instskip(NEXT) | instid1(VALU_DEP_4)
	v_add_nc_u32_e32 v150, v150, v13
	v_and_b32_e32 v149, v151, v149
	s_delay_alu instid0(VALU_DEP_4) | instskip(NEXT) | instid1(VALU_DEP_2)
	v_bfe_u32 v161, v160, 20, 1
	v_cmp_eq_u32_e64 s14, v149, v162
	s_delay_alu instid0(VALU_DEP_2) | instskip(NEXT) | instid1(VALU_DEP_1)
	v_add_nc_u32_e32 v151, -1, v161
	v_cndmask_b32_e64 v149, 0, v151, s14
	v_lshrrev_b32_e32 v151, 23, v160
	s_mov_b32 s14, exec_lo
	s_delay_alu instid0(VALU_DEP_2) | instskip(NEXT) | instid1(VALU_DEP_2)
	v_add_nc_u32_e32 v149, v149, v160
	v_xor_b32_e32 v151, 1, v151
	s_delay_alu instid0(VALU_DEP_2) | instskip(NEXT) | instid1(VALU_DEP_1)
	v_and_b32_e32 v13, 0xfffff, v149
	v_add_nc_u32_e32 v149, v13, v160
                                        ; implicit-def: $vgpr13
	s_delay_alu instid0(VALU_DEP_3)
	v_cmpx_ne_u32_e64 v150, v151
	s_xor_b32 s14, exec_lo, s14
; %bb.650:                              ;   in Loop: Header=BB2_394 Depth=4
	s_delay_alu instid0(VALU_DEP_2) | instskip(SKIP_2) | instid1(VALU_DEP_2)
	v_cmp_lt_u32_e32 vcc_lo, 0xffffff, v149
	v_sub_nc_u32_e32 v13, v150, v151
	v_cndmask_b32_e64 v150, 0, 1, vcc_lo
	v_add_co_ci_u32_e32 v13, vcc_lo, 0, v13, vcc_lo
	s_delay_alu instid0(VALU_DEP_2)
	v_lshrrev_b32_e32 v149, v150, v149
; %bb.651:                              ;   in Loop: Header=BB2_394 Depth=4
	s_and_not1_saveexec_b32 s14, s14
; %bb.652:                              ;   in Loop: Header=BB2_394 Depth=4
	s_delay_alu instid0(VALU_DEP_1)
	v_bfe_u32 v13, v149, 23, 1
; %bb.653:                              ;   in Loop: Header=BB2_394 Depth=4
	s_or_b32 exec_lo, exec_lo, s14
	v_lshrrev_b32_e32 v149, 20, v149
	s_delay_alu instid0(VALU_DEP_2) | instskip(SKIP_2) | instid1(VALU_DEP_2)
	v_cmp_gt_i32_e32 vcc_lo, 16, v13
	v_lshrrev_b32_e32 v148, 24, v148
	v_min_i32_e32 v150, 15, v13
	v_dual_cndmask_b32 v149, 7, v149 :: v_dual_and_b32 v148, 0x80, v148
	s_delay_alu instid0(VALU_DEP_1) | instskip(SKIP_1) | instid1(VALU_DEP_2)
	v_or_b32_e32 v13, v13, v149
	v_and_b32_e32 v151, 7, v149
	v_cmp_ne_u32_e32 vcc_lo, 0, v13
	v_lshlrev_b32_e32 v150, 3, v150
	s_delay_alu instid0(VALU_DEP_1) | instskip(NEXT) | instid1(VALU_DEP_1)
	v_or3_b32 v148, v150, v148, v151
	v_cndmask_b32_e32 v13, 0, v148, vcc_lo
.LBB2_654:                              ;   in Loop: Header=BB2_394 Depth=4
	s_or_b32 exec_lo, exec_lo, s38
.LBB2_655:                              ;   in Loop: Header=BB2_394 Depth=4
	s_delay_alu instid0(SALU_CYCLE_1) | instskip(SKIP_3) | instid1(VALU_DEP_2)
	s_or_b32 exec_lo, exec_lo, s37
	v_lshrrev_b16 v149, 8, v14
	v_lshrrev_b16 v148, 8, v10
	s_and_b32 vcc_lo, exec_lo, s36
	v_cmp_lt_i16_e64 s14, 0x7f, v149
	s_cbranch_vccz .LBB2_665
; %bb.656:                              ;   in Loop: Header=BB2_394 Depth=4
	s_mov_b32 s37, 0
                                        ; implicit-def: $sgpr38
	s_delay_alu instid0(VALU_DEP_1) | instskip(NEXT) | instid1(SALU_CYCLE_1)
	s_and_saveexec_b32 vcc_lo, s14
	s_xor_b32 s14, exec_lo, vcc_lo
	s_cbranch_execnz .LBB2_1000
; %bb.657:                              ;   in Loop: Header=BB2_394 Depth=4
	s_or_saveexec_b32 s14, s14
	v_mov_b32_e32 v150, s38
	s_xor_b32 exec_lo, exec_lo, s14
	s_cbranch_execnz .LBB2_1003
.LBB2_658:                              ;   in Loop: Header=BB2_394 Depth=4
	s_or_b32 exec_lo, exec_lo, s14
	s_and_saveexec_b32 s14, s37
	s_cbranch_execz .LBB2_660
.LBB2_659:                              ;   in Loop: Header=BB2_394 Depth=4
	v_and_b32_e32 v150, 0xffff, v149
	s_delay_alu instid0(VALU_DEP_1) | instskip(NEXT) | instid1(VALU_DEP_1)
	v_and_b32_e32 v151, 7, v150
	v_clz_i32_u32_e32 v160, v151
	s_delay_alu instid0(VALU_DEP_1) | instskip(NEXT) | instid1(VALU_DEP_1)
	v_min_u32_e32 v160, 32, v160
	v_subrev_nc_u32_e32 v161, 28, v160
	v_sub_nc_u32_e32 v160, 29, v160
	s_delay_alu instid0(VALU_DEP_2) | instskip(SKIP_1) | instid1(VALU_DEP_2)
	v_lshlrev_b32_e32 v161, v161, v150
	v_bfe_u32 v150, v150, 3, 4
	v_and_b32_e32 v161, 7, v161
	s_delay_alu instid0(VALU_DEP_2) | instskip(SKIP_1) | instid1(VALU_DEP_3)
	v_cmp_eq_u32_e32 vcc_lo, 0, v150
	v_cndmask_b32_e32 v150, v150, v160, vcc_lo
	v_dual_cndmask_b32 v151, v151, v161 :: v_dual_lshlrev_b32 v162, 16, v14
	s_delay_alu instid0(VALU_DEP_2) | instskip(NEXT) | instid1(VALU_DEP_2)
	v_lshl_add_u32 v150, v150, 23, 0x3b800000
	v_and_b32_e32 v160, 0x80000000, v162
	s_delay_alu instid0(VALU_DEP_3) | instskip(NEXT) | instid1(VALU_DEP_1)
	v_lshlrev_b32_e32 v151, 20, v151
	v_or3_b32 v150, v160, v150, v151
.LBB2_660:                              ;   in Loop: Header=BB2_394 Depth=4
	s_or_b32 exec_lo, exec_lo, s14
	s_mov_b32 s14, 0
	s_mov_b32 s38, exec_lo
                                        ; implicit-def: $sgpr37
	v_cmpx_lt_i16_e64 0x7f, v148
	s_xor_b32 s38, exec_lo, s38
	s_cbranch_execnz .LBB2_1004
; %bb.661:                              ;   in Loop: Header=BB2_394 Depth=4
	s_or_saveexec_b32 s38, s38
	v_mov_b32_e32 v151, s37
	s_xor_b32 exec_lo, exec_lo, s38
	s_cbranch_execnz .LBB2_1007
.LBB2_662:                              ;   in Loop: Header=BB2_394 Depth=4
	s_or_b32 exec_lo, exec_lo, s38
	s_and_saveexec_b32 s37, s14
	s_cbranch_execz .LBB2_664
.LBB2_663:                              ;   in Loop: Header=BB2_394 Depth=4
	v_and_b32_e32 v151, 0xffff, v148
	v_lshlrev_b32_e32 v163, 16, v10
	s_delay_alu instid0(VALU_DEP_2) | instskip(NEXT) | instid1(VALU_DEP_1)
	v_and_b32_e32 v160, 7, v151
	v_clz_i32_u32_e32 v161, v160
	s_delay_alu instid0(VALU_DEP_1) | instskip(NEXT) | instid1(VALU_DEP_1)
	v_min_u32_e32 v161, 32, v161
	v_subrev_nc_u32_e32 v162, 28, v161
	v_sub_nc_u32_e32 v161, 29, v161
	s_delay_alu instid0(VALU_DEP_2) | instskip(SKIP_1) | instid1(VALU_DEP_2)
	v_lshlrev_b32_e32 v162, v162, v151
	v_bfe_u32 v151, v151, 3, 4
	v_and_b32_e32 v162, 7, v162
	s_delay_alu instid0(VALU_DEP_2) | instskip(NEXT) | instid1(VALU_DEP_2)
	v_cmp_eq_u32_e32 vcc_lo, 0, v151
	v_dual_cndmask_b32 v151, v151, v161 :: v_dual_cndmask_b32 v160, v160, v162
	v_and_b32_e32 v161, 0x80000000, v163
	s_delay_alu instid0(VALU_DEP_2) | instskip(NEXT) | instid1(VALU_DEP_3)
	v_lshl_add_u32 v151, v151, 23, 0x3b800000
	v_lshlrev_b32_e32 v160, 20, v160
	s_delay_alu instid0(VALU_DEP_1)
	v_or3_b32 v151, v161, v151, v160
.LBB2_664:                              ;   in Loop: Header=BB2_394 Depth=4
	s_or_b32 exec_lo, exec_lo, s37
	s_delay_alu instid0(VALU_DEP_1) | instskip(SKIP_1) | instid1(VALU_DEP_1)
	v_dual_max_f32 v151, v151, v151 :: v_dual_max_f32 v150, v150, v150
	s_mov_b32 s14, 0
	v_max_f32_e32 v150, v150, v151
	s_branch .LBB2_666
.LBB2_665:                              ;   in Loop: Header=BB2_394 Depth=4
	s_mov_b32 s14, -1
                                        ; implicit-def: $vgpr150
.LBB2_666:                              ;   in Loop: Header=BB2_394 Depth=4
	s_delay_alu instid0(SALU_CYCLE_1)
	s_and_b32 vcc_lo, exec_lo, s14
	s_cbranch_vccz .LBB2_676
; %bb.667:                              ;   in Loop: Header=BB2_394 Depth=4
	s_mov_b32 s14, 0
	s_mov_b32 s38, exec_lo
                                        ; implicit-def: $sgpr37
	v_cmpx_lt_i16_e64 0x7f, v149
	s_xor_b32 s38, exec_lo, s38
	s_cbranch_execnz .LBB2_1008
; %bb.668:                              ;   in Loop: Header=BB2_394 Depth=4
	s_or_saveexec_b32 s38, s38
	v_mov_b32_e32 v150, s37
	s_xor_b32 exec_lo, exec_lo, s38
	s_cbranch_execnz .LBB2_1011
.LBB2_669:                              ;   in Loop: Header=BB2_394 Depth=4
	s_or_b32 exec_lo, exec_lo, s38
	s_and_saveexec_b32 s37, s14
	s_cbranch_execz .LBB2_671
.LBB2_670:                              ;   in Loop: Header=BB2_394 Depth=4
	v_and_b32_e32 v149, 0xffff, v149
	v_lshlrev_b32_e32 v161, 16, v14
	s_delay_alu instid0(VALU_DEP_2) | instskip(NEXT) | instid1(VALU_DEP_1)
	v_and_b32_e32 v150, 7, v149
	v_clz_i32_u32_e32 v151, v150
	s_delay_alu instid0(VALU_DEP_1) | instskip(NEXT) | instid1(VALU_DEP_1)
	v_min_u32_e32 v151, 32, v151
	v_subrev_nc_u32_e32 v160, 28, v151
	v_sub_nc_u32_e32 v151, 29, v151
	s_delay_alu instid0(VALU_DEP_2) | instskip(SKIP_1) | instid1(VALU_DEP_2)
	v_lshlrev_b32_e32 v160, v160, v149
	v_bfe_u32 v149, v149, 3, 4
	v_and_b32_e32 v160, 7, v160
	s_delay_alu instid0(VALU_DEP_2) | instskip(NEXT) | instid1(VALU_DEP_2)
	v_cmp_eq_u32_e32 vcc_lo, 0, v149
	v_dual_cndmask_b32 v149, v149, v151 :: v_dual_cndmask_b32 v150, v150, v160
	v_and_b32_e32 v151, 0x80000000, v161
	s_delay_alu instid0(VALU_DEP_2) | instskip(NEXT) | instid1(VALU_DEP_3)
	v_lshl_add_u32 v149, v149, 23, 0x3b800000
	v_lshlrev_b32_e32 v150, 20, v150
	s_delay_alu instid0(VALU_DEP_1)
	v_or3_b32 v150, v151, v149, v150
.LBB2_671:                              ;   in Loop: Header=BB2_394 Depth=4
	s_or_b32 exec_lo, exec_lo, s37
	s_mov_b32 s14, 0
	s_mov_b32 s38, exec_lo
                                        ; implicit-def: $sgpr37
	v_cmpx_lt_i16_e64 0x7f, v148
	s_xor_b32 s38, exec_lo, s38
	s_cbranch_execnz .LBB2_1012
; %bb.672:                              ;   in Loop: Header=BB2_394 Depth=4
	s_or_saveexec_b32 s38, s38
	v_mov_b32_e32 v149, s37
	s_xor_b32 exec_lo, exec_lo, s38
	s_cbranch_execnz .LBB2_1015
.LBB2_673:                              ;   in Loop: Header=BB2_394 Depth=4
	s_or_b32 exec_lo, exec_lo, s38
	s_and_saveexec_b32 s37, s14
	s_cbranch_execz .LBB2_675
.LBB2_674:                              ;   in Loop: Header=BB2_394 Depth=4
	v_and_b32_e32 v148, 0xffff, v148
	v_lshlrev_b32_e32 v161, 16, v10
	s_delay_alu instid0(VALU_DEP_2) | instskip(NEXT) | instid1(VALU_DEP_1)
	v_and_b32_e32 v149, 7, v148
	v_clz_i32_u32_e32 v151, v149
	s_delay_alu instid0(VALU_DEP_1) | instskip(NEXT) | instid1(VALU_DEP_1)
	v_min_u32_e32 v151, 32, v151
	v_subrev_nc_u32_e32 v160, 28, v151
	v_sub_nc_u32_e32 v151, 29, v151
	s_delay_alu instid0(VALU_DEP_2) | instskip(SKIP_1) | instid1(VALU_DEP_2)
	v_lshlrev_b32_e32 v160, v160, v148
	v_bfe_u32 v148, v148, 3, 4
	v_and_b32_e32 v160, 7, v160
	s_delay_alu instid0(VALU_DEP_2) | instskip(NEXT) | instid1(VALU_DEP_2)
	v_cmp_eq_u32_e32 vcc_lo, 0, v148
	v_dual_cndmask_b32 v148, v148, v151 :: v_dual_cndmask_b32 v149, v149, v160
	v_and_b32_e32 v151, 0x80000000, v161
	s_delay_alu instid0(VALU_DEP_2) | instskip(NEXT) | instid1(VALU_DEP_3)
	v_lshl_add_u32 v148, v148, 23, 0x3b800000
	v_lshlrev_b32_e32 v149, 20, v149
	s_delay_alu instid0(VALU_DEP_1)
	v_or3_b32 v149, v151, v148, v149
.LBB2_675:                              ;   in Loop: Header=BB2_394 Depth=4
	s_or_b32 exec_lo, exec_lo, s37
	s_delay_alu instid0(VALU_DEP_1) | instskip(NEXT) | instid1(VALU_DEP_1)
	v_dual_max_f32 v148, v149, v149 :: v_dual_max_f32 v149, v150, v150
	v_min_f32_e32 v150, v149, v148
.LBB2_676:                              ;   in Loop: Header=BB2_394 Depth=4
	s_delay_alu instid0(VALU_DEP_1) | instskip(NEXT) | instid1(VALU_DEP_1)
	v_and_b32_e32 v148, 0x7f800000, v150
	v_cmp_ne_u32_e32 vcc_lo, 0x7f800000, v148
	v_mov_b32_e32 v148, 0x80
	s_and_saveexec_b32 s37, vcc_lo
	s_cbranch_execz .LBB2_684
; %bb.677:                              ;   in Loop: Header=BB2_394 Depth=4
	v_mov_b32_e32 v148, 0
	s_mov_b32 s38, exec_lo
	v_cmpx_ne_u32_e32 0, v150
	s_cbranch_execz .LBB2_683
; %bb.678:                              ;   in Loop: Header=BB2_394 Depth=4
	v_bfe_u32 v148, v150, 23, 8
	v_and_b32_e32 v149, 0x7fffff, v150
	s_delay_alu instid0(VALU_DEP_2) | instskip(SKIP_1) | instid1(VALU_DEP_3)
	v_sub_nc_u32_e32 v151, 0x78, v148
	v_cmp_gt_u32_e32 vcc_lo, 0x79, v148
	v_or_b32_e32 v160, 0x800000, v149
	s_delay_alu instid0(VALU_DEP_3) | instskip(SKIP_2) | instid1(VALU_DEP_3)
	v_cndmask_b32_e32 v151, 0, v151, vcc_lo
	v_cmp_eq_u32_e32 vcc_lo, 0, v148
	v_add_nc_u32_e32 v148, 0xffffff89, v148
	v_cndmask_b32_e64 v151, v151, 0x77, vcc_lo
	v_cndmask_b32_e32 v149, v160, v149, vcc_lo
	s_delay_alu instid0(VALU_DEP_3) | instskip(NEXT) | instid1(VALU_DEP_3)
	v_cndmask_b32_e64 v148, v148, 0xffffff8a, vcc_lo
	v_lshl_add_u32 v160, 0x100000, v151, -1
	s_delay_alu instid0(VALU_DEP_3) | instskip(SKIP_1) | instid1(VALU_DEP_4)
	v_lshrrev_b32_e32 v161, v151, v149
	v_lshlrev_b32_e64 v163, v151, 0x80000
	v_add_nc_u32_e32 v151, v151, v148
	s_delay_alu instid0(VALU_DEP_4) | instskip(NEXT) | instid1(VALU_DEP_4)
	v_and_b32_e32 v149, v160, v149
	v_bfe_u32 v162, v161, 20, 1
	s_delay_alu instid0(VALU_DEP_2) | instskip(NEXT) | instid1(VALU_DEP_2)
	v_cmp_eq_u32_e64 s14, v149, v163
	v_add_nc_u32_e32 v160, -1, v162
	s_delay_alu instid0(VALU_DEP_1) | instskip(SKIP_2) | instid1(VALU_DEP_2)
	v_cndmask_b32_e64 v149, 0, v160, s14
	v_lshrrev_b32_e32 v160, 23, v161
	s_mov_b32 s14, exec_lo
	v_add_nc_u32_e32 v149, v149, v161
	s_delay_alu instid0(VALU_DEP_2) | instskip(NEXT) | instid1(VALU_DEP_2)
	v_xor_b32_e32 v160, 1, v160
	v_and_b32_e32 v148, 0xfffff, v149
	s_delay_alu instid0(VALU_DEP_1) | instskip(NEXT) | instid1(VALU_DEP_3)
	v_add_nc_u32_e32 v149, v148, v161
                                        ; implicit-def: $vgpr148
	v_cmpx_ne_u32_e64 v151, v160
	s_xor_b32 s14, exec_lo, s14
; %bb.679:                              ;   in Loop: Header=BB2_394 Depth=4
	s_delay_alu instid0(VALU_DEP_2) | instskip(SKIP_2) | instid1(VALU_DEP_2)
	v_cmp_lt_u32_e32 vcc_lo, 0xffffff, v149
	v_sub_nc_u32_e32 v148, v151, v160
	v_cndmask_b32_e64 v151, 0, 1, vcc_lo
	v_add_co_ci_u32_e32 v148, vcc_lo, 0, v148, vcc_lo
	s_delay_alu instid0(VALU_DEP_2)
	v_lshrrev_b32_e32 v149, v151, v149
; %bb.680:                              ;   in Loop: Header=BB2_394 Depth=4
	s_and_not1_saveexec_b32 s14, s14
; %bb.681:                              ;   in Loop: Header=BB2_394 Depth=4
	s_delay_alu instid0(VALU_DEP_1)
	v_bfe_u32 v148, v149, 23, 1
; %bb.682:                              ;   in Loop: Header=BB2_394 Depth=4
	s_or_b32 exec_lo, exec_lo, s14
	v_lshrrev_b32_e32 v149, 20, v149
	s_delay_alu instid0(VALU_DEP_2) | instskip(SKIP_2) | instid1(VALU_DEP_2)
	v_cmp_gt_i32_e32 vcc_lo, 16, v148
	v_lshrrev_b32_e32 v150, 24, v150
	v_min_i32_e32 v151, 15, v148
	v_dual_cndmask_b32 v149, 7, v149 :: v_dual_and_b32 v150, 0x80, v150
	s_delay_alu instid0(VALU_DEP_1) | instskip(SKIP_1) | instid1(VALU_DEP_2)
	v_or_b32_e32 v148, v148, v149
	v_and_b32_e32 v160, 7, v149
	v_cmp_ne_u32_e32 vcc_lo, 0, v148
	v_lshlrev_b32_e32 v151, 3, v151
	s_delay_alu instid0(VALU_DEP_1) | instskip(NEXT) | instid1(VALU_DEP_1)
	v_or3_b32 v149, v151, v150, v160
	v_cndmask_b32_e32 v148, 0, v149, vcc_lo
.LBB2_683:                              ;   in Loop: Header=BB2_394 Depth=4
	s_or_b32 exec_lo, exec_lo, s38
.LBB2_684:                              ;   in Loop: Header=BB2_394 Depth=4
	s_delay_alu instid0(SALU_CYCLE_1) | instskip(SKIP_3) | instid1(VALU_DEP_2)
	s_or_b32 exec_lo, exec_lo, s37
	v_lshrrev_b32_e32 v150, 16, v14
	v_lshrrev_b32_e32 v149, 16, v10
	s_and_b32 vcc_lo, exec_lo, s36
	v_and_b32_e32 v151, 0xff, v150
	s_delay_alu instid0(VALU_DEP_1)
	v_cmp_lt_i16_e64 s14, 0x7f, v151
	s_cbranch_vccz .LBB2_694
; %bb.685:                              ;   in Loop: Header=BB2_394 Depth=4
	s_mov_b32 s37, 0
                                        ; implicit-def: $sgpr38
	s_delay_alu instid0(VALU_DEP_1) | instskip(NEXT) | instid1(SALU_CYCLE_1)
	s_and_saveexec_b32 vcc_lo, s14
	s_xor_b32 s14, exec_lo, vcc_lo
	s_cbranch_execnz .LBB2_1016
; %bb.686:                              ;   in Loop: Header=BB2_394 Depth=4
	s_or_saveexec_b32 s14, s14
	v_mov_b32_e32 v160, s38
	s_xor_b32 exec_lo, exec_lo, s14
	s_cbranch_execnz .LBB2_1019
.LBB2_687:                              ;   in Loop: Header=BB2_394 Depth=4
	s_or_b32 exec_lo, exec_lo, s14
	s_and_saveexec_b32 s14, s37
	s_cbranch_execz .LBB2_689
.LBB2_688:                              ;   in Loop: Header=BB2_394 Depth=4
	v_bfe_u32 v160, v14, 16, 3
	v_bfe_u32 v163, v14, 19, 4
	v_lshlrev_b32_e32 v164, 24, v150
	s_delay_alu instid0(VALU_DEP_3) | instskip(NEXT) | instid1(VALU_DEP_3)
	v_clz_i32_u32_e32 v161, v160
	v_cmp_eq_u32_e32 vcc_lo, 0, v163
	s_delay_alu instid0(VALU_DEP_2) | instskip(NEXT) | instid1(VALU_DEP_1)
	v_min_u32_e32 v161, 32, v161
	v_subrev_nc_u32_e32 v162, 28, v161
	v_sub_nc_u32_e32 v161, 29, v161
	s_delay_alu instid0(VALU_DEP_1) | instskip(NEXT) | instid1(VALU_DEP_1)
	v_dual_cndmask_b32 v161, v163, v161 :: v_dual_lshlrev_b32 v162, v162, v150
	v_and_b32_e32 v162, 7, v162
	s_delay_alu instid0(VALU_DEP_2) | instskip(NEXT) | instid1(VALU_DEP_2)
	v_lshl_add_u32 v161, v161, 23, 0x3b800000
	v_cndmask_b32_e32 v160, v160, v162, vcc_lo
	v_and_b32_e32 v162, 0x80000000, v164
	s_delay_alu instid0(VALU_DEP_2) | instskip(NEXT) | instid1(VALU_DEP_1)
	v_lshlrev_b32_e32 v160, 20, v160
	v_or3_b32 v160, v162, v161, v160
.LBB2_689:                              ;   in Loop: Header=BB2_394 Depth=4
	s_or_b32 exec_lo, exec_lo, s14
	v_and_b32_e32 v162, 0xff, v149
	s_mov_b32 s14, 0
	s_mov_b32 s38, exec_lo
                                        ; implicit-def: $sgpr37
	s_delay_alu instid0(VALU_DEP_1)
	v_cmpx_lt_i16_e64 0x7f, v162
	s_xor_b32 s38, exec_lo, s38
	s_cbranch_execnz .LBB2_1020
; %bb.690:                              ;   in Loop: Header=BB2_394 Depth=4
	s_or_saveexec_b32 s38, s38
	v_mov_b32_e32 v161, s37
	s_xor_b32 exec_lo, exec_lo, s38
	s_cbranch_execnz .LBB2_1023
.LBB2_691:                              ;   in Loop: Header=BB2_394 Depth=4
	s_or_b32 exec_lo, exec_lo, s38
	s_and_saveexec_b32 s37, s14
	s_cbranch_execz .LBB2_693
.LBB2_692:                              ;   in Loop: Header=BB2_394 Depth=4
	v_bfe_u32 v161, v10, 16, 3
	v_bfe_u32 v164, v10, 19, 4
	v_lshlrev_b32_e32 v165, 24, v149
	s_delay_alu instid0(VALU_DEP_3) | instskip(NEXT) | instid1(VALU_DEP_3)
	v_clz_i32_u32_e32 v162, v161
	v_cmp_eq_u32_e32 vcc_lo, 0, v164
	s_delay_alu instid0(VALU_DEP_2) | instskip(NEXT) | instid1(VALU_DEP_1)
	v_min_u32_e32 v162, 32, v162
	v_subrev_nc_u32_e32 v163, 28, v162
	v_sub_nc_u32_e32 v162, 29, v162
	s_delay_alu instid0(VALU_DEP_1) | instskip(NEXT) | instid1(VALU_DEP_1)
	v_dual_cndmask_b32 v162, v164, v162 :: v_dual_lshlrev_b32 v163, v163, v149
	v_and_b32_e32 v163, 7, v163
	s_delay_alu instid0(VALU_DEP_2) | instskip(NEXT) | instid1(VALU_DEP_2)
	v_lshl_add_u32 v162, v162, 23, 0x3b800000
	v_cndmask_b32_e32 v161, v161, v163, vcc_lo
	v_and_b32_e32 v163, 0x80000000, v165
	s_delay_alu instid0(VALU_DEP_2) | instskip(NEXT) | instid1(VALU_DEP_1)
	v_lshlrev_b32_e32 v161, 20, v161
	v_or3_b32 v161, v163, v162, v161
.LBB2_693:                              ;   in Loop: Header=BB2_394 Depth=4
	s_or_b32 exec_lo, exec_lo, s37
	s_delay_alu instid0(VALU_DEP_1) | instskip(SKIP_1) | instid1(VALU_DEP_1)
	v_dual_max_f32 v161, v161, v161 :: v_dual_max_f32 v160, v160, v160
	s_mov_b32 s14, 0
	v_max_f32_e32 v160, v160, v161
	s_branch .LBB2_695
.LBB2_694:                              ;   in Loop: Header=BB2_394 Depth=4
	s_mov_b32 s14, -1
                                        ; implicit-def: $vgpr160
.LBB2_695:                              ;   in Loop: Header=BB2_394 Depth=4
	s_delay_alu instid0(SALU_CYCLE_1)
	s_and_b32 vcc_lo, exec_lo, s14
	s_cbranch_vccz .LBB2_705
; %bb.696:                              ;   in Loop: Header=BB2_394 Depth=4
	s_mov_b32 s14, 0
	s_mov_b32 s38, exec_lo
                                        ; implicit-def: $sgpr37
	v_cmpx_lt_i16_e64 0x7f, v151
	s_xor_b32 s38, exec_lo, s38
	s_cbranch_execnz .LBB2_1024
; %bb.697:                              ;   in Loop: Header=BB2_394 Depth=4
	s_or_saveexec_b32 s38, s38
	v_mov_b32_e32 v160, s37
	s_xor_b32 exec_lo, exec_lo, s38
	s_cbranch_execnz .LBB2_1027
.LBB2_698:                              ;   in Loop: Header=BB2_394 Depth=4
	s_or_b32 exec_lo, exec_lo, s38
	s_and_saveexec_b32 s37, s14
	s_cbranch_execz .LBB2_700
.LBB2_699:                              ;   in Loop: Header=BB2_394 Depth=4
	v_bfe_u32 v151, v14, 16, 3
	v_bfe_u32 v162, v14, 19, 4
	s_delay_alu instid0(VALU_DEP_2) | instskip(NEXT) | instid1(VALU_DEP_2)
	v_clz_i32_u32_e32 v160, v151
	v_cmp_eq_u32_e32 vcc_lo, 0, v162
	s_delay_alu instid0(VALU_DEP_2) | instskip(NEXT) | instid1(VALU_DEP_1)
	v_min_u32_e32 v160, 32, v160
	v_subrev_nc_u32_e32 v161, 28, v160
	v_sub_nc_u32_e32 v160, 29, v160
	s_delay_alu instid0(VALU_DEP_1) | instskip(NEXT) | instid1(VALU_DEP_1)
	v_dual_cndmask_b32 v160, v162, v160 :: v_dual_lshlrev_b32 v161, v161, v150
	v_and_b32_e32 v161, 7, v161
	v_lshlrev_b32_e32 v150, 24, v150
	s_delay_alu instid0(VALU_DEP_3) | instskip(NEXT) | instid1(VALU_DEP_2)
	v_lshl_add_u32 v160, v160, 23, 0x3b800000
	v_dual_cndmask_b32 v151, v151, v161 :: v_dual_and_b32 v150, 0x80000000, v150
	s_delay_alu instid0(VALU_DEP_1) | instskip(NEXT) | instid1(VALU_DEP_1)
	v_lshlrev_b32_e32 v151, 20, v151
	v_or3_b32 v160, v150, v160, v151
.LBB2_700:                              ;   in Loop: Header=BB2_394 Depth=4
	s_or_b32 exec_lo, exec_lo, s37
	v_and_b32_e32 v151, 0xff, v149
	s_mov_b32 s14, 0
	s_mov_b32 s38, exec_lo
                                        ; implicit-def: $sgpr37
	s_delay_alu instid0(VALU_DEP_1)
	v_cmpx_lt_i16_e64 0x7f, v151
	s_xor_b32 s38, exec_lo, s38
	s_cbranch_execnz .LBB2_1028
; %bb.701:                              ;   in Loop: Header=BB2_394 Depth=4
	s_or_saveexec_b32 s38, s38
	v_mov_b32_e32 v150, s37
	s_xor_b32 exec_lo, exec_lo, s38
	s_cbranch_execnz .LBB2_1031
.LBB2_702:                              ;   in Loop: Header=BB2_394 Depth=4
	s_or_b32 exec_lo, exec_lo, s38
	s_and_saveexec_b32 s37, s14
	s_cbranch_execz .LBB2_704
.LBB2_703:                              ;   in Loop: Header=BB2_394 Depth=4
	v_bfe_u32 v150, v10, 16, 3
	v_bfe_u32 v162, v10, 19, 4
	s_delay_alu instid0(VALU_DEP_2) | instskip(NEXT) | instid1(VALU_DEP_2)
	v_clz_i32_u32_e32 v151, v150
	v_cmp_eq_u32_e32 vcc_lo, 0, v162
	s_delay_alu instid0(VALU_DEP_2) | instskip(NEXT) | instid1(VALU_DEP_1)
	v_min_u32_e32 v151, 32, v151
	v_subrev_nc_u32_e32 v161, 28, v151
	v_sub_nc_u32_e32 v151, 29, v151
	s_delay_alu instid0(VALU_DEP_2) | instskip(SKIP_1) | instid1(VALU_DEP_2)
	v_lshlrev_b32_e32 v161, v161, v149
	v_lshlrev_b32_e32 v149, 24, v149
	v_and_b32_e32 v161, 7, v161
	s_delay_alu instid0(VALU_DEP_2) | instskip(NEXT) | instid1(VALU_DEP_2)
	v_and_b32_e32 v149, 0x80000000, v149
	v_cndmask_b32_e32 v150, v150, v161, vcc_lo
	s_delay_alu instid0(VALU_DEP_1) | instskip(NEXT) | instid1(VALU_DEP_1)
	v_dual_cndmask_b32 v151, v162, v151 :: v_dual_lshlrev_b32 v150, 20, v150
	v_lshl_add_u32 v151, v151, 23, 0x3b800000
	s_delay_alu instid0(VALU_DEP_1)
	v_or3_b32 v150, v149, v151, v150
.LBB2_704:                              ;   in Loop: Header=BB2_394 Depth=4
	s_or_b32 exec_lo, exec_lo, s37
	s_delay_alu instid0(VALU_DEP_1) | instskip(NEXT) | instid1(VALU_DEP_1)
	v_dual_max_f32 v149, v150, v150 :: v_dual_max_f32 v150, v160, v160
	v_min_f32_e32 v160, v150, v149
.LBB2_705:                              ;   in Loop: Header=BB2_394 Depth=4
	s_delay_alu instid0(VALU_DEP_1) | instskip(NEXT) | instid1(VALU_DEP_1)
	v_and_b32_e32 v149, 0x7f800000, v160
	v_cmp_ne_u32_e32 vcc_lo, 0x7f800000, v149
	v_mov_b32_e32 v149, 0x80
	s_and_saveexec_b32 s37, vcc_lo
	s_cbranch_execz .LBB2_713
; %bb.706:                              ;   in Loop: Header=BB2_394 Depth=4
	v_mov_b32_e32 v149, 0
	s_mov_b32 s38, exec_lo
	v_cmpx_ne_u32_e32 0, v160
	s_cbranch_execz .LBB2_712
; %bb.707:                              ;   in Loop: Header=BB2_394 Depth=4
	v_bfe_u32 v149, v160, 23, 8
	s_delay_alu instid0(VALU_DEP_1) | instskip(SKIP_1) | instid1(VALU_DEP_2)
	v_sub_nc_u32_e32 v151, 0x78, v149
	v_cmp_gt_u32_e32 vcc_lo, 0x79, v149
	v_dual_cndmask_b32 v151, 0, v151 :: v_dual_and_b32 v150, 0x7fffff, v160
	s_delay_alu instid0(VALU_DEP_1) | instskip(SKIP_2) | instid1(VALU_DEP_4)
	v_or_b32_e32 v161, 0x800000, v150
	v_cmp_eq_u32_e32 vcc_lo, 0, v149
	v_add_nc_u32_e32 v149, 0xffffff89, v149
	v_cndmask_b32_e64 v151, v151, 0x77, vcc_lo
	s_delay_alu instid0(VALU_DEP_4) | instskip(NEXT) | instid1(VALU_DEP_3)
	v_cndmask_b32_e32 v150, v161, v150, vcc_lo
	v_cndmask_b32_e64 v149, v149, 0xffffff8a, vcc_lo
	s_delay_alu instid0(VALU_DEP_3) | instskip(NEXT) | instid1(VALU_DEP_3)
	v_lshl_add_u32 v161, 0x100000, v151, -1
	v_lshrrev_b32_e32 v162, v151, v150
	v_lshlrev_b32_e64 v164, v151, 0x80000
	s_delay_alu instid0(VALU_DEP_4) | instskip(NEXT) | instid1(VALU_DEP_4)
	v_add_nc_u32_e32 v151, v151, v149
	v_and_b32_e32 v150, v161, v150
	s_delay_alu instid0(VALU_DEP_4) | instskip(NEXT) | instid1(VALU_DEP_2)
	v_bfe_u32 v163, v162, 20, 1
	v_cmp_eq_u32_e64 s14, v150, v164
	s_delay_alu instid0(VALU_DEP_2) | instskip(NEXT) | instid1(VALU_DEP_1)
	v_add_nc_u32_e32 v161, -1, v163
	v_cndmask_b32_e64 v150, 0, v161, s14
	v_lshrrev_b32_e32 v161, 23, v162
	s_mov_b32 s14, exec_lo
	s_delay_alu instid0(VALU_DEP_2) | instskip(NEXT) | instid1(VALU_DEP_2)
	v_add_nc_u32_e32 v150, v150, v162
	v_xor_b32_e32 v161, 1, v161
	s_delay_alu instid0(VALU_DEP_2) | instskip(NEXT) | instid1(VALU_DEP_1)
	v_and_b32_e32 v149, 0xfffff, v150
	v_add_nc_u32_e32 v150, v149, v162
                                        ; implicit-def: $vgpr149
	s_delay_alu instid0(VALU_DEP_3)
	v_cmpx_ne_u32_e64 v151, v161
	s_xor_b32 s14, exec_lo, s14
; %bb.708:                              ;   in Loop: Header=BB2_394 Depth=4
	s_delay_alu instid0(VALU_DEP_2) | instskip(SKIP_2) | instid1(VALU_DEP_2)
	v_cmp_lt_u32_e32 vcc_lo, 0xffffff, v150
	v_sub_nc_u32_e32 v149, v151, v161
	v_cndmask_b32_e64 v151, 0, 1, vcc_lo
	v_add_co_ci_u32_e32 v149, vcc_lo, 0, v149, vcc_lo
	s_delay_alu instid0(VALU_DEP_2)
	v_lshrrev_b32_e32 v150, v151, v150
; %bb.709:                              ;   in Loop: Header=BB2_394 Depth=4
	s_and_not1_saveexec_b32 s14, s14
; %bb.710:                              ;   in Loop: Header=BB2_394 Depth=4
	s_delay_alu instid0(VALU_DEP_1)
	v_bfe_u32 v149, v150, 23, 1
; %bb.711:                              ;   in Loop: Header=BB2_394 Depth=4
	s_or_b32 exec_lo, exec_lo, s14
	v_lshrrev_b32_e32 v150, 20, v150
	s_delay_alu instid0(VALU_DEP_2) | instskip(SKIP_2) | instid1(VALU_DEP_2)
	v_cmp_gt_i32_e32 vcc_lo, 16, v149
	v_lshrrev_b32_e32 v151, 24, v160
	v_min_i32_e32 v160, 15, v149
	v_dual_cndmask_b32 v150, 7, v150 :: v_dual_and_b32 v151, 0x80, v151
	s_delay_alu instid0(VALU_DEP_1) | instskip(SKIP_1) | instid1(VALU_DEP_2)
	v_or_b32_e32 v149, v149, v150
	v_and_b32_e32 v161, 7, v150
	v_cmp_ne_u32_e32 vcc_lo, 0, v149
	v_lshlrev_b32_e32 v160, 3, v160
	s_delay_alu instid0(VALU_DEP_1) | instskip(NEXT) | instid1(VALU_DEP_1)
	v_or3_b32 v150, v160, v151, v161
	v_cndmask_b32_e32 v149, 0, v150, vcc_lo
.LBB2_712:                              ;   in Loop: Header=BB2_394 Depth=4
	s_or_b32 exec_lo, exec_lo, s38
.LBB2_713:                              ;   in Loop: Header=BB2_394 Depth=4
	s_delay_alu instid0(SALU_CYCLE_1) | instskip(SKIP_3) | instid1(VALU_DEP_2)
	s_or_b32 exec_lo, exec_lo, s37
	v_lshrrev_b32_e32 v151, 24, v14
	v_lshrrev_b32_e32 v150, 24, v10
	s_and_b32 vcc_lo, exec_lo, s36
	v_cmp_lt_i16_e64 s14, 0x7f, v151
	s_cbranch_vccz .LBB2_723
; %bb.714:                              ;   in Loop: Header=BB2_394 Depth=4
	s_mov_b32 s37, 0
                                        ; implicit-def: $sgpr38
	s_delay_alu instid0(VALU_DEP_1) | instskip(NEXT) | instid1(SALU_CYCLE_1)
	s_and_saveexec_b32 vcc_lo, s14
	s_xor_b32 s14, exec_lo, vcc_lo
	s_cbranch_execnz .LBB2_1032
; %bb.715:                              ;   in Loop: Header=BB2_394 Depth=4
	s_or_saveexec_b32 s14, s14
	v_mov_b32_e32 v160, s38
	s_xor_b32 exec_lo, exec_lo, s14
	s_cbranch_execnz .LBB2_1035
.LBB2_716:                              ;   in Loop: Header=BB2_394 Depth=4
	s_or_b32 exec_lo, exec_lo, s14
	s_and_saveexec_b32 s14, s37
	s_cbranch_execz .LBB2_718
.LBB2_717:                              ;   in Loop: Header=BB2_394 Depth=4
	v_bfe_u32 v160, v14, 24, 3
	v_bfe_u32 v163, v14, 27, 4
	s_delay_alu instid0(VALU_DEP_2) | instskip(NEXT) | instid1(VALU_DEP_2)
	v_clz_i32_u32_e32 v161, v160
	v_cmp_eq_u32_e32 vcc_lo, 0, v163
	s_delay_alu instid0(VALU_DEP_2) | instskip(NEXT) | instid1(VALU_DEP_1)
	v_min_u32_e32 v161, 32, v161
	v_subrev_nc_u32_e32 v162, 28, v161
	v_sub_nc_u32_e32 v161, 29, v161
	s_delay_alu instid0(VALU_DEP_1) | instskip(NEXT) | instid1(VALU_DEP_1)
	v_dual_cndmask_b32 v161, v163, v161 :: v_dual_lshlrev_b32 v162, v162, v151
	v_and_b32_e32 v162, 7, v162
	s_delay_alu instid0(VALU_DEP_2) | instskip(NEXT) | instid1(VALU_DEP_2)
	v_lshl_add_u32 v161, v161, 23, 0x3b800000
	v_cndmask_b32_e32 v160, v160, v162, vcc_lo
	v_and_b32_e32 v162, 0x80000000, v14
	s_delay_alu instid0(VALU_DEP_2) | instskip(NEXT) | instid1(VALU_DEP_1)
	v_lshlrev_b32_e32 v160, 20, v160
	v_or3_b32 v160, v162, v161, v160
.LBB2_718:                              ;   in Loop: Header=BB2_394 Depth=4
	s_or_b32 exec_lo, exec_lo, s14
	s_mov_b32 s14, 0
	s_mov_b32 s38, exec_lo
                                        ; implicit-def: $sgpr37
	v_cmpx_lt_i16_e64 0x7f, v150
	s_xor_b32 s38, exec_lo, s38
	s_cbranch_execnz .LBB2_1036
; %bb.719:                              ;   in Loop: Header=BB2_394 Depth=4
	s_or_saveexec_b32 s38, s38
	v_mov_b32_e32 v161, s37
	s_xor_b32 exec_lo, exec_lo, s38
	s_cbranch_execnz .LBB2_1039
.LBB2_720:                              ;   in Loop: Header=BB2_394 Depth=4
	s_or_b32 exec_lo, exec_lo, s38
	s_and_saveexec_b32 s37, s14
	s_cbranch_execz .LBB2_722
.LBB2_721:                              ;   in Loop: Header=BB2_394 Depth=4
	v_bfe_u32 v161, v10, 24, 3
	v_bfe_u32 v164, v10, 27, 4
	s_delay_alu instid0(VALU_DEP_2) | instskip(NEXT) | instid1(VALU_DEP_2)
	v_clz_i32_u32_e32 v162, v161
	v_cmp_eq_u32_e32 vcc_lo, 0, v164
	s_delay_alu instid0(VALU_DEP_2) | instskip(NEXT) | instid1(VALU_DEP_1)
	v_min_u32_e32 v162, 32, v162
	v_subrev_nc_u32_e32 v163, 28, v162
	v_sub_nc_u32_e32 v162, 29, v162
	s_delay_alu instid0(VALU_DEP_2) | instskip(NEXT) | instid1(VALU_DEP_1)
	v_lshlrev_b32_e32 v163, v163, v150
	v_dual_cndmask_b32 v162, v164, v162 :: v_dual_and_b32 v163, 7, v163
	s_delay_alu instid0(VALU_DEP_1) | instskip(NEXT) | instid1(VALU_DEP_2)
	v_lshl_add_u32 v162, v162, 23, 0x3b800000
	v_cndmask_b32_e32 v161, v161, v163, vcc_lo
	v_and_b32_e32 v163, 0x80000000, v10
	s_delay_alu instid0(VALU_DEP_2) | instskip(NEXT) | instid1(VALU_DEP_1)
	v_lshlrev_b32_e32 v161, 20, v161
	v_or3_b32 v161, v163, v162, v161
.LBB2_722:                              ;   in Loop: Header=BB2_394 Depth=4
	s_or_b32 exec_lo, exec_lo, s37
	s_delay_alu instid0(VALU_DEP_1) | instskip(SKIP_1) | instid1(VALU_DEP_1)
	v_dual_max_f32 v161, v161, v161 :: v_dual_max_f32 v160, v160, v160
	s_mov_b32 s14, 0
	v_max_f32_e32 v160, v160, v161
	s_branch .LBB2_724
.LBB2_723:                              ;   in Loop: Header=BB2_394 Depth=4
	s_mov_b32 s14, -1
                                        ; implicit-def: $vgpr160
.LBB2_724:                              ;   in Loop: Header=BB2_394 Depth=4
	s_delay_alu instid0(SALU_CYCLE_1)
	s_and_b32 vcc_lo, exec_lo, s14
	s_cbranch_vccz .LBB2_734
; %bb.725:                              ;   in Loop: Header=BB2_394 Depth=4
	s_mov_b32 s14, 0
	s_mov_b32 s38, exec_lo
                                        ; implicit-def: $sgpr37
	v_cmpx_lt_i16_e64 0x7f, v151
	s_xor_b32 s38, exec_lo, s38
	s_cbranch_execnz .LBB2_1040
; %bb.726:                              ;   in Loop: Header=BB2_394 Depth=4
	s_or_saveexec_b32 s38, s38
	v_mov_b32_e32 v160, s37
	s_xor_b32 exec_lo, exec_lo, s38
	s_cbranch_execnz .LBB2_1043
.LBB2_727:                              ;   in Loop: Header=BB2_394 Depth=4
	s_or_b32 exec_lo, exec_lo, s38
	s_and_saveexec_b32 s37, s14
	s_cbranch_execz .LBB2_729
.LBB2_728:                              ;   in Loop: Header=BB2_394 Depth=4
	v_bfe_u32 v160, v14, 24, 3
	s_delay_alu instid0(VALU_DEP_1) | instskip(NEXT) | instid1(VALU_DEP_1)
	v_clz_i32_u32_e32 v161, v160
	v_min_u32_e32 v161, 32, v161
	s_delay_alu instid0(VALU_DEP_1) | instskip(SKIP_1) | instid1(VALU_DEP_2)
	v_subrev_nc_u32_e32 v162, 28, v161
	v_sub_nc_u32_e32 v161, 29, v161
	v_lshlrev_b32_e32 v151, v162, v151
	v_bfe_u32 v162, v14, 27, 4
	v_and_b32_e32 v14, 0x80000000, v14
	s_delay_alu instid0(VALU_DEP_3) | instskip(NEXT) | instid1(VALU_DEP_3)
	v_and_b32_e32 v151, 7, v151
	v_cmp_eq_u32_e32 vcc_lo, 0, v162
	v_cndmask_b32_e32 v161, v162, v161, vcc_lo
	s_delay_alu instid0(VALU_DEP_3) | instskip(NEXT) | instid1(VALU_DEP_2)
	v_cndmask_b32_e32 v151, v160, v151, vcc_lo
	v_lshl_add_u32 v160, v161, 23, 0x3b800000
	s_delay_alu instid0(VALU_DEP_2) | instskip(NEXT) | instid1(VALU_DEP_1)
	v_lshlrev_b32_e32 v151, 20, v151
	v_or3_b32 v160, v14, v160, v151
.LBB2_729:                              ;   in Loop: Header=BB2_394 Depth=4
	s_or_b32 exec_lo, exec_lo, s37
	s_mov_b32 s14, 0
	s_mov_b32 s38, exec_lo
                                        ; implicit-def: $sgpr37
	v_cmpx_lt_i16_e64 0x7f, v150
	s_xor_b32 s38, exec_lo, s38
	s_cbranch_execnz .LBB2_1044
; %bb.730:                              ;   in Loop: Header=BB2_394 Depth=4
	s_or_saveexec_b32 s38, s38
	v_mov_b32_e32 v14, s37
	s_xor_b32 exec_lo, exec_lo, s38
	s_cbranch_execnz .LBB2_1047
.LBB2_731:                              ;   in Loop: Header=BB2_394 Depth=4
	s_or_b32 exec_lo, exec_lo, s38
	s_and_saveexec_b32 s37, s14
	s_cbranch_execz .LBB2_733
.LBB2_732:                              ;   in Loop: Header=BB2_394 Depth=4
	v_bfe_u32 v14, v10, 24, 3
	s_delay_alu instid0(VALU_DEP_1) | instskip(NEXT) | instid1(VALU_DEP_1)
	v_clz_i32_u32_e32 v151, v14
	v_min_u32_e32 v151, 32, v151
	s_delay_alu instid0(VALU_DEP_1) | instskip(SKIP_1) | instid1(VALU_DEP_2)
	v_subrev_nc_u32_e32 v161, 28, v151
	v_sub_nc_u32_e32 v151, 29, v151
	v_lshlrev_b32_e32 v150, v161, v150
	v_bfe_u32 v161, v10, 27, 4
	v_and_b32_e32 v10, 0x80000000, v10
	s_delay_alu instid0(VALU_DEP_2) | instskip(NEXT) | instid1(VALU_DEP_4)
	v_cmp_eq_u32_e32 vcc_lo, 0, v161
	v_dual_cndmask_b32 v151, v161, v151 :: v_dual_and_b32 v150, 7, v150
	s_delay_alu instid0(VALU_DEP_1) | instskip(NEXT) | instid1(VALU_DEP_2)
	v_cndmask_b32_e32 v14, v14, v150, vcc_lo
	v_lshl_add_u32 v150, v151, 23, 0x3b800000
	s_delay_alu instid0(VALU_DEP_2) | instskip(NEXT) | instid1(VALU_DEP_1)
	v_lshlrev_b32_e32 v14, 20, v14
	v_or3_b32 v14, v10, v150, v14
.LBB2_733:                              ;   in Loop: Header=BB2_394 Depth=4
	s_or_b32 exec_lo, exec_lo, s37
	s_delay_alu instid0(VALU_DEP_1) | instskip(SKIP_1) | instid1(VALU_DEP_1)
	v_max_f32_e32 v10, v14, v14
	v_max_f32_e32 v14, v160, v160
	v_min_f32_e32 v160, v14, v10
.LBB2_734:                              ;   in Loop: Header=BB2_394 Depth=4
	s_delay_alu instid0(VALU_DEP_1) | instskip(NEXT) | instid1(VALU_DEP_1)
	v_and_b32_e32 v10, 0x7f800000, v160
	v_cmp_ne_u32_e32 vcc_lo, 0x7f800000, v10
	v_mov_b32_e32 v10, 0x80
	s_and_saveexec_b32 s37, vcc_lo
	s_cbranch_execz .LBB2_742
; %bb.735:                              ;   in Loop: Header=BB2_394 Depth=4
	v_mov_b32_e32 v10, 0
	s_mov_b32 s38, exec_lo
	v_cmpx_ne_u32_e32 0, v160
	s_cbranch_execz .LBB2_741
; %bb.736:                              ;   in Loop: Header=BB2_394 Depth=4
	v_bfe_u32 v10, v160, 23, 8
	v_and_b32_e32 v14, 0x7fffff, v160
	s_delay_alu instid0(VALU_DEP_2) | instskip(SKIP_1) | instid1(VALU_DEP_3)
	v_sub_nc_u32_e32 v150, 0x78, v10
	v_cmp_gt_u32_e32 vcc_lo, 0x79, v10
	v_or_b32_e32 v151, 0x800000, v14
	s_delay_alu instid0(VALU_DEP_3) | instskip(SKIP_2) | instid1(VALU_DEP_3)
	v_cndmask_b32_e32 v150, 0, v150, vcc_lo
	v_cmp_eq_u32_e32 vcc_lo, 0, v10
	v_add_nc_u32_e32 v10, 0xffffff89, v10
	v_cndmask_b32_e64 v150, v150, 0x77, vcc_lo
	v_cndmask_b32_e32 v14, v151, v14, vcc_lo
	s_delay_alu instid0(VALU_DEP_3) | instskip(NEXT) | instid1(VALU_DEP_3)
	v_cndmask_b32_e64 v10, v10, 0xffffff8a, vcc_lo
	v_lshl_add_u32 v151, 0x100000, v150, -1
	s_delay_alu instid0(VALU_DEP_3) | instskip(SKIP_1) | instid1(VALU_DEP_4)
	v_lshrrev_b32_e32 v161, v150, v14
	v_lshlrev_b32_e64 v163, v150, 0x80000
	v_add_nc_u32_e32 v150, v150, v10
	s_delay_alu instid0(VALU_DEP_4) | instskip(NEXT) | instid1(VALU_DEP_4)
	v_and_b32_e32 v14, v151, v14
	v_bfe_u32 v162, v161, 20, 1
	s_delay_alu instid0(VALU_DEP_2) | instskip(NEXT) | instid1(VALU_DEP_2)
	v_cmp_eq_u32_e64 s14, v14, v163
	v_add_nc_u32_e32 v151, -1, v162
	s_delay_alu instid0(VALU_DEP_1) | instskip(SKIP_2) | instid1(VALU_DEP_2)
	v_cndmask_b32_e64 v14, 0, v151, s14
	v_lshrrev_b32_e32 v151, 23, v161
	s_mov_b32 s14, exec_lo
	v_add_nc_u32_e32 v14, v14, v161
	s_delay_alu instid0(VALU_DEP_2) | instskip(NEXT) | instid1(VALU_DEP_2)
	v_xor_b32_e32 v151, 1, v151
	v_and_b32_e32 v10, 0xfffff, v14
	s_delay_alu instid0(VALU_DEP_1) | instskip(NEXT) | instid1(VALU_DEP_3)
	v_add_nc_u32_e32 v14, v10, v161
                                        ; implicit-def: $vgpr10
	v_cmpx_ne_u32_e64 v150, v151
	s_xor_b32 s14, exec_lo, s14
; %bb.737:                              ;   in Loop: Header=BB2_394 Depth=4
	s_delay_alu instid0(VALU_DEP_2) | instskip(SKIP_2) | instid1(VALU_DEP_2)
	v_cmp_lt_u32_e32 vcc_lo, 0xffffff, v14
	v_sub_nc_u32_e32 v10, v150, v151
	v_cndmask_b32_e64 v150, 0, 1, vcc_lo
	v_add_co_ci_u32_e32 v10, vcc_lo, 0, v10, vcc_lo
	s_delay_alu instid0(VALU_DEP_2)
	v_lshrrev_b32_e32 v14, v150, v14
; %bb.738:                              ;   in Loop: Header=BB2_394 Depth=4
	s_and_not1_saveexec_b32 s14, s14
; %bb.739:                              ;   in Loop: Header=BB2_394 Depth=4
	s_delay_alu instid0(VALU_DEP_1)
	v_bfe_u32 v10, v14, 23, 1
; %bb.740:                              ;   in Loop: Header=BB2_394 Depth=4
	s_or_b32 exec_lo, exec_lo, s14
	v_lshrrev_b32_e32 v14, 20, v14
	s_delay_alu instid0(VALU_DEP_2) | instskip(SKIP_2) | instid1(VALU_DEP_4)
	v_cmp_gt_i32_e32 vcc_lo, 16, v10
	v_lshrrev_b32_e32 v150, 24, v160
	v_min_i32_e32 v151, 15, v10
	v_cndmask_b32_e32 v14, 7, v14, vcc_lo
	s_delay_alu instid0(VALU_DEP_3) | instskip(NEXT) | instid1(VALU_DEP_3)
	v_and_b32_e32 v150, 0x80, v150
	v_lshlrev_b32_e32 v151, 3, v151
	s_delay_alu instid0(VALU_DEP_3) | instskip(SKIP_1) | instid1(VALU_DEP_2)
	v_and_b32_e32 v160, 7, v14
	v_or_b32_e32 v10, v10, v14
	v_or3_b32 v14, v151, v150, v160
	s_delay_alu instid0(VALU_DEP_2) | instskip(NEXT) | instid1(VALU_DEP_2)
	v_cmp_ne_u32_e32 vcc_lo, 0, v10
	v_cndmask_b32_e32 v10, 0, v14, vcc_lo
.LBB2_741:                              ;   in Loop: Header=BB2_394 Depth=4
	s_or_b32 exec_lo, exec_lo, s38
.LBB2_742:                              ;   in Loop: Header=BB2_394 Depth=4
	s_delay_alu instid0(SALU_CYCLE_1) | instskip(SKIP_2) | instid1(VALU_DEP_1)
	s_or_b32 exec_lo, exec_lo, s37
	v_and_b32_e32 v14, 0xff, v15
	s_and_b32 vcc_lo, exec_lo, s36
	v_cmp_lt_i16_e64 s14, 0x7f, v14
	s_cbranch_vccz .LBB2_752
; %bb.743:                              ;   in Loop: Header=BB2_394 Depth=4
	s_mov_b32 s37, 0
                                        ; implicit-def: $sgpr38
	s_delay_alu instid0(VALU_DEP_1) | instskip(NEXT) | instid1(SALU_CYCLE_1)
	s_and_saveexec_b32 vcc_lo, s14
	s_xor_b32 s14, exec_lo, vcc_lo
	s_cbranch_execnz .LBB2_1048
; %bb.744:                              ;   in Loop: Header=BB2_394 Depth=4
	s_or_saveexec_b32 s14, s14
	v_mov_b32_e32 v150, s38
	s_xor_b32 exec_lo, exec_lo, s14
	s_cbranch_execnz .LBB2_1051
.LBB2_745:                              ;   in Loop: Header=BB2_394 Depth=4
	s_or_b32 exec_lo, exec_lo, s14
	s_and_saveexec_b32 s14, s37
	s_cbranch_execz .LBB2_747
.LBB2_746:                              ;   in Loop: Header=BB2_394 Depth=4
	v_and_b32_e32 v150, 7, v15
	v_bfe_u32 v161, v15, 3, 4
	v_lshlrev_b32_e32 v162, 24, v15
	s_delay_alu instid0(VALU_DEP_3) | instskip(NEXT) | instid1(VALU_DEP_3)
	v_clz_i32_u32_e32 v151, v150
	v_cmp_eq_u32_e32 vcc_lo, 0, v161
	s_delay_alu instid0(VALU_DEP_2) | instskip(NEXT) | instid1(VALU_DEP_1)
	v_min_u32_e32 v151, 32, v151
	v_subrev_nc_u32_e32 v160, 28, v151
	v_sub_nc_u32_e32 v151, 29, v151
	s_delay_alu instid0(VALU_DEP_2) | instskip(NEXT) | instid1(VALU_DEP_1)
	v_lshlrev_b32_e32 v160, v160, v15
	v_dual_cndmask_b32 v151, v161, v151 :: v_dual_and_b32 v160, 7, v160
	s_delay_alu instid0(VALU_DEP_1) | instskip(NEXT) | instid1(VALU_DEP_2)
	v_lshl_add_u32 v151, v151, 23, 0x3b800000
	v_cndmask_b32_e32 v150, v150, v160, vcc_lo
	v_and_b32_e32 v160, 0x80000000, v162
	s_delay_alu instid0(VALU_DEP_2) | instskip(NEXT) | instid1(VALU_DEP_1)
	v_lshlrev_b32_e32 v150, 20, v150
	v_or3_b32 v150, v160, v151, v150
.LBB2_747:                              ;   in Loop: Header=BB2_394 Depth=4
	s_or_b32 exec_lo, exec_lo, s14
	v_and_b32_e32 v160, 0xff, v11
	s_mov_b32 s14, 0
	s_mov_b32 s38, exec_lo
                                        ; implicit-def: $sgpr37
	s_delay_alu instid0(VALU_DEP_1)
	v_cmpx_lt_i16_e64 0x7f, v160
	s_xor_b32 s38, exec_lo, s38
	s_cbranch_execnz .LBB2_1052
; %bb.748:                              ;   in Loop: Header=BB2_394 Depth=4
	s_or_saveexec_b32 s38, s38
	v_mov_b32_e32 v151, s37
	s_xor_b32 exec_lo, exec_lo, s38
	s_cbranch_execnz .LBB2_1055
.LBB2_749:                              ;   in Loop: Header=BB2_394 Depth=4
	s_or_b32 exec_lo, exec_lo, s38
	s_and_saveexec_b32 s37, s14
	s_cbranch_execz .LBB2_751
.LBB2_750:                              ;   in Loop: Header=BB2_394 Depth=4
	v_bfe_u32 v162, v11, 3, 4
	v_lshlrev_b32_e32 v163, 24, v11
	s_delay_alu instid0(VALU_DEP_2) | instskip(SKIP_1) | instid1(VALU_DEP_1)
	v_cmp_eq_u32_e32 vcc_lo, 0, v162
	v_and_b32_e32 v151, 7, v11
	v_clz_i32_u32_e32 v160, v151
	s_delay_alu instid0(VALU_DEP_1) | instskip(NEXT) | instid1(VALU_DEP_1)
	v_min_u32_e32 v160, 32, v160
	v_subrev_nc_u32_e32 v161, 28, v160
	v_sub_nc_u32_e32 v160, 29, v160
	s_delay_alu instid0(VALU_DEP_1) | instskip(NEXT) | instid1(VALU_DEP_1)
	v_dual_cndmask_b32 v160, v162, v160 :: v_dual_lshlrev_b32 v161, v161, v11
	v_and_b32_e32 v161, 7, v161
	s_delay_alu instid0(VALU_DEP_2) | instskip(NEXT) | instid1(VALU_DEP_2)
	v_lshl_add_u32 v160, v160, 23, 0x3b800000
	v_cndmask_b32_e32 v151, v151, v161, vcc_lo
	v_and_b32_e32 v161, 0x80000000, v163
	s_delay_alu instid0(VALU_DEP_2) | instskip(NEXT) | instid1(VALU_DEP_1)
	v_lshlrev_b32_e32 v151, 20, v151
	v_or3_b32 v151, v161, v160, v151
.LBB2_751:                              ;   in Loop: Header=BB2_394 Depth=4
	s_or_b32 exec_lo, exec_lo, s37
	s_delay_alu instid0(VALU_DEP_1) | instskip(SKIP_1) | instid1(VALU_DEP_1)
	v_dual_max_f32 v151, v151, v151 :: v_dual_max_f32 v150, v150, v150
	s_mov_b32 s14, 0
	v_max_f32_e32 v150, v150, v151
	s_branch .LBB2_753
.LBB2_752:                              ;   in Loop: Header=BB2_394 Depth=4
	s_mov_b32 s14, -1
                                        ; implicit-def: $vgpr150
.LBB2_753:                              ;   in Loop: Header=BB2_394 Depth=4
	s_delay_alu instid0(SALU_CYCLE_1)
	s_and_b32 vcc_lo, exec_lo, s14
	s_cbranch_vccz .LBB2_763
; %bb.754:                              ;   in Loop: Header=BB2_394 Depth=4
	s_mov_b32 s14, 0
	s_mov_b32 s38, exec_lo
                                        ; implicit-def: $sgpr37
	v_cmpx_lt_i16_e32 0x7f, v14
	s_xor_b32 s38, exec_lo, s38
	s_cbranch_execnz .LBB2_1056
; %bb.755:                              ;   in Loop: Header=BB2_394 Depth=4
	s_or_saveexec_b32 s38, s38
	v_mov_b32_e32 v150, s37
	s_xor_b32 exec_lo, exec_lo, s38
	s_cbranch_execnz .LBB2_1059
.LBB2_756:                              ;   in Loop: Header=BB2_394 Depth=4
	s_or_b32 exec_lo, exec_lo, s38
	s_and_saveexec_b32 s37, s14
	s_cbranch_execz .LBB2_758
.LBB2_757:                              ;   in Loop: Header=BB2_394 Depth=4
	v_and_b32_e32 v14, 7, v15
	v_bfe_u32 v160, v15, 3, 4
	v_lshlrev_b32_e32 v161, 24, v15
	s_delay_alu instid0(VALU_DEP_3) | instskip(NEXT) | instid1(VALU_DEP_3)
	v_clz_i32_u32_e32 v150, v14
	v_cmp_eq_u32_e32 vcc_lo, 0, v160
	s_delay_alu instid0(VALU_DEP_2) | instskip(NEXT) | instid1(VALU_DEP_1)
	v_min_u32_e32 v150, 32, v150
	v_subrev_nc_u32_e32 v151, 28, v150
	v_sub_nc_u32_e32 v150, 29, v150
	s_delay_alu instid0(VALU_DEP_1) | instskip(NEXT) | instid1(VALU_DEP_1)
	v_dual_cndmask_b32 v150, v160, v150 :: v_dual_lshlrev_b32 v151, v151, v15
	v_and_b32_e32 v151, 7, v151
	s_delay_alu instid0(VALU_DEP_2) | instskip(NEXT) | instid1(VALU_DEP_2)
	v_lshl_add_u32 v150, v150, 23, 0x3b800000
	v_dual_cndmask_b32 v14, v14, v151 :: v_dual_and_b32 v151, 0x80000000, v161
	s_delay_alu instid0(VALU_DEP_1) | instskip(NEXT) | instid1(VALU_DEP_1)
	v_lshlrev_b32_e32 v14, 20, v14
	v_or3_b32 v150, v151, v150, v14
.LBB2_758:                              ;   in Loop: Header=BB2_394 Depth=4
	s_or_b32 exec_lo, exec_lo, s37
	v_and_b32_e32 v151, 0xff, v11
	s_mov_b32 s14, 0
	s_mov_b32 s38, exec_lo
                                        ; implicit-def: $sgpr37
	s_delay_alu instid0(VALU_DEP_1)
	v_cmpx_lt_i16_e64 0x7f, v151
	s_xor_b32 s38, exec_lo, s38
	s_cbranch_execnz .LBB2_1060
; %bb.759:                              ;   in Loop: Header=BB2_394 Depth=4
	s_or_saveexec_b32 s38, s38
	v_mov_b32_e32 v14, s37
	s_xor_b32 exec_lo, exec_lo, s38
	s_cbranch_execnz .LBB2_1063
.LBB2_760:                              ;   in Loop: Header=BB2_394 Depth=4
	s_or_b32 exec_lo, exec_lo, s38
	s_and_saveexec_b32 s37, s14
	s_cbranch_execz .LBB2_762
.LBB2_761:                              ;   in Loop: Header=BB2_394 Depth=4
	v_and_b32_e32 v14, 7, v11
	v_bfe_u32 v161, v11, 3, 4
	v_lshlrev_b32_e32 v162, 24, v11
	s_delay_alu instid0(VALU_DEP_3) | instskip(NEXT) | instid1(VALU_DEP_3)
	v_clz_i32_u32_e32 v151, v14
	v_cmp_eq_u32_e32 vcc_lo, 0, v161
	s_delay_alu instid0(VALU_DEP_2) | instskip(NEXT) | instid1(VALU_DEP_1)
	v_min_u32_e32 v151, 32, v151
	v_subrev_nc_u32_e32 v160, 28, v151
	v_sub_nc_u32_e32 v151, 29, v151
	s_delay_alu instid0(VALU_DEP_2) | instskip(NEXT) | instid1(VALU_DEP_1)
	v_lshlrev_b32_e32 v160, v160, v11
	v_dual_cndmask_b32 v151, v161, v151 :: v_dual_and_b32 v160, 7, v160
	s_delay_alu instid0(VALU_DEP_1) | instskip(NEXT) | instid1(VALU_DEP_2)
	v_lshl_add_u32 v151, v151, 23, 0x3b800000
	v_cndmask_b32_e32 v14, v14, v160, vcc_lo
	v_and_b32_e32 v160, 0x80000000, v162
	s_delay_alu instid0(VALU_DEP_2) | instskip(NEXT) | instid1(VALU_DEP_1)
	v_lshlrev_b32_e32 v14, 20, v14
	v_or3_b32 v14, v160, v151, v14
.LBB2_762:                              ;   in Loop: Header=BB2_394 Depth=4
	s_or_b32 exec_lo, exec_lo, s37
	s_delay_alu instid0(VALU_DEP_1) | instskip(SKIP_1) | instid1(VALU_DEP_1)
	v_max_f32_e32 v14, v14, v14
	v_max_f32_e32 v150, v150, v150
	v_min_f32_e32 v150, v150, v14
.LBB2_763:                              ;   in Loop: Header=BB2_394 Depth=4
	s_delay_alu instid0(VALU_DEP_1) | instskip(NEXT) | instid1(VALU_DEP_1)
	v_and_b32_e32 v14, 0x7f800000, v150
	v_cmp_ne_u32_e32 vcc_lo, 0x7f800000, v14
	v_mov_b32_e32 v14, 0x80
	s_and_saveexec_b32 s37, vcc_lo
	s_cbranch_execz .LBB2_771
; %bb.764:                              ;   in Loop: Header=BB2_394 Depth=4
	v_mov_b32_e32 v14, 0
	s_mov_b32 s38, exec_lo
	v_cmpx_ne_u32_e32 0, v150
	s_cbranch_execz .LBB2_770
; %bb.765:                              ;   in Loop: Header=BB2_394 Depth=4
	v_bfe_u32 v14, v150, 23, 8
	s_delay_alu instid0(VALU_DEP_1) | instskip(SKIP_1) | instid1(VALU_DEP_2)
	v_sub_nc_u32_e32 v160, 0x78, v14
	v_cmp_gt_u32_e32 vcc_lo, 0x79, v14
	v_dual_cndmask_b32 v160, 0, v160 :: v_dual_and_b32 v151, 0x7fffff, v150
	s_delay_alu instid0(VALU_DEP_1) | instskip(SKIP_2) | instid1(VALU_DEP_4)
	v_or_b32_e32 v161, 0x800000, v151
	v_cmp_eq_u32_e32 vcc_lo, 0, v14
	v_add_nc_u32_e32 v14, 0xffffff89, v14
	v_cndmask_b32_e64 v160, v160, 0x77, vcc_lo
	s_delay_alu instid0(VALU_DEP_4) | instskip(NEXT) | instid1(VALU_DEP_3)
	v_cndmask_b32_e32 v151, v161, v151, vcc_lo
	v_cndmask_b32_e64 v14, v14, 0xffffff8a, vcc_lo
	s_delay_alu instid0(VALU_DEP_3) | instskip(NEXT) | instid1(VALU_DEP_3)
	v_lshl_add_u32 v161, 0x100000, v160, -1
	v_lshrrev_b32_e32 v162, v160, v151
	v_lshlrev_b32_e64 v164, v160, 0x80000
	s_delay_alu instid0(VALU_DEP_4) | instskip(NEXT) | instid1(VALU_DEP_4)
	v_add_nc_u32_e32 v160, v160, v14
	v_and_b32_e32 v151, v161, v151
	s_delay_alu instid0(VALU_DEP_4) | instskip(NEXT) | instid1(VALU_DEP_2)
	v_bfe_u32 v163, v162, 20, 1
	v_cmp_eq_u32_e64 s14, v151, v164
	s_delay_alu instid0(VALU_DEP_2) | instskip(NEXT) | instid1(VALU_DEP_1)
	v_add_nc_u32_e32 v161, -1, v163
	v_cndmask_b32_e64 v151, 0, v161, s14
	v_lshrrev_b32_e32 v161, 23, v162
	s_mov_b32 s14, exec_lo
	s_delay_alu instid0(VALU_DEP_2) | instskip(NEXT) | instid1(VALU_DEP_2)
	v_add_nc_u32_e32 v151, v151, v162
	v_xor_b32_e32 v161, 1, v161
	s_delay_alu instid0(VALU_DEP_2) | instskip(NEXT) | instid1(VALU_DEP_1)
	v_and_b32_e32 v14, 0xfffff, v151
	v_add_nc_u32_e32 v151, v14, v162
                                        ; implicit-def: $vgpr14
	s_delay_alu instid0(VALU_DEP_3)
	v_cmpx_ne_u32_e64 v160, v161
	s_xor_b32 s14, exec_lo, s14
; %bb.766:                              ;   in Loop: Header=BB2_394 Depth=4
	s_delay_alu instid0(VALU_DEP_2) | instskip(SKIP_2) | instid1(VALU_DEP_2)
	v_cmp_lt_u32_e32 vcc_lo, 0xffffff, v151
	v_sub_nc_u32_e32 v14, v160, v161
	v_cndmask_b32_e64 v160, 0, 1, vcc_lo
	v_add_co_ci_u32_e32 v14, vcc_lo, 0, v14, vcc_lo
	s_delay_alu instid0(VALU_DEP_2)
	v_lshrrev_b32_e32 v151, v160, v151
; %bb.767:                              ;   in Loop: Header=BB2_394 Depth=4
	s_and_not1_saveexec_b32 s14, s14
; %bb.768:                              ;   in Loop: Header=BB2_394 Depth=4
	s_delay_alu instid0(VALU_DEP_1)
	v_bfe_u32 v14, v151, 23, 1
; %bb.769:                              ;   in Loop: Header=BB2_394 Depth=4
	s_or_b32 exec_lo, exec_lo, s14
	v_lshrrev_b32_e32 v151, 20, v151
	s_delay_alu instid0(VALU_DEP_2) | instskip(SKIP_2) | instid1(VALU_DEP_2)
	v_cmp_gt_i32_e32 vcc_lo, 16, v14
	v_lshrrev_b32_e32 v150, 24, v150
	v_min_i32_e32 v160, 15, v14
	v_dual_cndmask_b32 v151, 7, v151 :: v_dual_and_b32 v150, 0x80, v150
	s_delay_alu instid0(VALU_DEP_2) | instskip(NEXT) | instid1(VALU_DEP_2)
	v_lshlrev_b32_e32 v160, 3, v160
	v_or_b32_e32 v14, v14, v151
	s_delay_alu instid0(VALU_DEP_1) | instskip(SKIP_1) | instid1(VALU_DEP_1)
	v_cmp_ne_u32_e32 vcc_lo, 0, v14
	v_and_b32_e32 v161, 7, v151
	v_or3_b32 v150, v160, v150, v161
	s_delay_alu instid0(VALU_DEP_1)
	v_cndmask_b32_e32 v14, 0, v150, vcc_lo
.LBB2_770:                              ;   in Loop: Header=BB2_394 Depth=4
	s_or_b32 exec_lo, exec_lo, s38
.LBB2_771:                              ;   in Loop: Header=BB2_394 Depth=4
	s_delay_alu instid0(SALU_CYCLE_1) | instskip(SKIP_3) | instid1(VALU_DEP_2)
	s_or_b32 exec_lo, exec_lo, s37
	v_lshrrev_b16 v151, 8, v15
	v_lshrrev_b16 v150, 8, v11
	s_and_b32 vcc_lo, exec_lo, s36
	v_cmp_lt_i16_e64 s14, 0x7f, v151
	s_cbranch_vccz .LBB2_781
; %bb.772:                              ;   in Loop: Header=BB2_394 Depth=4
	s_mov_b32 s37, 0
                                        ; implicit-def: $sgpr38
	s_delay_alu instid0(VALU_DEP_1) | instskip(NEXT) | instid1(SALU_CYCLE_1)
	s_and_saveexec_b32 vcc_lo, s14
	s_xor_b32 s14, exec_lo, vcc_lo
	s_cbranch_execnz .LBB2_1064
; %bb.773:                              ;   in Loop: Header=BB2_394 Depth=4
	s_or_saveexec_b32 s14, s14
	v_mov_b32_e32 v160, s38
	s_xor_b32 exec_lo, exec_lo, s14
	s_cbranch_execnz .LBB2_1067
.LBB2_774:                              ;   in Loop: Header=BB2_394 Depth=4
	s_or_b32 exec_lo, exec_lo, s14
	s_and_saveexec_b32 s14, s37
	s_cbranch_execz .LBB2_776
.LBB2_775:                              ;   in Loop: Header=BB2_394 Depth=4
	v_and_b32_e32 v160, 0xffff, v151
	v_lshlrev_b32_e32 v164, 16, v15
	s_delay_alu instid0(VALU_DEP_2) | instskip(NEXT) | instid1(VALU_DEP_1)
	v_and_b32_e32 v161, 7, v160
	v_clz_i32_u32_e32 v162, v161
	s_delay_alu instid0(VALU_DEP_1) | instskip(NEXT) | instid1(VALU_DEP_1)
	v_min_u32_e32 v162, 32, v162
	v_subrev_nc_u32_e32 v163, 28, v162
	v_sub_nc_u32_e32 v162, 29, v162
	s_delay_alu instid0(VALU_DEP_2) | instskip(SKIP_1) | instid1(VALU_DEP_2)
	v_lshlrev_b32_e32 v163, v163, v160
	v_bfe_u32 v160, v160, 3, 4
	v_and_b32_e32 v163, 7, v163
	s_delay_alu instid0(VALU_DEP_2) | instskip(NEXT) | instid1(VALU_DEP_2)
	v_cmp_eq_u32_e32 vcc_lo, 0, v160
	v_dual_cndmask_b32 v160, v160, v162 :: v_dual_cndmask_b32 v161, v161, v163
	v_and_b32_e32 v162, 0x80000000, v164
	s_delay_alu instid0(VALU_DEP_2) | instskip(NEXT) | instid1(VALU_DEP_3)
	v_lshl_add_u32 v160, v160, 23, 0x3b800000
	v_lshlrev_b32_e32 v161, 20, v161
	s_delay_alu instid0(VALU_DEP_1)
	v_or3_b32 v160, v162, v160, v161
.LBB2_776:                              ;   in Loop: Header=BB2_394 Depth=4
	s_or_b32 exec_lo, exec_lo, s14
	s_mov_b32 s14, 0
	s_mov_b32 s38, exec_lo
                                        ; implicit-def: $sgpr37
	v_cmpx_lt_i16_e64 0x7f, v150
	s_xor_b32 s38, exec_lo, s38
	s_cbranch_execnz .LBB2_1068
; %bb.777:                              ;   in Loop: Header=BB2_394 Depth=4
	s_or_saveexec_b32 s38, s38
	v_mov_b32_e32 v161, s37
	s_xor_b32 exec_lo, exec_lo, s38
	s_cbranch_execnz .LBB2_1071
.LBB2_778:                              ;   in Loop: Header=BB2_394 Depth=4
	s_or_b32 exec_lo, exec_lo, s38
	s_and_saveexec_b32 s37, s14
	s_cbranch_execz .LBB2_780
.LBB2_779:                              ;   in Loop: Header=BB2_394 Depth=4
	v_and_b32_e32 v161, 0xffff, v150
	v_lshlrev_b32_e32 v165, 16, v11
	s_delay_alu instid0(VALU_DEP_2) | instskip(NEXT) | instid1(VALU_DEP_1)
	v_and_b32_e32 v162, 7, v161
	v_clz_i32_u32_e32 v163, v162
	s_delay_alu instid0(VALU_DEP_1) | instskip(NEXT) | instid1(VALU_DEP_1)
	v_min_u32_e32 v163, 32, v163
	v_subrev_nc_u32_e32 v164, 28, v163
	v_sub_nc_u32_e32 v163, 29, v163
	s_delay_alu instid0(VALU_DEP_2) | instskip(SKIP_1) | instid1(VALU_DEP_2)
	v_lshlrev_b32_e32 v164, v164, v161
	v_bfe_u32 v161, v161, 3, 4
	v_and_b32_e32 v164, 7, v164
	s_delay_alu instid0(VALU_DEP_2) | instskip(NEXT) | instid1(VALU_DEP_2)
	v_cmp_eq_u32_e32 vcc_lo, 0, v161
	v_dual_cndmask_b32 v161, v161, v163 :: v_dual_cndmask_b32 v162, v162, v164
	v_and_b32_e32 v163, 0x80000000, v165
	s_delay_alu instid0(VALU_DEP_2) | instskip(NEXT) | instid1(VALU_DEP_3)
	v_lshl_add_u32 v161, v161, 23, 0x3b800000
	v_lshlrev_b32_e32 v162, 20, v162
	s_delay_alu instid0(VALU_DEP_1)
	v_or3_b32 v161, v163, v161, v162
.LBB2_780:                              ;   in Loop: Header=BB2_394 Depth=4
	s_or_b32 exec_lo, exec_lo, s37
	s_delay_alu instid0(VALU_DEP_1) | instskip(SKIP_1) | instid1(VALU_DEP_1)
	v_dual_max_f32 v161, v161, v161 :: v_dual_max_f32 v160, v160, v160
	s_mov_b32 s14, 0
	v_max_f32_e32 v160, v160, v161
	s_branch .LBB2_782
.LBB2_781:                              ;   in Loop: Header=BB2_394 Depth=4
	s_mov_b32 s14, -1
                                        ; implicit-def: $vgpr160
.LBB2_782:                              ;   in Loop: Header=BB2_394 Depth=4
	s_delay_alu instid0(SALU_CYCLE_1)
	s_and_b32 vcc_lo, exec_lo, s14
	s_cbranch_vccz .LBB2_792
; %bb.783:                              ;   in Loop: Header=BB2_394 Depth=4
	s_mov_b32 s14, 0
	s_mov_b32 s38, exec_lo
                                        ; implicit-def: $sgpr37
	v_cmpx_lt_i16_e64 0x7f, v151
	s_xor_b32 s38, exec_lo, s38
	s_cbranch_execnz .LBB2_1072
; %bb.784:                              ;   in Loop: Header=BB2_394 Depth=4
	s_or_saveexec_b32 s38, s38
	v_mov_b32_e32 v160, s37
	s_xor_b32 exec_lo, exec_lo, s38
	s_cbranch_execnz .LBB2_1075
.LBB2_785:                              ;   in Loop: Header=BB2_394 Depth=4
	s_or_b32 exec_lo, exec_lo, s38
	s_and_saveexec_b32 s37, s14
	s_cbranch_execz .LBB2_787
.LBB2_786:                              ;   in Loop: Header=BB2_394 Depth=4
	v_and_b32_e32 v151, 0xffff, v151
	v_lshlrev_b32_e32 v163, 16, v15
	s_delay_alu instid0(VALU_DEP_2) | instskip(NEXT) | instid1(VALU_DEP_1)
	v_and_b32_e32 v160, 7, v151
	v_clz_i32_u32_e32 v161, v160
	s_delay_alu instid0(VALU_DEP_1) | instskip(NEXT) | instid1(VALU_DEP_1)
	v_min_u32_e32 v161, 32, v161
	v_subrev_nc_u32_e32 v162, 28, v161
	v_sub_nc_u32_e32 v161, 29, v161
	s_delay_alu instid0(VALU_DEP_2) | instskip(SKIP_1) | instid1(VALU_DEP_2)
	v_lshlrev_b32_e32 v162, v162, v151
	v_bfe_u32 v151, v151, 3, 4
	v_and_b32_e32 v162, 7, v162
	s_delay_alu instid0(VALU_DEP_2) | instskip(NEXT) | instid1(VALU_DEP_2)
	v_cmp_eq_u32_e32 vcc_lo, 0, v151
	v_dual_cndmask_b32 v151, v151, v161 :: v_dual_cndmask_b32 v160, v160, v162
	v_and_b32_e32 v161, 0x80000000, v163
	s_delay_alu instid0(VALU_DEP_2) | instskip(NEXT) | instid1(VALU_DEP_3)
	v_lshl_add_u32 v151, v151, 23, 0x3b800000
	v_lshlrev_b32_e32 v160, 20, v160
	s_delay_alu instid0(VALU_DEP_1)
	v_or3_b32 v160, v161, v151, v160
.LBB2_787:                              ;   in Loop: Header=BB2_394 Depth=4
	s_or_b32 exec_lo, exec_lo, s37
	s_mov_b32 s14, 0
	s_mov_b32 s38, exec_lo
                                        ; implicit-def: $sgpr37
	v_cmpx_lt_i16_e64 0x7f, v150
	s_xor_b32 s38, exec_lo, s38
	s_cbranch_execnz .LBB2_1076
; %bb.788:                              ;   in Loop: Header=BB2_394 Depth=4
	s_or_saveexec_b32 s38, s38
	v_mov_b32_e32 v151, s37
	s_xor_b32 exec_lo, exec_lo, s38
	s_cbranch_execnz .LBB2_1079
.LBB2_789:                              ;   in Loop: Header=BB2_394 Depth=4
	s_or_b32 exec_lo, exec_lo, s38
	s_and_saveexec_b32 s37, s14
	s_cbranch_execz .LBB2_791
.LBB2_790:                              ;   in Loop: Header=BB2_394 Depth=4
	v_and_b32_e32 v150, 0xffff, v150
	v_lshlrev_b32_e32 v163, 16, v11
	s_delay_alu instid0(VALU_DEP_2) | instskip(NEXT) | instid1(VALU_DEP_1)
	v_and_b32_e32 v151, 7, v150
	v_clz_i32_u32_e32 v161, v151
	s_delay_alu instid0(VALU_DEP_1) | instskip(NEXT) | instid1(VALU_DEP_1)
	v_min_u32_e32 v161, 32, v161
	v_subrev_nc_u32_e32 v162, 28, v161
	v_sub_nc_u32_e32 v161, 29, v161
	s_delay_alu instid0(VALU_DEP_2) | instskip(SKIP_1) | instid1(VALU_DEP_2)
	v_lshlrev_b32_e32 v162, v162, v150
	v_bfe_u32 v150, v150, 3, 4
	v_and_b32_e32 v162, 7, v162
	s_delay_alu instid0(VALU_DEP_2) | instskip(NEXT) | instid1(VALU_DEP_2)
	v_cmp_eq_u32_e32 vcc_lo, 0, v150
	v_dual_cndmask_b32 v150, v150, v161 :: v_dual_cndmask_b32 v151, v151, v162
	v_and_b32_e32 v161, 0x80000000, v163
	s_delay_alu instid0(VALU_DEP_2) | instskip(NEXT) | instid1(VALU_DEP_3)
	v_lshl_add_u32 v150, v150, 23, 0x3b800000
	v_lshlrev_b32_e32 v151, 20, v151
	s_delay_alu instid0(VALU_DEP_1)
	v_or3_b32 v151, v161, v150, v151
.LBB2_791:                              ;   in Loop: Header=BB2_394 Depth=4
	s_or_b32 exec_lo, exec_lo, s37
	s_delay_alu instid0(VALU_DEP_1) | instskip(NEXT) | instid1(VALU_DEP_1)
	v_dual_max_f32 v150, v151, v151 :: v_dual_max_f32 v151, v160, v160
	v_min_f32_e32 v160, v151, v150
.LBB2_792:                              ;   in Loop: Header=BB2_394 Depth=4
	s_delay_alu instid0(VALU_DEP_1) | instskip(NEXT) | instid1(VALU_DEP_1)
	v_and_b32_e32 v150, 0x7f800000, v160
	v_cmp_ne_u32_e32 vcc_lo, 0x7f800000, v150
	v_mov_b32_e32 v150, 0x80
	s_and_saveexec_b32 s37, vcc_lo
	s_cbranch_execz .LBB2_800
; %bb.793:                              ;   in Loop: Header=BB2_394 Depth=4
	v_mov_b32_e32 v150, 0
	s_mov_b32 s38, exec_lo
	v_cmpx_ne_u32_e32 0, v160
	s_cbranch_execz .LBB2_799
; %bb.794:                              ;   in Loop: Header=BB2_394 Depth=4
	v_bfe_u32 v150, v160, 23, 8
	v_and_b32_e32 v151, 0x7fffff, v160
	s_delay_alu instid0(VALU_DEP_2) | instskip(SKIP_1) | instid1(VALU_DEP_3)
	v_sub_nc_u32_e32 v161, 0x78, v150
	v_cmp_gt_u32_e32 vcc_lo, 0x79, v150
	v_or_b32_e32 v162, 0x800000, v151
	s_delay_alu instid0(VALU_DEP_3) | instskip(SKIP_2) | instid1(VALU_DEP_3)
	v_cndmask_b32_e32 v161, 0, v161, vcc_lo
	v_cmp_eq_u32_e32 vcc_lo, 0, v150
	v_add_nc_u32_e32 v150, 0xffffff89, v150
	v_cndmask_b32_e64 v161, v161, 0x77, vcc_lo
	v_cndmask_b32_e32 v151, v162, v151, vcc_lo
	s_delay_alu instid0(VALU_DEP_3) | instskip(NEXT) | instid1(VALU_DEP_3)
	v_cndmask_b32_e64 v150, v150, 0xffffff8a, vcc_lo
	v_lshl_add_u32 v162, 0x100000, v161, -1
	s_delay_alu instid0(VALU_DEP_3) | instskip(SKIP_1) | instid1(VALU_DEP_4)
	v_lshrrev_b32_e32 v163, v161, v151
	v_lshlrev_b32_e64 v165, v161, 0x80000
	v_add_nc_u32_e32 v161, v161, v150
	s_delay_alu instid0(VALU_DEP_4) | instskip(NEXT) | instid1(VALU_DEP_4)
	v_and_b32_e32 v151, v162, v151
	v_bfe_u32 v164, v163, 20, 1
	s_delay_alu instid0(VALU_DEP_2) | instskip(NEXT) | instid1(VALU_DEP_2)
	v_cmp_eq_u32_e64 s14, v151, v165
	v_add_nc_u32_e32 v162, -1, v164
	s_delay_alu instid0(VALU_DEP_1) | instskip(SKIP_2) | instid1(VALU_DEP_2)
	v_cndmask_b32_e64 v151, 0, v162, s14
	v_lshrrev_b32_e32 v162, 23, v163
	s_mov_b32 s14, exec_lo
	v_add_nc_u32_e32 v151, v151, v163
	s_delay_alu instid0(VALU_DEP_2) | instskip(NEXT) | instid1(VALU_DEP_2)
	v_xor_b32_e32 v162, 1, v162
	v_and_b32_e32 v150, 0xfffff, v151
	s_delay_alu instid0(VALU_DEP_1) | instskip(NEXT) | instid1(VALU_DEP_3)
	v_add_nc_u32_e32 v151, v150, v163
                                        ; implicit-def: $vgpr150
	v_cmpx_ne_u32_e64 v161, v162
	s_xor_b32 s14, exec_lo, s14
; %bb.795:                              ;   in Loop: Header=BB2_394 Depth=4
	s_delay_alu instid0(VALU_DEP_2) | instskip(SKIP_2) | instid1(VALU_DEP_2)
	v_cmp_lt_u32_e32 vcc_lo, 0xffffff, v151
	v_sub_nc_u32_e32 v150, v161, v162
	v_cndmask_b32_e64 v161, 0, 1, vcc_lo
	v_add_co_ci_u32_e32 v150, vcc_lo, 0, v150, vcc_lo
	s_delay_alu instid0(VALU_DEP_2)
	v_lshrrev_b32_e32 v151, v161, v151
; %bb.796:                              ;   in Loop: Header=BB2_394 Depth=4
	s_and_not1_saveexec_b32 s14, s14
; %bb.797:                              ;   in Loop: Header=BB2_394 Depth=4
	s_delay_alu instid0(VALU_DEP_1)
	v_bfe_u32 v150, v151, 23, 1
; %bb.798:                              ;   in Loop: Header=BB2_394 Depth=4
	s_or_b32 exec_lo, exec_lo, s14
	v_lshrrev_b32_e32 v151, 20, v151
	s_delay_alu instid0(VALU_DEP_2) | instskip(SKIP_2) | instid1(VALU_DEP_2)
	v_cmp_gt_i32_e32 vcc_lo, 16, v150
	v_lshrrev_b32_e32 v160, 24, v160
	v_min_i32_e32 v161, 15, v150
	v_dual_cndmask_b32 v151, 7, v151 :: v_dual_and_b32 v160, 0x80, v160
	s_delay_alu instid0(VALU_DEP_1) | instskip(SKIP_1) | instid1(VALU_DEP_2)
	v_or_b32_e32 v150, v150, v151
	v_and_b32_e32 v162, 7, v151
	v_cmp_ne_u32_e32 vcc_lo, 0, v150
	v_lshlrev_b32_e32 v161, 3, v161
	s_delay_alu instid0(VALU_DEP_1) | instskip(NEXT) | instid1(VALU_DEP_1)
	v_or3_b32 v151, v161, v160, v162
	v_cndmask_b32_e32 v150, 0, v151, vcc_lo
.LBB2_799:                              ;   in Loop: Header=BB2_394 Depth=4
	s_or_b32 exec_lo, exec_lo, s38
.LBB2_800:                              ;   in Loop: Header=BB2_394 Depth=4
	s_delay_alu instid0(SALU_CYCLE_1) | instskip(SKIP_3) | instid1(VALU_DEP_2)
	s_or_b32 exec_lo, exec_lo, s37
	v_lshrrev_b32_e32 v160, 16, v15
	v_lshrrev_b32_e32 v151, 16, v11
	s_and_b32 vcc_lo, exec_lo, s36
	v_and_b32_e32 v161, 0xff, v160
	s_delay_alu instid0(VALU_DEP_1)
	v_cmp_lt_i16_e64 s14, 0x7f, v161
	s_cbranch_vccz .LBB2_810
; %bb.801:                              ;   in Loop: Header=BB2_394 Depth=4
	s_mov_b32 s37, 0
                                        ; implicit-def: $sgpr38
	s_delay_alu instid0(VALU_DEP_1) | instskip(NEXT) | instid1(SALU_CYCLE_1)
	s_and_saveexec_b32 vcc_lo, s14
	s_xor_b32 s14, exec_lo, vcc_lo
	s_cbranch_execnz .LBB2_1080
; %bb.802:                              ;   in Loop: Header=BB2_394 Depth=4
	s_or_saveexec_b32 s14, s14
	v_mov_b32_e32 v162, s38
	s_xor_b32 exec_lo, exec_lo, s14
	s_cbranch_execnz .LBB2_1083
.LBB2_803:                              ;   in Loop: Header=BB2_394 Depth=4
	s_or_b32 exec_lo, exec_lo, s14
	s_and_saveexec_b32 s14, s37
	s_cbranch_execz .LBB2_805
.LBB2_804:                              ;   in Loop: Header=BB2_394 Depth=4
	v_bfe_u32 v162, v15, 16, 3
	v_bfe_u32 v165, v15, 19, 4
	v_lshlrev_b32_e32 v166, 24, v160
	s_delay_alu instid0(VALU_DEP_3) | instskip(NEXT) | instid1(VALU_DEP_3)
	v_clz_i32_u32_e32 v163, v162
	v_cmp_eq_u32_e32 vcc_lo, 0, v165
	s_delay_alu instid0(VALU_DEP_2) | instskip(NEXT) | instid1(VALU_DEP_1)
	v_min_u32_e32 v163, 32, v163
	v_subrev_nc_u32_e32 v164, 28, v163
	v_sub_nc_u32_e32 v163, 29, v163
	s_delay_alu instid0(VALU_DEP_1) | instskip(NEXT) | instid1(VALU_DEP_1)
	v_dual_cndmask_b32 v163, v165, v163 :: v_dual_lshlrev_b32 v164, v164, v160
	v_and_b32_e32 v164, 7, v164
	s_delay_alu instid0(VALU_DEP_2) | instskip(NEXT) | instid1(VALU_DEP_2)
	v_lshl_add_u32 v163, v163, 23, 0x3b800000
	v_cndmask_b32_e32 v162, v162, v164, vcc_lo
	v_and_b32_e32 v164, 0x80000000, v166
	s_delay_alu instid0(VALU_DEP_2) | instskip(NEXT) | instid1(VALU_DEP_1)
	v_lshlrev_b32_e32 v162, 20, v162
	v_or3_b32 v162, v164, v163, v162
.LBB2_805:                              ;   in Loop: Header=BB2_394 Depth=4
	s_or_b32 exec_lo, exec_lo, s14
	v_and_b32_e32 v164, 0xff, v151
	s_mov_b32 s14, 0
	s_mov_b32 s38, exec_lo
                                        ; implicit-def: $sgpr37
	s_delay_alu instid0(VALU_DEP_1)
	v_cmpx_lt_i16_e64 0x7f, v164
	s_xor_b32 s38, exec_lo, s38
	s_cbranch_execnz .LBB2_1084
; %bb.806:                              ;   in Loop: Header=BB2_394 Depth=4
	s_or_saveexec_b32 s38, s38
	v_mov_b32_e32 v163, s37
	s_xor_b32 exec_lo, exec_lo, s38
	s_cbranch_execnz .LBB2_1087
.LBB2_807:                              ;   in Loop: Header=BB2_394 Depth=4
	s_or_b32 exec_lo, exec_lo, s38
	s_and_saveexec_b32 s37, s14
	s_cbranch_execz .LBB2_809
.LBB2_808:                              ;   in Loop: Header=BB2_394 Depth=4
	v_bfe_u32 v163, v11, 16, 3
	v_bfe_u32 v166, v11, 19, 4
	v_lshlrev_b32_e32 v167, 24, v151
	s_delay_alu instid0(VALU_DEP_3) | instskip(NEXT) | instid1(VALU_DEP_3)
	v_clz_i32_u32_e32 v164, v163
	v_cmp_eq_u32_e32 vcc_lo, 0, v166
	s_delay_alu instid0(VALU_DEP_2) | instskip(NEXT) | instid1(VALU_DEP_1)
	v_min_u32_e32 v164, 32, v164
	v_subrev_nc_u32_e32 v165, 28, v164
	v_sub_nc_u32_e32 v164, 29, v164
	s_delay_alu instid0(VALU_DEP_1) | instskip(NEXT) | instid1(VALU_DEP_1)
	v_dual_cndmask_b32 v164, v166, v164 :: v_dual_lshlrev_b32 v165, v165, v151
	v_and_b32_e32 v165, 7, v165
	s_delay_alu instid0(VALU_DEP_2) | instskip(NEXT) | instid1(VALU_DEP_2)
	v_lshl_add_u32 v164, v164, 23, 0x3b800000
	v_cndmask_b32_e32 v163, v163, v165, vcc_lo
	v_and_b32_e32 v165, 0x80000000, v167
	s_delay_alu instid0(VALU_DEP_2) | instskip(NEXT) | instid1(VALU_DEP_1)
	v_lshlrev_b32_e32 v163, 20, v163
	v_or3_b32 v163, v165, v164, v163
.LBB2_809:                              ;   in Loop: Header=BB2_394 Depth=4
	s_or_b32 exec_lo, exec_lo, s37
	s_delay_alu instid0(VALU_DEP_1) | instskip(SKIP_1) | instid1(VALU_DEP_1)
	v_dual_max_f32 v163, v163, v163 :: v_dual_max_f32 v162, v162, v162
	s_mov_b32 s14, 0
	v_max_f32_e32 v162, v162, v163
	s_branch .LBB2_811
.LBB2_810:                              ;   in Loop: Header=BB2_394 Depth=4
	s_mov_b32 s14, -1
                                        ; implicit-def: $vgpr162
.LBB2_811:                              ;   in Loop: Header=BB2_394 Depth=4
	s_delay_alu instid0(SALU_CYCLE_1)
	s_and_b32 vcc_lo, exec_lo, s14
	s_cbranch_vccz .LBB2_821
; %bb.812:                              ;   in Loop: Header=BB2_394 Depth=4
	s_mov_b32 s14, 0
	s_mov_b32 s38, exec_lo
                                        ; implicit-def: $sgpr37
	v_cmpx_lt_i16_e64 0x7f, v161
	s_xor_b32 s38, exec_lo, s38
	s_cbranch_execnz .LBB2_1088
; %bb.813:                              ;   in Loop: Header=BB2_394 Depth=4
	s_or_saveexec_b32 s38, s38
	v_mov_b32_e32 v162, s37
	s_xor_b32 exec_lo, exec_lo, s38
	s_cbranch_execnz .LBB2_1091
.LBB2_814:                              ;   in Loop: Header=BB2_394 Depth=4
	s_or_b32 exec_lo, exec_lo, s38
	s_and_saveexec_b32 s37, s14
	s_cbranch_execz .LBB2_816
.LBB2_815:                              ;   in Loop: Header=BB2_394 Depth=4
	v_bfe_u32 v161, v15, 16, 3
	v_bfe_u32 v164, v15, 19, 4
	s_delay_alu instid0(VALU_DEP_2) | instskip(NEXT) | instid1(VALU_DEP_2)
	v_clz_i32_u32_e32 v162, v161
	v_cmp_eq_u32_e32 vcc_lo, 0, v164
	s_delay_alu instid0(VALU_DEP_2) | instskip(NEXT) | instid1(VALU_DEP_1)
	v_min_u32_e32 v162, 32, v162
	v_subrev_nc_u32_e32 v163, 28, v162
	v_sub_nc_u32_e32 v162, 29, v162
	s_delay_alu instid0(VALU_DEP_1) | instskip(NEXT) | instid1(VALU_DEP_1)
	v_dual_cndmask_b32 v162, v164, v162 :: v_dual_lshlrev_b32 v163, v163, v160
	v_and_b32_e32 v163, 7, v163
	v_lshlrev_b32_e32 v160, 24, v160
	s_delay_alu instid0(VALU_DEP_3) | instskip(NEXT) | instid1(VALU_DEP_2)
	v_lshl_add_u32 v162, v162, 23, 0x3b800000
	v_dual_cndmask_b32 v161, v161, v163 :: v_dual_and_b32 v160, 0x80000000, v160
	s_delay_alu instid0(VALU_DEP_1) | instskip(NEXT) | instid1(VALU_DEP_1)
	v_lshlrev_b32_e32 v161, 20, v161
	v_or3_b32 v162, v160, v162, v161
.LBB2_816:                              ;   in Loop: Header=BB2_394 Depth=4
	s_or_b32 exec_lo, exec_lo, s37
	v_and_b32_e32 v161, 0xff, v151
	s_mov_b32 s14, 0
	s_mov_b32 s38, exec_lo
                                        ; implicit-def: $sgpr37
	s_delay_alu instid0(VALU_DEP_1)
	v_cmpx_lt_i16_e64 0x7f, v161
	s_xor_b32 s38, exec_lo, s38
	s_cbranch_execnz .LBB2_1092
; %bb.817:                              ;   in Loop: Header=BB2_394 Depth=4
	s_or_saveexec_b32 s38, s38
	v_mov_b32_e32 v160, s37
	s_xor_b32 exec_lo, exec_lo, s38
	s_cbranch_execnz .LBB2_1095
.LBB2_818:                              ;   in Loop: Header=BB2_394 Depth=4
	s_or_b32 exec_lo, exec_lo, s38
	s_and_saveexec_b32 s37, s14
	s_cbranch_execz .LBB2_820
.LBB2_819:                              ;   in Loop: Header=BB2_394 Depth=4
	v_bfe_u32 v160, v11, 16, 3
	v_bfe_u32 v164, v11, 19, 4
	s_delay_alu instid0(VALU_DEP_2) | instskip(NEXT) | instid1(VALU_DEP_2)
	v_clz_i32_u32_e32 v161, v160
	v_cmp_eq_u32_e32 vcc_lo, 0, v164
	s_delay_alu instid0(VALU_DEP_2) | instskip(NEXT) | instid1(VALU_DEP_1)
	v_min_u32_e32 v161, 32, v161
	v_subrev_nc_u32_e32 v163, 28, v161
	v_sub_nc_u32_e32 v161, 29, v161
	s_delay_alu instid0(VALU_DEP_2) | instskip(SKIP_1) | instid1(VALU_DEP_2)
	v_lshlrev_b32_e32 v163, v163, v151
	v_lshlrev_b32_e32 v151, 24, v151
	v_and_b32_e32 v163, 7, v163
	s_delay_alu instid0(VALU_DEP_2) | instskip(NEXT) | instid1(VALU_DEP_2)
	v_and_b32_e32 v151, 0x80000000, v151
	v_cndmask_b32_e32 v160, v160, v163, vcc_lo
	s_delay_alu instid0(VALU_DEP_1) | instskip(NEXT) | instid1(VALU_DEP_1)
	v_dual_cndmask_b32 v161, v164, v161 :: v_dual_lshlrev_b32 v160, 20, v160
	v_lshl_add_u32 v161, v161, 23, 0x3b800000
	s_delay_alu instid0(VALU_DEP_1)
	v_or3_b32 v160, v151, v161, v160
.LBB2_820:                              ;   in Loop: Header=BB2_394 Depth=4
	s_or_b32 exec_lo, exec_lo, s37
	s_delay_alu instid0(VALU_DEP_1) | instskip(NEXT) | instid1(VALU_DEP_1)
	v_dual_max_f32 v151, v160, v160 :: v_dual_max_f32 v160, v162, v162
	v_min_f32_e32 v162, v160, v151
.LBB2_821:                              ;   in Loop: Header=BB2_394 Depth=4
	s_delay_alu instid0(VALU_DEP_1) | instskip(NEXT) | instid1(VALU_DEP_1)
	v_and_b32_e32 v151, 0x7f800000, v162
	v_cmp_ne_u32_e32 vcc_lo, 0x7f800000, v151
	v_mov_b32_e32 v151, 0x80
	s_and_saveexec_b32 s37, vcc_lo
	s_cbranch_execz .LBB2_829
; %bb.822:                              ;   in Loop: Header=BB2_394 Depth=4
	v_mov_b32_e32 v151, 0
	s_mov_b32 s38, exec_lo
	v_cmpx_ne_u32_e32 0, v162
	s_cbranch_execz .LBB2_828
; %bb.823:                              ;   in Loop: Header=BB2_394 Depth=4
	v_bfe_u32 v151, v162, 23, 8
	s_delay_alu instid0(VALU_DEP_1) | instskip(SKIP_1) | instid1(VALU_DEP_2)
	v_sub_nc_u32_e32 v161, 0x78, v151
	v_cmp_gt_u32_e32 vcc_lo, 0x79, v151
	v_dual_cndmask_b32 v161, 0, v161 :: v_dual_and_b32 v160, 0x7fffff, v162
	s_delay_alu instid0(VALU_DEP_1) | instskip(SKIP_2) | instid1(VALU_DEP_4)
	v_or_b32_e32 v163, 0x800000, v160
	v_cmp_eq_u32_e32 vcc_lo, 0, v151
	v_add_nc_u32_e32 v151, 0xffffff89, v151
	v_cndmask_b32_e64 v161, v161, 0x77, vcc_lo
	s_delay_alu instid0(VALU_DEP_4) | instskip(NEXT) | instid1(VALU_DEP_3)
	v_cndmask_b32_e32 v160, v163, v160, vcc_lo
	v_cndmask_b32_e64 v151, v151, 0xffffff8a, vcc_lo
	s_delay_alu instid0(VALU_DEP_3) | instskip(NEXT) | instid1(VALU_DEP_3)
	v_lshl_add_u32 v163, 0x100000, v161, -1
	v_lshrrev_b32_e32 v164, v161, v160
	v_lshlrev_b32_e64 v166, v161, 0x80000
	s_delay_alu instid0(VALU_DEP_4) | instskip(NEXT) | instid1(VALU_DEP_4)
	v_add_nc_u32_e32 v161, v161, v151
	v_and_b32_e32 v160, v163, v160
	s_delay_alu instid0(VALU_DEP_4) | instskip(NEXT) | instid1(VALU_DEP_2)
	v_bfe_u32 v165, v164, 20, 1
	v_cmp_eq_u32_e64 s14, v160, v166
	s_delay_alu instid0(VALU_DEP_2) | instskip(NEXT) | instid1(VALU_DEP_1)
	v_add_nc_u32_e32 v163, -1, v165
	v_cndmask_b32_e64 v160, 0, v163, s14
	v_lshrrev_b32_e32 v163, 23, v164
	s_mov_b32 s14, exec_lo
	s_delay_alu instid0(VALU_DEP_2) | instskip(NEXT) | instid1(VALU_DEP_2)
	v_add_nc_u32_e32 v160, v160, v164
	v_xor_b32_e32 v163, 1, v163
	s_delay_alu instid0(VALU_DEP_2) | instskip(NEXT) | instid1(VALU_DEP_1)
	v_and_b32_e32 v151, 0xfffff, v160
	v_add_nc_u32_e32 v160, v151, v164
                                        ; implicit-def: $vgpr151
	s_delay_alu instid0(VALU_DEP_3)
	v_cmpx_ne_u32_e64 v161, v163
	s_xor_b32 s14, exec_lo, s14
; %bb.824:                              ;   in Loop: Header=BB2_394 Depth=4
	s_delay_alu instid0(VALU_DEP_2) | instskip(SKIP_2) | instid1(VALU_DEP_2)
	v_cmp_lt_u32_e32 vcc_lo, 0xffffff, v160
	v_sub_nc_u32_e32 v151, v161, v163
	v_cndmask_b32_e64 v161, 0, 1, vcc_lo
	v_add_co_ci_u32_e32 v151, vcc_lo, 0, v151, vcc_lo
	s_delay_alu instid0(VALU_DEP_2)
	v_lshrrev_b32_e32 v160, v161, v160
; %bb.825:                              ;   in Loop: Header=BB2_394 Depth=4
	s_and_not1_saveexec_b32 s14, s14
; %bb.826:                              ;   in Loop: Header=BB2_394 Depth=4
	s_delay_alu instid0(VALU_DEP_1)
	v_bfe_u32 v151, v160, 23, 1
; %bb.827:                              ;   in Loop: Header=BB2_394 Depth=4
	s_or_b32 exec_lo, exec_lo, s14
	v_lshrrev_b32_e32 v160, 20, v160
	s_delay_alu instid0(VALU_DEP_2) | instskip(SKIP_2) | instid1(VALU_DEP_2)
	v_cmp_gt_i32_e32 vcc_lo, 16, v151
	v_min_i32_e32 v161, 15, v151
	v_lshrrev_b32_e32 v162, 24, v162
	v_dual_cndmask_b32 v160, 7, v160 :: v_dual_lshlrev_b32 v161, 3, v161
	s_delay_alu instid0(VALU_DEP_1) | instskip(SKIP_1) | instid1(VALU_DEP_3)
	v_or_b32_e32 v151, v151, v160
	v_and_b32_e32 v163, 7, v160
	v_and_b32_e32 v161, 0xf8, v161
	s_delay_alu instid0(VALU_DEP_3) | instskip(SKIP_1) | instid1(VALU_DEP_1)
	v_cmp_ne_u32_e32 vcc_lo, 0, v151
	v_and_b32_e32 v162, 0x80, v162
	v_or3_b32 v160, v161, v162, v163
	s_delay_alu instid0(VALU_DEP_1)
	v_cndmask_b32_e32 v151, 0, v160, vcc_lo
.LBB2_828:                              ;   in Loop: Header=BB2_394 Depth=4
	s_or_b32 exec_lo, exec_lo, s38
.LBB2_829:                              ;   in Loop: Header=BB2_394 Depth=4
	s_delay_alu instid0(SALU_CYCLE_1) | instskip(SKIP_3) | instid1(VALU_DEP_2)
	s_or_b32 exec_lo, exec_lo, s37
	v_lshrrev_b32_e32 v161, 24, v15
	v_lshrrev_b32_e32 v160, 24, v11
	s_and_b32 vcc_lo, exec_lo, s36
	v_cmp_lt_i16_e64 s14, 0x7f, v161
	s_cbranch_vccz .LBB2_839
; %bb.830:                              ;   in Loop: Header=BB2_394 Depth=4
	s_mov_b32 s37, 0
                                        ; implicit-def: $sgpr38
	s_delay_alu instid0(VALU_DEP_1) | instskip(NEXT) | instid1(SALU_CYCLE_1)
	s_and_saveexec_b32 vcc_lo, s14
	s_xor_b32 s14, exec_lo, vcc_lo
	s_cbranch_execnz .LBB2_1096
; %bb.831:                              ;   in Loop: Header=BB2_394 Depth=4
	s_or_saveexec_b32 s14, s14
	v_mov_b32_e32 v162, s38
	s_xor_b32 exec_lo, exec_lo, s14
	s_cbranch_execnz .LBB2_1099
.LBB2_832:                              ;   in Loop: Header=BB2_394 Depth=4
	s_or_b32 exec_lo, exec_lo, s14
	s_and_saveexec_b32 s14, s37
	s_cbranch_execz .LBB2_834
.LBB2_833:                              ;   in Loop: Header=BB2_394 Depth=4
	v_bfe_u32 v162, v15, 24, 3
	v_bfe_u32 v165, v15, 27, 4
	s_delay_alu instid0(VALU_DEP_2) | instskip(NEXT) | instid1(VALU_DEP_2)
	v_clz_i32_u32_e32 v163, v162
	v_cmp_eq_u32_e32 vcc_lo, 0, v165
	s_delay_alu instid0(VALU_DEP_2) | instskip(NEXT) | instid1(VALU_DEP_1)
	v_min_u32_e32 v163, 32, v163
	v_subrev_nc_u32_e32 v164, 28, v163
	v_sub_nc_u32_e32 v163, 29, v163
	s_delay_alu instid0(VALU_DEP_1) | instskip(NEXT) | instid1(VALU_DEP_1)
	v_dual_cndmask_b32 v163, v165, v163 :: v_dual_lshlrev_b32 v164, v164, v161
	v_and_b32_e32 v164, 7, v164
	s_delay_alu instid0(VALU_DEP_2) | instskip(NEXT) | instid1(VALU_DEP_2)
	v_lshl_add_u32 v163, v163, 23, 0x3b800000
	v_cndmask_b32_e32 v162, v162, v164, vcc_lo
	v_and_b32_e32 v164, 0x80000000, v15
	s_delay_alu instid0(VALU_DEP_2) | instskip(NEXT) | instid1(VALU_DEP_1)
	v_lshlrev_b32_e32 v162, 20, v162
	v_or3_b32 v162, v164, v163, v162
.LBB2_834:                              ;   in Loop: Header=BB2_394 Depth=4
	s_or_b32 exec_lo, exec_lo, s14
	s_mov_b32 s14, 0
	s_mov_b32 s38, exec_lo
                                        ; implicit-def: $sgpr37
	v_cmpx_lt_i16_e64 0x7f, v160
	s_xor_b32 s38, exec_lo, s38
	s_cbranch_execnz .LBB2_1100
; %bb.835:                              ;   in Loop: Header=BB2_394 Depth=4
	s_or_saveexec_b32 s38, s38
	v_mov_b32_e32 v163, s37
	s_xor_b32 exec_lo, exec_lo, s38
	s_cbranch_execnz .LBB2_1103
.LBB2_836:                              ;   in Loop: Header=BB2_394 Depth=4
	s_or_b32 exec_lo, exec_lo, s38
	s_and_saveexec_b32 s37, s14
	s_cbranch_execz .LBB2_838
.LBB2_837:                              ;   in Loop: Header=BB2_394 Depth=4
	v_bfe_u32 v163, v11, 24, 3
	v_bfe_u32 v166, v11, 27, 4
	s_delay_alu instid0(VALU_DEP_2) | instskip(NEXT) | instid1(VALU_DEP_2)
	v_clz_i32_u32_e32 v164, v163
	v_cmp_eq_u32_e32 vcc_lo, 0, v166
	s_delay_alu instid0(VALU_DEP_2) | instskip(NEXT) | instid1(VALU_DEP_1)
	v_min_u32_e32 v164, 32, v164
	v_subrev_nc_u32_e32 v165, 28, v164
	v_sub_nc_u32_e32 v164, 29, v164
	s_delay_alu instid0(VALU_DEP_2) | instskip(NEXT) | instid1(VALU_DEP_1)
	v_lshlrev_b32_e32 v165, v165, v160
	v_dual_cndmask_b32 v164, v166, v164 :: v_dual_and_b32 v165, 7, v165
	s_delay_alu instid0(VALU_DEP_1) | instskip(NEXT) | instid1(VALU_DEP_2)
	v_lshl_add_u32 v164, v164, 23, 0x3b800000
	v_cndmask_b32_e32 v163, v163, v165, vcc_lo
	v_and_b32_e32 v165, 0x80000000, v11
	s_delay_alu instid0(VALU_DEP_2) | instskip(NEXT) | instid1(VALU_DEP_1)
	v_lshlrev_b32_e32 v163, 20, v163
	v_or3_b32 v163, v165, v164, v163
.LBB2_838:                              ;   in Loop: Header=BB2_394 Depth=4
	s_or_b32 exec_lo, exec_lo, s37
	s_delay_alu instid0(VALU_DEP_1) | instskip(SKIP_1) | instid1(VALU_DEP_1)
	v_dual_max_f32 v163, v163, v163 :: v_dual_max_f32 v162, v162, v162
	s_mov_b32 s14, 0
	v_max_f32_e32 v162, v162, v163
	s_branch .LBB2_840
.LBB2_839:                              ;   in Loop: Header=BB2_394 Depth=4
	s_mov_b32 s14, -1
                                        ; implicit-def: $vgpr162
.LBB2_840:                              ;   in Loop: Header=BB2_394 Depth=4
	s_delay_alu instid0(SALU_CYCLE_1)
	s_and_b32 vcc_lo, exec_lo, s14
	s_cbranch_vccz .LBB2_850
; %bb.841:                              ;   in Loop: Header=BB2_394 Depth=4
	s_mov_b32 s14, 0
	s_mov_b32 s38, exec_lo
                                        ; implicit-def: $sgpr37
	v_cmpx_lt_i16_e64 0x7f, v161
	s_xor_b32 s38, exec_lo, s38
	s_cbranch_execnz .LBB2_1104
; %bb.842:                              ;   in Loop: Header=BB2_394 Depth=4
	s_or_saveexec_b32 s38, s38
	v_mov_b32_e32 v162, s37
	s_xor_b32 exec_lo, exec_lo, s38
	s_cbranch_execnz .LBB2_1107
.LBB2_843:                              ;   in Loop: Header=BB2_394 Depth=4
	s_or_b32 exec_lo, exec_lo, s38
	s_and_saveexec_b32 s37, s14
	s_cbranch_execz .LBB2_845
.LBB2_844:                              ;   in Loop: Header=BB2_394 Depth=4
	v_bfe_u32 v162, v15, 24, 3
	s_delay_alu instid0(VALU_DEP_1) | instskip(NEXT) | instid1(VALU_DEP_1)
	v_clz_i32_u32_e32 v163, v162
	v_min_u32_e32 v163, 32, v163
	s_delay_alu instid0(VALU_DEP_1) | instskip(SKIP_1) | instid1(VALU_DEP_2)
	v_subrev_nc_u32_e32 v164, 28, v163
	v_sub_nc_u32_e32 v163, 29, v163
	v_lshlrev_b32_e32 v161, v164, v161
	v_bfe_u32 v164, v15, 27, 4
	v_and_b32_e32 v15, 0x80000000, v15
	s_delay_alu instid0(VALU_DEP_3) | instskip(NEXT) | instid1(VALU_DEP_3)
	v_and_b32_e32 v161, 7, v161
	v_cmp_eq_u32_e32 vcc_lo, 0, v164
	v_cndmask_b32_e32 v163, v164, v163, vcc_lo
	s_delay_alu instid0(VALU_DEP_3) | instskip(NEXT) | instid1(VALU_DEP_2)
	v_cndmask_b32_e32 v161, v162, v161, vcc_lo
	v_lshl_add_u32 v162, v163, 23, 0x3b800000
	s_delay_alu instid0(VALU_DEP_2) | instskip(NEXT) | instid1(VALU_DEP_1)
	v_lshlrev_b32_e32 v161, 20, v161
	v_or3_b32 v162, v15, v162, v161
.LBB2_845:                              ;   in Loop: Header=BB2_394 Depth=4
	s_or_b32 exec_lo, exec_lo, s37
	s_mov_b32 s14, 0
	s_mov_b32 s38, exec_lo
                                        ; implicit-def: $sgpr37
	v_cmpx_lt_i16_e64 0x7f, v160
	s_xor_b32 s38, exec_lo, s38
	s_cbranch_execnz .LBB2_1108
; %bb.846:                              ;   in Loop: Header=BB2_394 Depth=4
	s_or_saveexec_b32 s38, s38
	v_mov_b32_e32 v15, s37
	s_xor_b32 exec_lo, exec_lo, s38
	s_cbranch_execnz .LBB2_1111
.LBB2_847:                              ;   in Loop: Header=BB2_394 Depth=4
	s_or_b32 exec_lo, exec_lo, s38
	s_and_saveexec_b32 s37, s14
	s_cbranch_execz .LBB2_849
.LBB2_848:                              ;   in Loop: Header=BB2_394 Depth=4
	v_bfe_u32 v15, v11, 24, 3
	s_delay_alu instid0(VALU_DEP_1) | instskip(NEXT) | instid1(VALU_DEP_1)
	v_clz_i32_u32_e32 v161, v15
	v_min_u32_e32 v161, 32, v161
	s_delay_alu instid0(VALU_DEP_1) | instskip(SKIP_1) | instid1(VALU_DEP_2)
	v_subrev_nc_u32_e32 v163, 28, v161
	v_sub_nc_u32_e32 v161, 29, v161
	v_lshlrev_b32_e32 v160, v163, v160
	v_bfe_u32 v163, v11, 27, 4
	v_and_b32_e32 v11, 0x80000000, v11
	s_delay_alu instid0(VALU_DEP_2) | instskip(NEXT) | instid1(VALU_DEP_4)
	v_cmp_eq_u32_e32 vcc_lo, 0, v163
	v_dual_cndmask_b32 v161, v163, v161 :: v_dual_and_b32 v160, 7, v160
	s_delay_alu instid0(VALU_DEP_1) | instskip(NEXT) | instid1(VALU_DEP_2)
	v_cndmask_b32_e32 v15, v15, v160, vcc_lo
	v_lshl_add_u32 v160, v161, 23, 0x3b800000
	s_delay_alu instid0(VALU_DEP_2) | instskip(NEXT) | instid1(VALU_DEP_1)
	v_lshlrev_b32_e32 v15, 20, v15
	v_or3_b32 v15, v11, v160, v15
.LBB2_849:                              ;   in Loop: Header=BB2_394 Depth=4
	s_or_b32 exec_lo, exec_lo, s37
	s_delay_alu instid0(VALU_DEP_1) | instskip(SKIP_1) | instid1(VALU_DEP_1)
	v_max_f32_e32 v11, v15, v15
	v_max_f32_e32 v15, v162, v162
	v_min_f32_e32 v162, v15, v11
.LBB2_850:                              ;   in Loop: Header=BB2_394 Depth=4
	s_delay_alu instid0(VALU_DEP_1) | instskip(NEXT) | instid1(VALU_DEP_1)
	v_and_b32_e32 v11, 0x7f800000, v162
	v_cmp_ne_u32_e32 vcc_lo, 0x7f800000, v11
	v_mov_b32_e32 v11, 0x8000
	s_and_saveexec_b32 s37, vcc_lo
	s_cbranch_execz .LBB2_393
; %bb.851:                              ;   in Loop: Header=BB2_394 Depth=4
	v_mov_b32_e32 v11, 0
	s_mov_b32 s38, exec_lo
	v_cmpx_ne_u32_e32 0, v162
	s_cbranch_execz .LBB2_392
; %bb.852:                              ;   in Loop: Header=BB2_394 Depth=4
	v_bfe_u32 v11, v162, 23, 8
	s_delay_alu instid0(VALU_DEP_1) | instskip(SKIP_1) | instid1(VALU_DEP_2)
	v_sub_nc_u32_e32 v160, 0x78, v11
	v_cmp_gt_u32_e32 vcc_lo, 0x79, v11
	v_dual_cndmask_b32 v160, 0, v160 :: v_dual_and_b32 v15, 0x7fffff, v162
	s_delay_alu instid0(VALU_DEP_1) | instskip(SKIP_2) | instid1(VALU_DEP_4)
	v_or_b32_e32 v161, 0x800000, v15
	v_cmp_eq_u32_e32 vcc_lo, 0, v11
	v_add_nc_u32_e32 v11, 0xffffff89, v11
	v_cndmask_b32_e64 v160, v160, 0x77, vcc_lo
	s_delay_alu instid0(VALU_DEP_4) | instskip(NEXT) | instid1(VALU_DEP_3)
	v_cndmask_b32_e32 v15, v161, v15, vcc_lo
	v_cndmask_b32_e64 v11, v11, 0xffffff8a, vcc_lo
	s_delay_alu instid0(VALU_DEP_3) | instskip(NEXT) | instid1(VALU_DEP_3)
	v_lshl_add_u32 v161, 0x100000, v160, -1
	v_lshrrev_b32_e32 v163, v160, v15
	v_lshlrev_b32_e64 v165, v160, 0x80000
	s_delay_alu instid0(VALU_DEP_4) | instskip(NEXT) | instid1(VALU_DEP_4)
	v_add_nc_u32_e32 v160, v160, v11
	v_and_b32_e32 v15, v161, v15
	s_delay_alu instid0(VALU_DEP_4) | instskip(NEXT) | instid1(VALU_DEP_2)
	v_bfe_u32 v164, v163, 20, 1
	v_cmp_eq_u32_e64 s14, v15, v165
	s_delay_alu instid0(VALU_DEP_2) | instskip(NEXT) | instid1(VALU_DEP_1)
	v_add_nc_u32_e32 v161, -1, v164
	v_cndmask_b32_e64 v15, 0, v161, s14
	v_lshrrev_b32_e32 v161, 23, v163
	s_mov_b32 s14, exec_lo
	s_delay_alu instid0(VALU_DEP_2) | instskip(NEXT) | instid1(VALU_DEP_2)
	v_add_nc_u32_e32 v15, v15, v163
	v_xor_b32_e32 v161, 1, v161
	s_delay_alu instid0(VALU_DEP_2) | instskip(NEXT) | instid1(VALU_DEP_1)
	v_and_b32_e32 v11, 0xfffff, v15
	v_add_nc_u32_e32 v15, v11, v163
                                        ; implicit-def: $vgpr11
	s_delay_alu instid0(VALU_DEP_3)
	v_cmpx_ne_u32_e64 v160, v161
	s_xor_b32 s14, exec_lo, s14
; %bb.853:                              ;   in Loop: Header=BB2_394 Depth=4
	s_delay_alu instid0(VALU_DEP_2) | instskip(SKIP_2) | instid1(VALU_DEP_2)
	v_cmp_lt_u32_e32 vcc_lo, 0xffffff, v15
	v_sub_nc_u32_e32 v11, v160, v161
	v_cndmask_b32_e64 v160, 0, 1, vcc_lo
	v_add_co_ci_u32_e32 v11, vcc_lo, 0, v11, vcc_lo
	s_delay_alu instid0(VALU_DEP_2)
	v_lshrrev_b32_e32 v15, v160, v15
; %bb.854:                              ;   in Loop: Header=BB2_394 Depth=4
	s_and_not1_saveexec_b32 s14, s14
	s_cbranch_execz .LBB2_391
; %bb.855:                              ;   in Loop: Header=BB2_394 Depth=4
	s_delay_alu instid0(VALU_DEP_1)
	v_bfe_u32 v11, v15, 23, 1
	s_branch .LBB2_391
.LBB2_856:                              ;   in Loop: Header=BB2_394 Depth=4
	s_mov_b32 s37, -1
	s_mov_b32 s39, exec_lo
                                        ; implicit-def: $sgpr38
	v_cmpx_eq_u16_e64 0x80, v135
; %bb.857:                              ;   in Loop: Header=BB2_394 Depth=4
	s_mov_b32 s38, 0x7f800001
	s_xor_b32 s37, exec_lo, -1
; %bb.858:                              ;   in Loop: Header=BB2_394 Depth=4
	s_or_b32 exec_lo, exec_lo, s39
	s_delay_alu instid0(SALU_CYCLE_1)
	s_and_b32 s37, s37, exec_lo
	s_or_saveexec_b32 s14, s14
	v_mov_b32_e32 v144, s38
	s_xor_b32 exec_lo, exec_lo, s14
	s_cbranch_execz .LBB2_397
.LBB2_859:                              ;   in Loop: Header=BB2_394 Depth=4
	v_cmp_ne_u16_e64 vcc_lo, 0, v135
	v_mov_b32_e32 v144, 0
	s_and_not1_b32 s37, s37, exec_lo
	s_delay_alu instid0(VALU_DEP_2) | instskip(NEXT) | instid1(SALU_CYCLE_1)
	s_and_b32 vcc_lo, vcc_lo, exec_lo
	s_or_b32 s37, s37, vcc_lo
	s_or_b32 exec_lo, exec_lo, s14
	s_and_saveexec_b32 s14, s37
	s_cbranch_execnz .LBB2_398
	s_branch .LBB2_399
.LBB2_860:                              ;   in Loop: Header=BB2_394 Depth=4
	s_mov_b32 s14, -1
	s_mov_b32 s39, exec_lo
                                        ; implicit-def: $sgpr37
	v_cmpx_eq_u16_e64 0x80, v146
; %bb.861:                              ;   in Loop: Header=BB2_394 Depth=4
	s_mov_b32 s37, 0x7f800001
	s_xor_b32 s14, exec_lo, -1
; %bb.862:                              ;   in Loop: Header=BB2_394 Depth=4
	s_or_b32 exec_lo, exec_lo, s39
	s_delay_alu instid0(SALU_CYCLE_1)
	s_and_b32 s14, s14, exec_lo
                                        ; implicit-def: $vgpr146
	s_or_saveexec_b32 s38, s38
	v_mov_b32_e32 v145, s37
	s_xor_b32 exec_lo, exec_lo, s38
	s_cbranch_execz .LBB2_401
.LBB2_863:                              ;   in Loop: Header=BB2_394 Depth=4
	v_cmp_ne_u16_e64 vcc_lo, 0, v146
	v_mov_b32_e32 v145, 0
	s_and_not1_b32 s14, s14, exec_lo
	s_delay_alu instid0(VALU_DEP_2) | instskip(NEXT) | instid1(SALU_CYCLE_1)
	s_and_b32 vcc_lo, vcc_lo, exec_lo
	s_or_b32 s14, s14, vcc_lo
	s_or_b32 exec_lo, exec_lo, s38
	s_and_saveexec_b32 s37, s14
	s_cbranch_execnz .LBB2_402
	s_branch .LBB2_403
.LBB2_864:                              ;   in Loop: Header=BB2_394 Depth=4
	s_mov_b32 s14, -1
	s_mov_b32 s39, exec_lo
                                        ; implicit-def: $sgpr37
	v_cmpx_eq_u16_e64 0x80, v135
; %bb.865:                              ;   in Loop: Header=BB2_394 Depth=4
	s_mov_b32 s37, 0x7f800001
	s_xor_b32 s14, exec_lo, -1
; %bb.866:                              ;   in Loop: Header=BB2_394 Depth=4
	s_or_b32 exec_lo, exec_lo, s39
	s_delay_alu instid0(SALU_CYCLE_1)
	s_and_b32 s14, s14, exec_lo
                                        ; implicit-def: $vgpr135
	s_or_saveexec_b32 s38, s38
	v_mov_b32_e32 v144, s37
	s_xor_b32 exec_lo, exec_lo, s38
	s_cbranch_execz .LBB2_408
.LBB2_867:                              ;   in Loop: Header=BB2_394 Depth=4
	v_cmp_ne_u16_e64 vcc_lo, 0, v135
	v_mov_b32_e32 v144, 0
	s_and_not1_b32 s14, s14, exec_lo
	s_delay_alu instid0(VALU_DEP_2) | instskip(NEXT) | instid1(SALU_CYCLE_1)
	s_and_b32 vcc_lo, vcc_lo, exec_lo
	s_or_b32 s14, s14, vcc_lo
	s_or_b32 exec_lo, exec_lo, s38
	s_and_saveexec_b32 s37, s14
	s_cbranch_execnz .LBB2_409
	s_branch .LBB2_410
.LBB2_868:                              ;   in Loop: Header=BB2_394 Depth=4
	s_mov_b32 s14, -1
	s_mov_b32 s39, exec_lo
                                        ; implicit-def: $sgpr37
	v_cmpx_eq_u16_e64 0x80, v145
; %bb.869:                              ;   in Loop: Header=BB2_394 Depth=4
	s_mov_b32 s37, 0x7f800001
	s_xor_b32 s14, exec_lo, -1
; %bb.870:                              ;   in Loop: Header=BB2_394 Depth=4
	s_or_b32 exec_lo, exec_lo, s39
	s_delay_alu instid0(SALU_CYCLE_1)
	s_and_b32 s14, s14, exec_lo
                                        ; implicit-def: $vgpr145
	s_or_saveexec_b32 s38, s38
	v_mov_b32_e32 v135, s37
	s_xor_b32 exec_lo, exec_lo, s38
	s_cbranch_execz .LBB2_412
.LBB2_871:                              ;   in Loop: Header=BB2_394 Depth=4
	v_cmp_ne_u16_e64 vcc_lo, 0, v145
	v_mov_b32_e32 v135, 0
	s_and_not1_b32 s14, s14, exec_lo
	s_delay_alu instid0(VALU_DEP_2) | instskip(NEXT) | instid1(SALU_CYCLE_1)
	s_and_b32 vcc_lo, vcc_lo, exec_lo
	s_or_b32 s14, s14, vcc_lo
	s_or_b32 exec_lo, exec_lo, s38
	s_and_saveexec_b32 s37, s14
	s_cbranch_execnz .LBB2_413
	s_branch .LBB2_414
.LBB2_872:                              ;   in Loop: Header=BB2_394 Depth=4
	s_mov_b32 s37, -1
	s_mov_b32 s39, exec_lo
                                        ; implicit-def: $sgpr38
	v_cmpx_eq_u16_e64 0x80, v145
; %bb.873:                              ;   in Loop: Header=BB2_394 Depth=4
	s_mov_b32 s38, 0x7f800001
	s_xor_b32 s37, exec_lo, -1
; %bb.874:                              ;   in Loop: Header=BB2_394 Depth=4
	s_or_b32 exec_lo, exec_lo, s39
	s_delay_alu instid0(SALU_CYCLE_1)
	s_and_b32 s37, s37, exec_lo
	s_or_saveexec_b32 s14, s14
	v_mov_b32_e32 v146, s38
	s_xor_b32 exec_lo, exec_lo, s14
	s_cbranch_execz .LBB2_426
.LBB2_875:                              ;   in Loop: Header=BB2_394 Depth=4
	v_cmp_ne_u16_e64 vcc_lo, 0, v145
	v_mov_b32_e32 v146, 0
	s_and_not1_b32 s37, s37, exec_lo
	s_delay_alu instid0(VALU_DEP_2) | instskip(NEXT) | instid1(SALU_CYCLE_1)
	s_and_b32 vcc_lo, vcc_lo, exec_lo
	s_or_b32 s37, s37, vcc_lo
	s_or_b32 exec_lo, exec_lo, s14
	s_and_saveexec_b32 s14, s37
	s_cbranch_execnz .LBB2_427
	s_branch .LBB2_428
.LBB2_876:                              ;   in Loop: Header=BB2_394 Depth=4
	s_mov_b32 s14, -1
	s_mov_b32 s39, exec_lo
                                        ; implicit-def: $sgpr37
	v_cmpx_eq_u16_e64 0x80, v144
; %bb.877:                              ;   in Loop: Header=BB2_394 Depth=4
	s_mov_b32 s37, 0x7f800001
	s_xor_b32 s14, exec_lo, -1
; %bb.878:                              ;   in Loop: Header=BB2_394 Depth=4
	s_or_b32 exec_lo, exec_lo, s39
	s_delay_alu instid0(SALU_CYCLE_1)
	s_and_b32 s14, s14, exec_lo
	s_or_saveexec_b32 s38, s38
	v_mov_b32_e32 v147, s37
	s_xor_b32 exec_lo, exec_lo, s38
	s_cbranch_execz .LBB2_430
.LBB2_879:                              ;   in Loop: Header=BB2_394 Depth=4
	v_cmp_ne_u16_e64 vcc_lo, 0, v144
	v_mov_b32_e32 v147, 0
	s_and_not1_b32 s14, s14, exec_lo
	s_delay_alu instid0(VALU_DEP_2) | instskip(NEXT) | instid1(SALU_CYCLE_1)
	s_and_b32 vcc_lo, vcc_lo, exec_lo
	s_or_b32 s14, s14, vcc_lo
	s_or_b32 exec_lo, exec_lo, s38
	s_and_saveexec_b32 s37, s14
	s_cbranch_execnz .LBB2_431
	s_branch .LBB2_432
.LBB2_880:                              ;   in Loop: Header=BB2_394 Depth=4
	s_mov_b32 s14, -1
	s_mov_b32 s39, exec_lo
                                        ; implicit-def: $sgpr37
	v_cmpx_eq_u16_e64 0x80, v145
; %bb.881:                              ;   in Loop: Header=BB2_394 Depth=4
	s_mov_b32 s37, 0x7f800001
	s_xor_b32 s14, exec_lo, -1
; %bb.882:                              ;   in Loop: Header=BB2_394 Depth=4
	s_or_b32 exec_lo, exec_lo, s39
	s_delay_alu instid0(SALU_CYCLE_1)
	s_and_b32 s14, s14, exec_lo
	s_or_saveexec_b32 s38, s38
	v_mov_b32_e32 v146, s37
	s_xor_b32 exec_lo, exec_lo, s38
	s_cbranch_execz .LBB2_437
.LBB2_883:                              ;   in Loop: Header=BB2_394 Depth=4
	v_cmp_ne_u16_e64 vcc_lo, 0, v145
	v_mov_b32_e32 v146, 0
	s_and_not1_b32 s14, s14, exec_lo
	s_delay_alu instid0(VALU_DEP_2) | instskip(NEXT) | instid1(SALU_CYCLE_1)
	s_and_b32 vcc_lo, vcc_lo, exec_lo
	s_or_b32 s14, s14, vcc_lo
	s_or_b32 exec_lo, exec_lo, s38
	s_and_saveexec_b32 s37, s14
	s_cbranch_execnz .LBB2_438
	s_branch .LBB2_439
.LBB2_884:                              ;   in Loop: Header=BB2_394 Depth=4
	s_mov_b32 s14, -1
	s_mov_b32 s39, exec_lo
                                        ; implicit-def: $sgpr37
	v_cmpx_eq_u16_e64 0x80, v144
; %bb.885:                              ;   in Loop: Header=BB2_394 Depth=4
	s_mov_b32 s37, 0x7f800001
	s_xor_b32 s14, exec_lo, -1
; %bb.886:                              ;   in Loop: Header=BB2_394 Depth=4
	s_or_b32 exec_lo, exec_lo, s39
	s_delay_alu instid0(SALU_CYCLE_1)
	s_and_b32 s14, s14, exec_lo
	s_or_saveexec_b32 s38, s38
	v_mov_b32_e32 v145, s37
	s_xor_b32 exec_lo, exec_lo, s38
	s_cbranch_execz .LBB2_441
.LBB2_887:                              ;   in Loop: Header=BB2_394 Depth=4
	v_cmp_ne_u16_e64 vcc_lo, 0, v144
	v_mov_b32_e32 v145, 0
	s_and_not1_b32 s14, s14, exec_lo
	s_delay_alu instid0(VALU_DEP_2) | instskip(NEXT) | instid1(SALU_CYCLE_1)
	s_and_b32 vcc_lo, vcc_lo, exec_lo
	s_or_b32 s14, s14, vcc_lo
	s_or_b32 exec_lo, exec_lo, s38
	s_and_saveexec_b32 s37, s14
	s_cbranch_execnz .LBB2_442
	s_branch .LBB2_443
.LBB2_888:                              ;   in Loop: Header=BB2_394 Depth=4
	s_mov_b32 s37, -1
	s_mov_b32 s39, exec_lo
                                        ; implicit-def: $sgpr38
	v_cmpx_eq_u16_e64 0x80, v147
; %bb.889:                              ;   in Loop: Header=BB2_394 Depth=4
	s_mov_b32 s38, 0x7f800001
	s_xor_b32 s37, exec_lo, -1
; %bb.890:                              ;   in Loop: Header=BB2_394 Depth=4
	s_or_b32 exec_lo, exec_lo, s39
	s_delay_alu instid0(SALU_CYCLE_1)
	s_and_b32 s37, s37, exec_lo
	s_or_saveexec_b32 s14, s14
	v_mov_b32_e32 v148, s38
	s_xor_b32 exec_lo, exec_lo, s14
	s_cbranch_execz .LBB2_455
.LBB2_891:                              ;   in Loop: Header=BB2_394 Depth=4
	v_cmp_ne_u16_e64 vcc_lo, 0, v147
	v_mov_b32_e32 v148, 0
	s_and_not1_b32 s37, s37, exec_lo
	s_delay_alu instid0(VALU_DEP_2) | instskip(NEXT) | instid1(SALU_CYCLE_1)
	s_and_b32 vcc_lo, vcc_lo, exec_lo
	s_or_b32 s37, s37, vcc_lo
	s_or_b32 exec_lo, exec_lo, s14
	s_and_saveexec_b32 s14, s37
	s_cbranch_execnz .LBB2_456
	s_branch .LBB2_457
.LBB2_892:                              ;   in Loop: Header=BB2_394 Depth=4
	s_mov_b32 s14, -1
	s_mov_b32 s39, exec_lo
                                        ; implicit-def: $sgpr37
	v_cmpx_eq_u16_e64 0x80, v150
; %bb.893:                              ;   in Loop: Header=BB2_394 Depth=4
	s_mov_b32 s37, 0x7f800001
	s_xor_b32 s14, exec_lo, -1
; %bb.894:                              ;   in Loop: Header=BB2_394 Depth=4
	s_or_b32 exec_lo, exec_lo, s39
	s_delay_alu instid0(SALU_CYCLE_1)
	s_and_b32 s14, s14, exec_lo
                                        ; implicit-def: $vgpr150
	s_or_saveexec_b32 s38, s38
	v_mov_b32_e32 v149, s37
	s_xor_b32 exec_lo, exec_lo, s38
	s_cbranch_execz .LBB2_459
.LBB2_895:                              ;   in Loop: Header=BB2_394 Depth=4
	v_cmp_ne_u16_e64 vcc_lo, 0, v150
	v_mov_b32_e32 v149, 0
	s_and_not1_b32 s14, s14, exec_lo
	s_delay_alu instid0(VALU_DEP_2) | instskip(NEXT) | instid1(SALU_CYCLE_1)
	s_and_b32 vcc_lo, vcc_lo, exec_lo
	s_or_b32 s14, s14, vcc_lo
	s_or_b32 exec_lo, exec_lo, s38
	s_and_saveexec_b32 s37, s14
	s_cbranch_execnz .LBB2_460
	s_branch .LBB2_461
.LBB2_896:                              ;   in Loop: Header=BB2_394 Depth=4
	s_mov_b32 s14, -1
	s_mov_b32 s39, exec_lo
                                        ; implicit-def: $sgpr37
	v_cmpx_eq_u16_e64 0x80, v147
; %bb.897:                              ;   in Loop: Header=BB2_394 Depth=4
	s_mov_b32 s37, 0x7f800001
	s_xor_b32 s14, exec_lo, -1
; %bb.898:                              ;   in Loop: Header=BB2_394 Depth=4
	s_or_b32 exec_lo, exec_lo, s39
	s_delay_alu instid0(SALU_CYCLE_1)
	s_and_b32 s14, s14, exec_lo
                                        ; implicit-def: $vgpr147
	s_or_saveexec_b32 s38, s38
	v_mov_b32_e32 v148, s37
	s_xor_b32 exec_lo, exec_lo, s38
	s_cbranch_execz .LBB2_466
.LBB2_899:                              ;   in Loop: Header=BB2_394 Depth=4
	v_cmp_ne_u16_e64 vcc_lo, 0, v147
	v_mov_b32_e32 v148, 0
	s_and_not1_b32 s14, s14, exec_lo
	s_delay_alu instid0(VALU_DEP_2) | instskip(NEXT) | instid1(SALU_CYCLE_1)
	s_and_b32 vcc_lo, vcc_lo, exec_lo
	s_or_b32 s14, s14, vcc_lo
	s_or_b32 exec_lo, exec_lo, s38
	s_and_saveexec_b32 s37, s14
	s_cbranch_execnz .LBB2_467
	s_branch .LBB2_468
.LBB2_900:                              ;   in Loop: Header=BB2_394 Depth=4
	s_mov_b32 s14, -1
	s_mov_b32 s39, exec_lo
                                        ; implicit-def: $sgpr37
	v_cmpx_eq_u16_e64 0x80, v147
; %bb.901:                              ;   in Loop: Header=BB2_394 Depth=4
	s_mov_b32 s37, 0x7f800001
	s_xor_b32 s14, exec_lo, -1
; %bb.902:                              ;   in Loop: Header=BB2_394 Depth=4
	s_or_b32 exec_lo, exec_lo, s39
	s_delay_alu instid0(SALU_CYCLE_1)
	s_and_b32 s14, s14, exec_lo
                                        ; implicit-def: $vgpr147
	s_or_saveexec_b32 s38, s38
	v_mov_b32_e32 v146, s37
	s_xor_b32 exec_lo, exec_lo, s38
	s_cbranch_execz .LBB2_470
.LBB2_903:                              ;   in Loop: Header=BB2_394 Depth=4
	v_cmp_ne_u16_e64 vcc_lo, 0, v147
	v_mov_b32_e32 v146, 0
	s_and_not1_b32 s14, s14, exec_lo
	s_delay_alu instid0(VALU_DEP_2) | instskip(NEXT) | instid1(SALU_CYCLE_1)
	s_and_b32 vcc_lo, vcc_lo, exec_lo
	s_or_b32 s14, s14, vcc_lo
	s_or_b32 exec_lo, exec_lo, s38
	s_and_saveexec_b32 s37, s14
	s_cbranch_execnz .LBB2_471
	s_branch .LBB2_472
.LBB2_904:                              ;   in Loop: Header=BB2_394 Depth=4
	s_mov_b32 s37, -1
	s_mov_b32 s39, exec_lo
                                        ; implicit-def: $sgpr38
	v_cmpx_eq_u16_e64 0x80, v147
; %bb.905:                              ;   in Loop: Header=BB2_394 Depth=4
	s_mov_b32 s38, 0x7f800001
	s_xor_b32 s37, exec_lo, -1
; %bb.906:                              ;   in Loop: Header=BB2_394 Depth=4
	s_or_b32 exec_lo, exec_lo, s39
	s_delay_alu instid0(SALU_CYCLE_1)
	s_and_b32 s37, s37, exec_lo
	s_or_saveexec_b32 s14, s14
	v_mov_b32_e32 v148, s38
	s_xor_b32 exec_lo, exec_lo, s14
	s_cbranch_execz .LBB2_484
.LBB2_907:                              ;   in Loop: Header=BB2_394 Depth=4
	v_cmp_ne_u16_e64 vcc_lo, 0, v147
	v_mov_b32_e32 v148, 0
	s_and_not1_b32 s37, s37, exec_lo
	s_delay_alu instid0(VALU_DEP_2) | instskip(NEXT) | instid1(SALU_CYCLE_1)
	s_and_b32 vcc_lo, vcc_lo, exec_lo
	s_or_b32 s37, s37, vcc_lo
	s_or_b32 exec_lo, exec_lo, s14
	s_and_saveexec_b32 s14, s37
	s_cbranch_execnz .LBB2_485
	s_branch .LBB2_486
.LBB2_908:                              ;   in Loop: Header=BB2_394 Depth=4
	s_mov_b32 s14, -1
	s_mov_b32 s39, exec_lo
                                        ; implicit-def: $sgpr37
	v_cmpx_eq_u16_e64 0x80, v146
; %bb.909:                              ;   in Loop: Header=BB2_394 Depth=4
	s_mov_b32 s37, 0x7f800001
	s_xor_b32 s14, exec_lo, -1
; %bb.910:                              ;   in Loop: Header=BB2_394 Depth=4
	s_or_b32 exec_lo, exec_lo, s39
	s_delay_alu instid0(SALU_CYCLE_1)
	s_and_b32 s14, s14, exec_lo
	s_or_saveexec_b32 s38, s38
	v_mov_b32_e32 v149, s37
	s_xor_b32 exec_lo, exec_lo, s38
	s_cbranch_execz .LBB2_488
.LBB2_911:                              ;   in Loop: Header=BB2_394 Depth=4
	v_cmp_ne_u16_e64 vcc_lo, 0, v146
	v_mov_b32_e32 v149, 0
	s_and_not1_b32 s14, s14, exec_lo
	s_delay_alu instid0(VALU_DEP_2) | instskip(NEXT) | instid1(SALU_CYCLE_1)
	s_and_b32 vcc_lo, vcc_lo, exec_lo
	s_or_b32 s14, s14, vcc_lo
	s_or_b32 exec_lo, exec_lo, s38
	s_and_saveexec_b32 s37, s14
	s_cbranch_execnz .LBB2_489
	s_branch .LBB2_490
.LBB2_912:                              ;   in Loop: Header=BB2_394 Depth=4
	s_mov_b32 s14, -1
	s_mov_b32 s39, exec_lo
                                        ; implicit-def: $sgpr37
	v_cmpx_eq_u16_e64 0x80, v147
; %bb.913:                              ;   in Loop: Header=BB2_394 Depth=4
	s_mov_b32 s37, 0x7f800001
	s_xor_b32 s14, exec_lo, -1
; %bb.914:                              ;   in Loop: Header=BB2_394 Depth=4
	s_or_b32 exec_lo, exec_lo, s39
	s_delay_alu instid0(SALU_CYCLE_1)
	s_and_b32 s14, s14, exec_lo
	s_or_saveexec_b32 s38, s38
	v_mov_b32_e32 v148, s37
	s_xor_b32 exec_lo, exec_lo, s38
	s_cbranch_execz .LBB2_495
.LBB2_915:                              ;   in Loop: Header=BB2_394 Depth=4
	v_cmp_ne_u16_e64 vcc_lo, 0, v147
	v_mov_b32_e32 v148, 0
	s_and_not1_b32 s14, s14, exec_lo
	s_delay_alu instid0(VALU_DEP_2) | instskip(NEXT) | instid1(SALU_CYCLE_1)
	s_and_b32 vcc_lo, vcc_lo, exec_lo
	s_or_b32 s14, s14, vcc_lo
	s_or_b32 exec_lo, exec_lo, s38
	s_and_saveexec_b32 s37, s14
	s_cbranch_execnz .LBB2_496
	s_branch .LBB2_497
.LBB2_916:                              ;   in Loop: Header=BB2_394 Depth=4
	s_mov_b32 s14, -1
	s_mov_b32 s39, exec_lo
                                        ; implicit-def: $sgpr37
	v_cmpx_eq_u16_e64 0x80, v146
; %bb.917:                              ;   in Loop: Header=BB2_394 Depth=4
	s_mov_b32 s37, 0x7f800001
	s_xor_b32 s14, exec_lo, -1
; %bb.918:                              ;   in Loop: Header=BB2_394 Depth=4
	s_or_b32 exec_lo, exec_lo, s39
	s_delay_alu instid0(SALU_CYCLE_1)
	s_and_b32 s14, s14, exec_lo
	s_or_saveexec_b32 s38, s38
	v_mov_b32_e32 v12, s37
	s_xor_b32 exec_lo, exec_lo, s38
	s_cbranch_execz .LBB2_499
.LBB2_919:                              ;   in Loop: Header=BB2_394 Depth=4
	v_cmp_ne_u16_e64 vcc_lo, 0, v146
	v_mov_b32_e32 v12, 0
	s_and_not1_b32 s14, s14, exec_lo
	s_delay_alu instid0(VALU_DEP_2) | instskip(NEXT) | instid1(SALU_CYCLE_1)
	s_and_b32 vcc_lo, vcc_lo, exec_lo
	s_or_b32 s14, s14, vcc_lo
	s_or_b32 exec_lo, exec_lo, s38
	s_and_saveexec_b32 s37, s14
	s_cbranch_execnz .LBB2_500
	s_branch .LBB2_501
.LBB2_920:                              ;   in Loop: Header=BB2_394 Depth=4
	s_mov_b32 s37, -1
	s_mov_b32 s39, exec_lo
                                        ; implicit-def: $sgpr38
	v_cmpx_eq_u16_e32 0x80, v12
; %bb.921:                              ;   in Loop: Header=BB2_394 Depth=4
	s_mov_b32 s38, 0x7f800001
	s_xor_b32 s37, exec_lo, -1
; %bb.922:                              ;   in Loop: Header=BB2_394 Depth=4
	s_or_b32 exec_lo, exec_lo, s39
	s_delay_alu instid0(SALU_CYCLE_1)
	s_and_b32 s37, s37, exec_lo
	s_or_saveexec_b32 s14, s14
	v_mov_b32_e32 v146, s38
	s_xor_b32 exec_lo, exec_lo, s14
	s_cbranch_execz .LBB2_513
.LBB2_923:                              ;   in Loop: Header=BB2_394 Depth=4
	v_cmp_ne_u16_e32 vcc_lo, 0, v12
	v_mov_b32_e32 v146, 0
	s_and_not1_b32 s37, s37, exec_lo
	s_and_b32 vcc_lo, vcc_lo, exec_lo
	s_delay_alu instid0(SALU_CYCLE_1)
	s_or_b32 s37, s37, vcc_lo
	s_or_b32 exec_lo, exec_lo, s14
	s_and_saveexec_b32 s14, s37
	s_cbranch_execnz .LBB2_514
	s_branch .LBB2_515
.LBB2_924:                              ;   in Loop: Header=BB2_394 Depth=4
	s_mov_b32 s14, -1
	s_mov_b32 s39, exec_lo
                                        ; implicit-def: $sgpr37
	v_cmpx_eq_u16_e64 0x80, v148
; %bb.925:                              ;   in Loop: Header=BB2_394 Depth=4
	s_mov_b32 s37, 0x7f800001
	s_xor_b32 s14, exec_lo, -1
; %bb.926:                              ;   in Loop: Header=BB2_394 Depth=4
	s_or_b32 exec_lo, exec_lo, s39
	s_delay_alu instid0(SALU_CYCLE_1)
	s_and_b32 s14, s14, exec_lo
                                        ; implicit-def: $vgpr148
	s_or_saveexec_b32 s38, s38
	v_mov_b32_e32 v147, s37
	s_xor_b32 exec_lo, exec_lo, s38
	s_cbranch_execz .LBB2_517
.LBB2_927:                              ;   in Loop: Header=BB2_394 Depth=4
	v_cmp_ne_u16_e64 vcc_lo, 0, v148
	v_mov_b32_e32 v147, 0
	s_and_not1_b32 s14, s14, exec_lo
	s_delay_alu instid0(VALU_DEP_2) | instskip(NEXT) | instid1(SALU_CYCLE_1)
	s_and_b32 vcc_lo, vcc_lo, exec_lo
	s_or_b32 s14, s14, vcc_lo
	s_or_b32 exec_lo, exec_lo, s38
	s_and_saveexec_b32 s37, s14
	s_cbranch_execnz .LBB2_518
	s_branch .LBB2_519
.LBB2_928:                              ;   in Loop: Header=BB2_394 Depth=4
	s_mov_b32 s14, -1
	s_mov_b32 s39, exec_lo
                                        ; implicit-def: $sgpr37
	v_cmpx_eq_u16_e32 0x80, v12
; %bb.929:                              ;   in Loop: Header=BB2_394 Depth=4
	s_mov_b32 s37, 0x7f800001
	s_xor_b32 s14, exec_lo, -1
; %bb.930:                              ;   in Loop: Header=BB2_394 Depth=4
	s_or_b32 exec_lo, exec_lo, s39
	s_delay_alu instid0(SALU_CYCLE_1)
	s_and_b32 s14, s14, exec_lo
                                        ; implicit-def: $vgpr12
	s_or_saveexec_b32 s38, s38
	v_mov_b32_e32 v146, s37
	s_xor_b32 exec_lo, exec_lo, s38
	s_cbranch_execz .LBB2_524
.LBB2_931:                              ;   in Loop: Header=BB2_394 Depth=4
	v_cmp_ne_u16_e32 vcc_lo, 0, v12
	v_mov_b32_e32 v146, 0
	s_and_not1_b32 s14, s14, exec_lo
	s_and_b32 vcc_lo, vcc_lo, exec_lo
	s_delay_alu instid0(SALU_CYCLE_1)
	s_or_b32 s14, s14, vcc_lo
	s_or_b32 exec_lo, exec_lo, s38
	s_and_saveexec_b32 s37, s14
	s_cbranch_execnz .LBB2_525
	s_branch .LBB2_526
.LBB2_932:                              ;   in Loop: Header=BB2_394 Depth=4
	s_mov_b32 s14, -1
	s_mov_b32 s39, exec_lo
                                        ; implicit-def: $sgpr37
	v_cmpx_eq_u16_e64 0x80, v147
; %bb.933:                              ;   in Loop: Header=BB2_394 Depth=4
	s_mov_b32 s37, 0x7f800001
	s_xor_b32 s14, exec_lo, -1
; %bb.934:                              ;   in Loop: Header=BB2_394 Depth=4
	s_or_b32 exec_lo, exec_lo, s39
	s_delay_alu instid0(SALU_CYCLE_1)
	s_and_b32 s14, s14, exec_lo
                                        ; implicit-def: $vgpr147
	s_or_saveexec_b32 s38, s38
	v_mov_b32_e32 v12, s37
	s_xor_b32 exec_lo, exec_lo, s38
	s_cbranch_execz .LBB2_528
.LBB2_935:                              ;   in Loop: Header=BB2_394 Depth=4
	v_cmp_ne_u16_e64 vcc_lo, 0, v147
	v_mov_b32_e32 v12, 0
	s_and_not1_b32 s14, s14, exec_lo
	s_delay_alu instid0(VALU_DEP_2) | instskip(NEXT) | instid1(SALU_CYCLE_1)
	s_and_b32 vcc_lo, vcc_lo, exec_lo
	s_or_b32 s14, s14, vcc_lo
	s_or_b32 exec_lo, exec_lo, s38
	s_and_saveexec_b32 s37, s14
	s_cbranch_execnz .LBB2_529
	s_branch .LBB2_530
.LBB2_936:                              ;   in Loop: Header=BB2_394 Depth=4
	s_mov_b32 s37, -1
	s_mov_b32 s39, exec_lo
                                        ; implicit-def: $sgpr38
	v_cmpx_eq_u16_e64 0x80, v147
; %bb.937:                              ;   in Loop: Header=BB2_394 Depth=4
	s_mov_b32 s38, 0x7f800001
	s_xor_b32 s37, exec_lo, -1
; %bb.938:                              ;   in Loop: Header=BB2_394 Depth=4
	s_or_b32 exec_lo, exec_lo, s39
	s_delay_alu instid0(SALU_CYCLE_1)
	s_and_b32 s37, s37, exec_lo
	s_or_saveexec_b32 s14, s14
	v_mov_b32_e32 v148, s38
	s_xor_b32 exec_lo, exec_lo, s14
	s_cbranch_execz .LBB2_542
.LBB2_939:                              ;   in Loop: Header=BB2_394 Depth=4
	v_cmp_ne_u16_e64 vcc_lo, 0, v147
	v_mov_b32_e32 v148, 0
	s_and_not1_b32 s37, s37, exec_lo
	s_delay_alu instid0(VALU_DEP_2) | instskip(NEXT) | instid1(SALU_CYCLE_1)
	s_and_b32 vcc_lo, vcc_lo, exec_lo
	s_or_b32 s37, s37, vcc_lo
	s_or_b32 exec_lo, exec_lo, s14
	s_and_saveexec_b32 s14, s37
	s_cbranch_execnz .LBB2_543
	s_branch .LBB2_544
.LBB2_940:                              ;   in Loop: Header=BB2_394 Depth=4
	s_mov_b32 s14, -1
	s_mov_b32 s39, exec_lo
                                        ; implicit-def: $sgpr37
	v_cmpx_eq_u16_e64 0x80, v146
; %bb.941:                              ;   in Loop: Header=BB2_394 Depth=4
	s_mov_b32 s37, 0x7f800001
	s_xor_b32 s14, exec_lo, -1
; %bb.942:                              ;   in Loop: Header=BB2_394 Depth=4
	s_or_b32 exec_lo, exec_lo, s39
	s_delay_alu instid0(SALU_CYCLE_1)
	s_and_b32 s14, s14, exec_lo
	s_or_saveexec_b32 s38, s38
	v_mov_b32_e32 v149, s37
	s_xor_b32 exec_lo, exec_lo, s38
	s_cbranch_execz .LBB2_546
.LBB2_943:                              ;   in Loop: Header=BB2_394 Depth=4
	v_cmp_ne_u16_e64 vcc_lo, 0, v146
	v_mov_b32_e32 v149, 0
	s_and_not1_b32 s14, s14, exec_lo
	s_delay_alu instid0(VALU_DEP_2) | instskip(NEXT) | instid1(SALU_CYCLE_1)
	s_and_b32 vcc_lo, vcc_lo, exec_lo
	s_or_b32 s14, s14, vcc_lo
	s_or_b32 exec_lo, exec_lo, s38
	s_and_saveexec_b32 s37, s14
	s_cbranch_execnz .LBB2_547
	s_branch .LBB2_548
.LBB2_944:                              ;   in Loop: Header=BB2_394 Depth=4
	s_mov_b32 s14, -1
	s_mov_b32 s39, exec_lo
                                        ; implicit-def: $sgpr37
	v_cmpx_eq_u16_e64 0x80, v147
; %bb.945:                              ;   in Loop: Header=BB2_394 Depth=4
	s_mov_b32 s37, 0x7f800001
	s_xor_b32 s14, exec_lo, -1
; %bb.946:                              ;   in Loop: Header=BB2_394 Depth=4
	s_or_b32 exec_lo, exec_lo, s39
	s_delay_alu instid0(SALU_CYCLE_1)
	s_and_b32 s14, s14, exec_lo
	s_or_saveexec_b32 s38, s38
	v_mov_b32_e32 v148, s37
	s_xor_b32 exec_lo, exec_lo, s38
	s_cbranch_execz .LBB2_553
.LBB2_947:                              ;   in Loop: Header=BB2_394 Depth=4
	v_cmp_ne_u16_e64 vcc_lo, 0, v147
	v_mov_b32_e32 v148, 0
	s_and_not1_b32 s14, s14, exec_lo
	s_delay_alu instid0(VALU_DEP_2) | instskip(NEXT) | instid1(SALU_CYCLE_1)
	s_and_b32 vcc_lo, vcc_lo, exec_lo
	s_or_b32 s14, s14, vcc_lo
	s_or_b32 exec_lo, exec_lo, s38
	s_and_saveexec_b32 s37, s14
	s_cbranch_execnz .LBB2_554
	s_branch .LBB2_555
.LBB2_948:                              ;   in Loop: Header=BB2_394 Depth=4
	s_mov_b32 s14, -1
	s_mov_b32 s39, exec_lo
                                        ; implicit-def: $sgpr37
	v_cmpx_eq_u16_e64 0x80, v146
; %bb.949:                              ;   in Loop: Header=BB2_394 Depth=4
	s_mov_b32 s37, 0x7f800001
	s_xor_b32 s14, exec_lo, -1
; %bb.950:                              ;   in Loop: Header=BB2_394 Depth=4
	s_or_b32 exec_lo, exec_lo, s39
	s_delay_alu instid0(SALU_CYCLE_1)
	s_and_b32 s14, s14, exec_lo
	s_or_saveexec_b32 s38, s38
	v_mov_b32_e32 v147, s37
	s_xor_b32 exec_lo, exec_lo, s38
	s_cbranch_execz .LBB2_557
.LBB2_951:                              ;   in Loop: Header=BB2_394 Depth=4
	v_cmp_ne_u16_e64 vcc_lo, 0, v146
	v_mov_b32_e32 v147, 0
	s_and_not1_b32 s14, s14, exec_lo
	s_delay_alu instid0(VALU_DEP_2) | instskip(NEXT) | instid1(SALU_CYCLE_1)
	s_and_b32 vcc_lo, vcc_lo, exec_lo
	s_or_b32 s14, s14, vcc_lo
	s_or_b32 exec_lo, exec_lo, s38
	s_and_saveexec_b32 s37, s14
	s_cbranch_execnz .LBB2_558
	s_branch .LBB2_559
.LBB2_952:                              ;   in Loop: Header=BB2_394 Depth=4
	s_mov_b32 s37, -1
	s_mov_b32 s39, exec_lo
                                        ; implicit-def: $sgpr38
	v_cmpx_eq_u16_e64 0x80, v149
; %bb.953:                              ;   in Loop: Header=BB2_394 Depth=4
	s_mov_b32 s38, 0x7f800001
	s_xor_b32 s37, exec_lo, -1
; %bb.954:                              ;   in Loop: Header=BB2_394 Depth=4
	s_or_b32 exec_lo, exec_lo, s39
	s_delay_alu instid0(SALU_CYCLE_1)
	s_and_b32 s37, s37, exec_lo
	s_or_saveexec_b32 s14, s14
	v_mov_b32_e32 v150, s38
	s_xor_b32 exec_lo, exec_lo, s14
	s_cbranch_execz .LBB2_571
.LBB2_955:                              ;   in Loop: Header=BB2_394 Depth=4
	v_cmp_ne_u16_e64 vcc_lo, 0, v149
	v_mov_b32_e32 v150, 0
	s_and_not1_b32 s37, s37, exec_lo
	s_delay_alu instid0(VALU_DEP_2) | instskip(NEXT) | instid1(SALU_CYCLE_1)
	s_and_b32 vcc_lo, vcc_lo, exec_lo
	s_or_b32 s37, s37, vcc_lo
	s_or_b32 exec_lo, exec_lo, s14
	s_and_saveexec_b32 s14, s37
	s_cbranch_execnz .LBB2_572
	s_branch .LBB2_573
.LBB2_956:                              ;   in Loop: Header=BB2_394 Depth=4
	s_mov_b32 s14, -1
	s_mov_b32 s39, exec_lo
                                        ; implicit-def: $sgpr37
	v_cmpx_eq_u16_e64 0x80, v160
; %bb.957:                              ;   in Loop: Header=BB2_394 Depth=4
	s_mov_b32 s37, 0x7f800001
	s_xor_b32 s14, exec_lo, -1
; %bb.958:                              ;   in Loop: Header=BB2_394 Depth=4
	s_or_b32 exec_lo, exec_lo, s39
	s_delay_alu instid0(SALU_CYCLE_1)
	s_and_b32 s14, s14, exec_lo
                                        ; implicit-def: $vgpr160
	s_or_saveexec_b32 s38, s38
	v_mov_b32_e32 v151, s37
	s_xor_b32 exec_lo, exec_lo, s38
	s_cbranch_execz .LBB2_575
.LBB2_959:                              ;   in Loop: Header=BB2_394 Depth=4
	v_cmp_ne_u16_e64 vcc_lo, 0, v160
	v_mov_b32_e32 v151, 0
	s_and_not1_b32 s14, s14, exec_lo
	s_delay_alu instid0(VALU_DEP_2) | instskip(NEXT) | instid1(SALU_CYCLE_1)
	s_and_b32 vcc_lo, vcc_lo, exec_lo
	s_or_b32 s14, s14, vcc_lo
	s_or_b32 exec_lo, exec_lo, s38
	s_and_saveexec_b32 s37, s14
	s_cbranch_execnz .LBB2_576
	s_branch .LBB2_577
.LBB2_960:                              ;   in Loop: Header=BB2_394 Depth=4
	s_mov_b32 s14, -1
	s_mov_b32 s39, exec_lo
                                        ; implicit-def: $sgpr37
	v_cmpx_eq_u16_e64 0x80, v149
; %bb.961:                              ;   in Loop: Header=BB2_394 Depth=4
	s_mov_b32 s37, 0x7f800001
	s_xor_b32 s14, exec_lo, -1
; %bb.962:                              ;   in Loop: Header=BB2_394 Depth=4
	s_or_b32 exec_lo, exec_lo, s39
	s_delay_alu instid0(SALU_CYCLE_1)
	s_and_b32 s14, s14, exec_lo
                                        ; implicit-def: $vgpr149
	s_or_saveexec_b32 s38, s38
	v_mov_b32_e32 v150, s37
	s_xor_b32 exec_lo, exec_lo, s38
	s_cbranch_execz .LBB2_582
.LBB2_963:                              ;   in Loop: Header=BB2_394 Depth=4
	v_cmp_ne_u16_e64 vcc_lo, 0, v149
	v_mov_b32_e32 v150, 0
	s_and_not1_b32 s14, s14, exec_lo
	s_delay_alu instid0(VALU_DEP_2) | instskip(NEXT) | instid1(SALU_CYCLE_1)
	s_and_b32 vcc_lo, vcc_lo, exec_lo
	s_or_b32 s14, s14, vcc_lo
	s_or_b32 exec_lo, exec_lo, s38
	s_and_saveexec_b32 s37, s14
	s_cbranch_execnz .LBB2_583
	s_branch .LBB2_584
.LBB2_964:                              ;   in Loop: Header=BB2_394 Depth=4
	s_mov_b32 s14, -1
	s_mov_b32 s39, exec_lo
                                        ; implicit-def: $sgpr37
	v_cmpx_eq_u16_e64 0x80, v149
; %bb.965:                              ;   in Loop: Header=BB2_394 Depth=4
	s_mov_b32 s37, 0x7f800001
	s_xor_b32 s14, exec_lo, -1
; %bb.966:                              ;   in Loop: Header=BB2_394 Depth=4
	s_or_b32 exec_lo, exec_lo, s39
	s_delay_alu instid0(SALU_CYCLE_1)
	s_and_b32 s14, s14, exec_lo
                                        ; implicit-def: $vgpr149
	s_or_saveexec_b32 s38, s38
	v_mov_b32_e32 v148, s37
	s_xor_b32 exec_lo, exec_lo, s38
	s_cbranch_execz .LBB2_586
.LBB2_967:                              ;   in Loop: Header=BB2_394 Depth=4
	v_cmp_ne_u16_e64 vcc_lo, 0, v149
	v_mov_b32_e32 v148, 0
	s_and_not1_b32 s14, s14, exec_lo
	s_delay_alu instid0(VALU_DEP_2) | instskip(NEXT) | instid1(SALU_CYCLE_1)
	s_and_b32 vcc_lo, vcc_lo, exec_lo
	s_or_b32 s14, s14, vcc_lo
	s_or_b32 exec_lo, exec_lo, s38
	s_and_saveexec_b32 s37, s14
	s_cbranch_execnz .LBB2_587
	s_branch .LBB2_588
.LBB2_968:                              ;   in Loop: Header=BB2_394 Depth=4
	s_mov_b32 s37, -1
	s_mov_b32 s39, exec_lo
                                        ; implicit-def: $sgpr38
	v_cmpx_eq_u16_e64 0x80, v149
; %bb.969:                              ;   in Loop: Header=BB2_394 Depth=4
	s_mov_b32 s38, 0x7f800001
	s_xor_b32 s37, exec_lo, -1
; %bb.970:                              ;   in Loop: Header=BB2_394 Depth=4
	s_or_b32 exec_lo, exec_lo, s39
	s_delay_alu instid0(SALU_CYCLE_1)
	s_and_b32 s37, s37, exec_lo
	s_or_saveexec_b32 s14, s14
	v_mov_b32_e32 v150, s38
	s_xor_b32 exec_lo, exec_lo, s14
	s_cbranch_execz .LBB2_600
.LBB2_971:                              ;   in Loop: Header=BB2_394 Depth=4
	v_cmp_ne_u16_e64 vcc_lo, 0, v149
	v_mov_b32_e32 v150, 0
	s_and_not1_b32 s37, s37, exec_lo
	s_delay_alu instid0(VALU_DEP_2) | instskip(NEXT) | instid1(SALU_CYCLE_1)
	s_and_b32 vcc_lo, vcc_lo, exec_lo
	s_or_b32 s37, s37, vcc_lo
	s_or_b32 exec_lo, exec_lo, s14
	s_and_saveexec_b32 s14, s37
	s_cbranch_execnz .LBB2_601
	s_branch .LBB2_602
.LBB2_972:                              ;   in Loop: Header=BB2_394 Depth=4
	s_mov_b32 s14, -1
	s_mov_b32 s39, exec_lo
                                        ; implicit-def: $sgpr37
	v_cmpx_eq_u16_e64 0x80, v148
; %bb.973:                              ;   in Loop: Header=BB2_394 Depth=4
	s_mov_b32 s37, 0x7f800001
	s_xor_b32 s14, exec_lo, -1
; %bb.974:                              ;   in Loop: Header=BB2_394 Depth=4
	s_or_b32 exec_lo, exec_lo, s39
	s_delay_alu instid0(SALU_CYCLE_1)
	s_and_b32 s14, s14, exec_lo
	s_or_saveexec_b32 s38, s38
	v_mov_b32_e32 v151, s37
	s_xor_b32 exec_lo, exec_lo, s38
	s_cbranch_execz .LBB2_604
.LBB2_975:                              ;   in Loop: Header=BB2_394 Depth=4
	v_cmp_ne_u16_e64 vcc_lo, 0, v148
	v_mov_b32_e32 v151, 0
	s_and_not1_b32 s14, s14, exec_lo
	s_delay_alu instid0(VALU_DEP_2) | instskip(NEXT) | instid1(SALU_CYCLE_1)
	s_and_b32 vcc_lo, vcc_lo, exec_lo
	s_or_b32 s14, s14, vcc_lo
	s_or_b32 exec_lo, exec_lo, s38
	s_and_saveexec_b32 s37, s14
	s_cbranch_execnz .LBB2_605
	s_branch .LBB2_606
.LBB2_976:                              ;   in Loop: Header=BB2_394 Depth=4
	s_mov_b32 s14, -1
	s_mov_b32 s39, exec_lo
                                        ; implicit-def: $sgpr37
	v_cmpx_eq_u16_e64 0x80, v149
; %bb.977:                              ;   in Loop: Header=BB2_394 Depth=4
	s_mov_b32 s37, 0x7f800001
	s_xor_b32 s14, exec_lo, -1
; %bb.978:                              ;   in Loop: Header=BB2_394 Depth=4
	s_or_b32 exec_lo, exec_lo, s39
	s_delay_alu instid0(SALU_CYCLE_1)
	s_and_b32 s14, s14, exec_lo
	s_or_saveexec_b32 s38, s38
	v_mov_b32_e32 v150, s37
	s_xor_b32 exec_lo, exec_lo, s38
	s_cbranch_execz .LBB2_611
.LBB2_979:                              ;   in Loop: Header=BB2_394 Depth=4
	v_cmp_ne_u16_e64 vcc_lo, 0, v149
	v_mov_b32_e32 v150, 0
	s_and_not1_b32 s14, s14, exec_lo
	s_delay_alu instid0(VALU_DEP_2) | instskip(NEXT) | instid1(SALU_CYCLE_1)
	s_and_b32 vcc_lo, vcc_lo, exec_lo
	s_or_b32 s14, s14, vcc_lo
	s_or_b32 exec_lo, exec_lo, s38
	s_and_saveexec_b32 s37, s14
	s_cbranch_execnz .LBB2_612
	s_branch .LBB2_613
.LBB2_980:                              ;   in Loop: Header=BB2_394 Depth=4
	s_mov_b32 s14, -1
	s_mov_b32 s39, exec_lo
                                        ; implicit-def: $sgpr37
	v_cmpx_eq_u16_e64 0x80, v148
; %bb.981:                              ;   in Loop: Header=BB2_394 Depth=4
	s_mov_b32 s37, 0x7f800001
	s_xor_b32 s14, exec_lo, -1
; %bb.982:                              ;   in Loop: Header=BB2_394 Depth=4
	s_or_b32 exec_lo, exec_lo, s39
	s_delay_alu instid0(SALU_CYCLE_1)
	s_and_b32 s14, s14, exec_lo
	s_or_saveexec_b32 s38, s38
	v_mov_b32_e32 v13, s37
	s_xor_b32 exec_lo, exec_lo, s38
	s_cbranch_execz .LBB2_615
.LBB2_983:                              ;   in Loop: Header=BB2_394 Depth=4
	v_cmp_ne_u16_e64 vcc_lo, 0, v148
	v_mov_b32_e32 v13, 0
	s_and_not1_b32 s14, s14, exec_lo
	s_delay_alu instid0(VALU_DEP_2) | instskip(NEXT) | instid1(SALU_CYCLE_1)
	s_and_b32 vcc_lo, vcc_lo, exec_lo
	s_or_b32 s14, s14, vcc_lo
	s_or_b32 exec_lo, exec_lo, s38
	s_and_saveexec_b32 s37, s14
	s_cbranch_execnz .LBB2_616
	s_branch .LBB2_617
.LBB2_984:                              ;   in Loop: Header=BB2_394 Depth=4
	s_mov_b32 s37, -1
	s_mov_b32 s39, exec_lo
                                        ; implicit-def: $sgpr38
	v_cmpx_eq_u16_e32 0x80, v13
; %bb.985:                              ;   in Loop: Header=BB2_394 Depth=4
	s_mov_b32 s38, 0x7f800001
	s_xor_b32 s37, exec_lo, -1
; %bb.986:                              ;   in Loop: Header=BB2_394 Depth=4
	s_or_b32 exec_lo, exec_lo, s39
	s_delay_alu instid0(SALU_CYCLE_1)
	s_and_b32 s37, s37, exec_lo
	s_or_saveexec_b32 s14, s14
	v_mov_b32_e32 v148, s38
	s_xor_b32 exec_lo, exec_lo, s14
	s_cbranch_execz .LBB2_629
.LBB2_987:                              ;   in Loop: Header=BB2_394 Depth=4
	v_cmp_ne_u16_e32 vcc_lo, 0, v13
	v_mov_b32_e32 v148, 0
	s_and_not1_b32 s37, s37, exec_lo
	s_and_b32 vcc_lo, vcc_lo, exec_lo
	s_delay_alu instid0(SALU_CYCLE_1)
	s_or_b32 s37, s37, vcc_lo
	s_or_b32 exec_lo, exec_lo, s14
	s_and_saveexec_b32 s14, s37
	s_cbranch_execnz .LBB2_630
	s_branch .LBB2_631
.LBB2_988:                              ;   in Loop: Header=BB2_394 Depth=4
	s_mov_b32 s14, -1
	s_mov_b32 s39, exec_lo
                                        ; implicit-def: $sgpr37
	v_cmpx_eq_u16_e64 0x80, v150
; %bb.989:                              ;   in Loop: Header=BB2_394 Depth=4
	s_mov_b32 s37, 0x7f800001
	s_xor_b32 s14, exec_lo, -1
; %bb.990:                              ;   in Loop: Header=BB2_394 Depth=4
	s_or_b32 exec_lo, exec_lo, s39
	s_delay_alu instid0(SALU_CYCLE_1)
	s_and_b32 s14, s14, exec_lo
                                        ; implicit-def: $vgpr150
	s_or_saveexec_b32 s38, s38
	v_mov_b32_e32 v149, s37
	s_xor_b32 exec_lo, exec_lo, s38
	s_cbranch_execz .LBB2_633
.LBB2_991:                              ;   in Loop: Header=BB2_394 Depth=4
	v_cmp_ne_u16_e64 vcc_lo, 0, v150
	v_mov_b32_e32 v149, 0
	s_and_not1_b32 s14, s14, exec_lo
	s_delay_alu instid0(VALU_DEP_2) | instskip(NEXT) | instid1(SALU_CYCLE_1)
	s_and_b32 vcc_lo, vcc_lo, exec_lo
	s_or_b32 s14, s14, vcc_lo
	s_or_b32 exec_lo, exec_lo, s38
	s_and_saveexec_b32 s37, s14
	s_cbranch_execnz .LBB2_634
	s_branch .LBB2_635
.LBB2_992:                              ;   in Loop: Header=BB2_394 Depth=4
	s_mov_b32 s14, -1
	s_mov_b32 s39, exec_lo
                                        ; implicit-def: $sgpr37
	v_cmpx_eq_u16_e32 0x80, v13
; %bb.993:                              ;   in Loop: Header=BB2_394 Depth=4
	s_mov_b32 s37, 0x7f800001
	s_xor_b32 s14, exec_lo, -1
; %bb.994:                              ;   in Loop: Header=BB2_394 Depth=4
	s_or_b32 exec_lo, exec_lo, s39
	s_delay_alu instid0(SALU_CYCLE_1)
	s_and_b32 s14, s14, exec_lo
                                        ; implicit-def: $vgpr13
	s_or_saveexec_b32 s38, s38
	v_mov_b32_e32 v148, s37
	s_xor_b32 exec_lo, exec_lo, s38
	s_cbranch_execz .LBB2_640
.LBB2_995:                              ;   in Loop: Header=BB2_394 Depth=4
	v_cmp_ne_u16_e32 vcc_lo, 0, v13
	v_mov_b32_e32 v148, 0
	s_and_not1_b32 s14, s14, exec_lo
	s_and_b32 vcc_lo, vcc_lo, exec_lo
	s_delay_alu instid0(SALU_CYCLE_1)
	s_or_b32 s14, s14, vcc_lo
	s_or_b32 exec_lo, exec_lo, s38
	s_and_saveexec_b32 s37, s14
	s_cbranch_execnz .LBB2_641
	s_branch .LBB2_642
.LBB2_996:                              ;   in Loop: Header=BB2_394 Depth=4
	s_mov_b32 s14, -1
	s_mov_b32 s39, exec_lo
                                        ; implicit-def: $sgpr37
	v_cmpx_eq_u16_e64 0x80, v149
; %bb.997:                              ;   in Loop: Header=BB2_394 Depth=4
	s_mov_b32 s37, 0x7f800001
	s_xor_b32 s14, exec_lo, -1
; %bb.998:                              ;   in Loop: Header=BB2_394 Depth=4
	s_or_b32 exec_lo, exec_lo, s39
	s_delay_alu instid0(SALU_CYCLE_1)
	s_and_b32 s14, s14, exec_lo
                                        ; implicit-def: $vgpr149
	s_or_saveexec_b32 s38, s38
	v_mov_b32_e32 v13, s37
	s_xor_b32 exec_lo, exec_lo, s38
	s_cbranch_execz .LBB2_644
.LBB2_999:                              ;   in Loop: Header=BB2_394 Depth=4
	v_cmp_ne_u16_e64 vcc_lo, 0, v149
	v_mov_b32_e32 v13, 0
	s_and_not1_b32 s14, s14, exec_lo
	s_delay_alu instid0(VALU_DEP_2) | instskip(NEXT) | instid1(SALU_CYCLE_1)
	s_and_b32 vcc_lo, vcc_lo, exec_lo
	s_or_b32 s14, s14, vcc_lo
	s_or_b32 exec_lo, exec_lo, s38
	s_and_saveexec_b32 s37, s14
	s_cbranch_execnz .LBB2_645
	s_branch .LBB2_646
.LBB2_1000:                             ;   in Loop: Header=BB2_394 Depth=4
	s_mov_b32 s37, -1
	s_mov_b32 s39, exec_lo
                                        ; implicit-def: $sgpr38
	v_cmpx_eq_u16_e64 0x80, v149
; %bb.1001:                             ;   in Loop: Header=BB2_394 Depth=4
	s_mov_b32 s38, 0x7f800001
	s_xor_b32 s37, exec_lo, -1
; %bb.1002:                             ;   in Loop: Header=BB2_394 Depth=4
	s_or_b32 exec_lo, exec_lo, s39
	s_delay_alu instid0(SALU_CYCLE_1)
	s_and_b32 s37, s37, exec_lo
	s_or_saveexec_b32 s14, s14
	v_mov_b32_e32 v150, s38
	s_xor_b32 exec_lo, exec_lo, s14
	s_cbranch_execz .LBB2_658
.LBB2_1003:                             ;   in Loop: Header=BB2_394 Depth=4
	v_cmp_ne_u16_e64 vcc_lo, 0, v149
	v_mov_b32_e32 v150, 0
	s_and_not1_b32 s37, s37, exec_lo
	s_delay_alu instid0(VALU_DEP_2) | instskip(NEXT) | instid1(SALU_CYCLE_1)
	s_and_b32 vcc_lo, vcc_lo, exec_lo
	s_or_b32 s37, s37, vcc_lo
	s_or_b32 exec_lo, exec_lo, s14
	s_and_saveexec_b32 s14, s37
	s_cbranch_execnz .LBB2_659
	s_branch .LBB2_660
.LBB2_1004:                             ;   in Loop: Header=BB2_394 Depth=4
	s_mov_b32 s14, -1
	s_mov_b32 s39, exec_lo
                                        ; implicit-def: $sgpr37
	v_cmpx_eq_u16_e64 0x80, v148
; %bb.1005:                             ;   in Loop: Header=BB2_394 Depth=4
	s_mov_b32 s37, 0x7f800001
	s_xor_b32 s14, exec_lo, -1
; %bb.1006:                             ;   in Loop: Header=BB2_394 Depth=4
	s_or_b32 exec_lo, exec_lo, s39
	s_delay_alu instid0(SALU_CYCLE_1)
	s_and_b32 s14, s14, exec_lo
	s_or_saveexec_b32 s38, s38
	v_mov_b32_e32 v151, s37
	s_xor_b32 exec_lo, exec_lo, s38
	s_cbranch_execz .LBB2_662
.LBB2_1007:                             ;   in Loop: Header=BB2_394 Depth=4
	v_cmp_ne_u16_e64 vcc_lo, 0, v148
	v_mov_b32_e32 v151, 0
	s_and_not1_b32 s14, s14, exec_lo
	s_delay_alu instid0(VALU_DEP_2) | instskip(NEXT) | instid1(SALU_CYCLE_1)
	s_and_b32 vcc_lo, vcc_lo, exec_lo
	s_or_b32 s14, s14, vcc_lo
	s_or_b32 exec_lo, exec_lo, s38
	s_and_saveexec_b32 s37, s14
	s_cbranch_execnz .LBB2_663
	s_branch .LBB2_664
.LBB2_1008:                             ;   in Loop: Header=BB2_394 Depth=4
	s_mov_b32 s14, -1
	s_mov_b32 s39, exec_lo
                                        ; implicit-def: $sgpr37
	v_cmpx_eq_u16_e64 0x80, v149
; %bb.1009:                             ;   in Loop: Header=BB2_394 Depth=4
	s_mov_b32 s37, 0x7f800001
	s_xor_b32 s14, exec_lo, -1
; %bb.1010:                             ;   in Loop: Header=BB2_394 Depth=4
	s_or_b32 exec_lo, exec_lo, s39
	s_delay_alu instid0(SALU_CYCLE_1)
	s_and_b32 s14, s14, exec_lo
	s_or_saveexec_b32 s38, s38
	v_mov_b32_e32 v150, s37
	s_xor_b32 exec_lo, exec_lo, s38
	s_cbranch_execz .LBB2_669
.LBB2_1011:                             ;   in Loop: Header=BB2_394 Depth=4
	v_cmp_ne_u16_e64 vcc_lo, 0, v149
	v_mov_b32_e32 v150, 0
	s_and_not1_b32 s14, s14, exec_lo
	s_delay_alu instid0(VALU_DEP_2) | instskip(NEXT) | instid1(SALU_CYCLE_1)
	s_and_b32 vcc_lo, vcc_lo, exec_lo
	s_or_b32 s14, s14, vcc_lo
	s_or_b32 exec_lo, exec_lo, s38
	s_and_saveexec_b32 s37, s14
	s_cbranch_execnz .LBB2_670
	s_branch .LBB2_671
.LBB2_1012:                             ;   in Loop: Header=BB2_394 Depth=4
	s_mov_b32 s14, -1
	s_mov_b32 s39, exec_lo
                                        ; implicit-def: $sgpr37
	v_cmpx_eq_u16_e64 0x80, v148
; %bb.1013:                             ;   in Loop: Header=BB2_394 Depth=4
	s_mov_b32 s37, 0x7f800001
	s_xor_b32 s14, exec_lo, -1
; %bb.1014:                             ;   in Loop: Header=BB2_394 Depth=4
	s_or_b32 exec_lo, exec_lo, s39
	s_delay_alu instid0(SALU_CYCLE_1)
	s_and_b32 s14, s14, exec_lo
	s_or_saveexec_b32 s38, s38
	v_mov_b32_e32 v149, s37
	s_xor_b32 exec_lo, exec_lo, s38
	s_cbranch_execz .LBB2_673
.LBB2_1015:                             ;   in Loop: Header=BB2_394 Depth=4
	v_cmp_ne_u16_e64 vcc_lo, 0, v148
	v_mov_b32_e32 v149, 0
	s_and_not1_b32 s14, s14, exec_lo
	s_delay_alu instid0(VALU_DEP_2) | instskip(NEXT) | instid1(SALU_CYCLE_1)
	s_and_b32 vcc_lo, vcc_lo, exec_lo
	s_or_b32 s14, s14, vcc_lo
	s_or_b32 exec_lo, exec_lo, s38
	s_and_saveexec_b32 s37, s14
	s_cbranch_execnz .LBB2_674
	s_branch .LBB2_675
.LBB2_1016:                             ;   in Loop: Header=BB2_394 Depth=4
	s_mov_b32 s37, -1
	s_mov_b32 s39, exec_lo
                                        ; implicit-def: $sgpr38
	v_cmpx_eq_u16_e64 0x80, v151
; %bb.1017:                             ;   in Loop: Header=BB2_394 Depth=4
	s_mov_b32 s38, 0x7f800001
	s_xor_b32 s37, exec_lo, -1
; %bb.1018:                             ;   in Loop: Header=BB2_394 Depth=4
	s_or_b32 exec_lo, exec_lo, s39
	s_delay_alu instid0(SALU_CYCLE_1)
	s_and_b32 s37, s37, exec_lo
	s_or_saveexec_b32 s14, s14
	v_mov_b32_e32 v160, s38
	s_xor_b32 exec_lo, exec_lo, s14
	s_cbranch_execz .LBB2_687
.LBB2_1019:                             ;   in Loop: Header=BB2_394 Depth=4
	v_cmp_ne_u16_e64 vcc_lo, 0, v151
	v_mov_b32_e32 v160, 0
	s_and_not1_b32 s37, s37, exec_lo
	s_delay_alu instid0(VALU_DEP_2) | instskip(NEXT) | instid1(SALU_CYCLE_1)
	s_and_b32 vcc_lo, vcc_lo, exec_lo
	s_or_b32 s37, s37, vcc_lo
	s_or_b32 exec_lo, exec_lo, s14
	s_and_saveexec_b32 s14, s37
	s_cbranch_execnz .LBB2_688
	s_branch .LBB2_689
.LBB2_1020:                             ;   in Loop: Header=BB2_394 Depth=4
	s_mov_b32 s14, -1
	s_mov_b32 s39, exec_lo
                                        ; implicit-def: $sgpr37
	v_cmpx_eq_u16_e64 0x80, v162
; %bb.1021:                             ;   in Loop: Header=BB2_394 Depth=4
	s_mov_b32 s37, 0x7f800001
	s_xor_b32 s14, exec_lo, -1
; %bb.1022:                             ;   in Loop: Header=BB2_394 Depth=4
	s_or_b32 exec_lo, exec_lo, s39
	s_delay_alu instid0(SALU_CYCLE_1)
	s_and_b32 s14, s14, exec_lo
                                        ; implicit-def: $vgpr162
	s_or_saveexec_b32 s38, s38
	v_mov_b32_e32 v161, s37
	s_xor_b32 exec_lo, exec_lo, s38
	s_cbranch_execz .LBB2_691
.LBB2_1023:                             ;   in Loop: Header=BB2_394 Depth=4
	v_cmp_ne_u16_e64 vcc_lo, 0, v162
	v_mov_b32_e32 v161, 0
	s_and_not1_b32 s14, s14, exec_lo
	s_delay_alu instid0(VALU_DEP_2) | instskip(NEXT) | instid1(SALU_CYCLE_1)
	s_and_b32 vcc_lo, vcc_lo, exec_lo
	s_or_b32 s14, s14, vcc_lo
	s_or_b32 exec_lo, exec_lo, s38
	s_and_saveexec_b32 s37, s14
	s_cbranch_execnz .LBB2_692
	s_branch .LBB2_693
.LBB2_1024:                             ;   in Loop: Header=BB2_394 Depth=4
	s_mov_b32 s14, -1
	s_mov_b32 s39, exec_lo
                                        ; implicit-def: $sgpr37
	v_cmpx_eq_u16_e64 0x80, v151
; %bb.1025:                             ;   in Loop: Header=BB2_394 Depth=4
	s_mov_b32 s37, 0x7f800001
	s_xor_b32 s14, exec_lo, -1
; %bb.1026:                             ;   in Loop: Header=BB2_394 Depth=4
	s_or_b32 exec_lo, exec_lo, s39
	s_delay_alu instid0(SALU_CYCLE_1)
	s_and_b32 s14, s14, exec_lo
                                        ; implicit-def: $vgpr151
	s_or_saveexec_b32 s38, s38
	v_mov_b32_e32 v160, s37
	s_xor_b32 exec_lo, exec_lo, s38
	s_cbranch_execz .LBB2_698
.LBB2_1027:                             ;   in Loop: Header=BB2_394 Depth=4
	v_cmp_ne_u16_e64 vcc_lo, 0, v151
	v_mov_b32_e32 v160, 0
	s_and_not1_b32 s14, s14, exec_lo
	s_delay_alu instid0(VALU_DEP_2) | instskip(NEXT) | instid1(SALU_CYCLE_1)
	s_and_b32 vcc_lo, vcc_lo, exec_lo
	s_or_b32 s14, s14, vcc_lo
	s_or_b32 exec_lo, exec_lo, s38
	s_and_saveexec_b32 s37, s14
	s_cbranch_execnz .LBB2_699
	s_branch .LBB2_700
.LBB2_1028:                             ;   in Loop: Header=BB2_394 Depth=4
	s_mov_b32 s14, -1
	s_mov_b32 s39, exec_lo
                                        ; implicit-def: $sgpr37
	v_cmpx_eq_u16_e64 0x80, v151
; %bb.1029:                             ;   in Loop: Header=BB2_394 Depth=4
	s_mov_b32 s37, 0x7f800001
	s_xor_b32 s14, exec_lo, -1
; %bb.1030:                             ;   in Loop: Header=BB2_394 Depth=4
	s_or_b32 exec_lo, exec_lo, s39
	s_delay_alu instid0(SALU_CYCLE_1)
	s_and_b32 s14, s14, exec_lo
                                        ; implicit-def: $vgpr151
	s_or_saveexec_b32 s38, s38
	v_mov_b32_e32 v150, s37
	s_xor_b32 exec_lo, exec_lo, s38
	s_cbranch_execz .LBB2_702
.LBB2_1031:                             ;   in Loop: Header=BB2_394 Depth=4
	v_cmp_ne_u16_e64 vcc_lo, 0, v151
	v_mov_b32_e32 v150, 0
	s_and_not1_b32 s14, s14, exec_lo
	s_delay_alu instid0(VALU_DEP_2) | instskip(NEXT) | instid1(SALU_CYCLE_1)
	s_and_b32 vcc_lo, vcc_lo, exec_lo
	s_or_b32 s14, s14, vcc_lo
	s_or_b32 exec_lo, exec_lo, s38
	s_and_saveexec_b32 s37, s14
	s_cbranch_execnz .LBB2_703
	s_branch .LBB2_704
.LBB2_1032:                             ;   in Loop: Header=BB2_394 Depth=4
	s_mov_b32 s37, -1
	s_mov_b32 s39, exec_lo
                                        ; implicit-def: $sgpr38
	v_cmpx_eq_u16_e64 0x80, v151
; %bb.1033:                             ;   in Loop: Header=BB2_394 Depth=4
	s_mov_b32 s38, 0x7f800001
	s_xor_b32 s37, exec_lo, -1
; %bb.1034:                             ;   in Loop: Header=BB2_394 Depth=4
	s_or_b32 exec_lo, exec_lo, s39
	s_delay_alu instid0(SALU_CYCLE_1)
	s_and_b32 s37, s37, exec_lo
	s_or_saveexec_b32 s14, s14
	v_mov_b32_e32 v160, s38
	s_xor_b32 exec_lo, exec_lo, s14
	s_cbranch_execz .LBB2_716
.LBB2_1035:                             ;   in Loop: Header=BB2_394 Depth=4
	v_cmp_ne_u16_e64 vcc_lo, 0, v151
	v_mov_b32_e32 v160, 0
	s_and_not1_b32 s37, s37, exec_lo
	s_delay_alu instid0(VALU_DEP_2) | instskip(NEXT) | instid1(SALU_CYCLE_1)
	s_and_b32 vcc_lo, vcc_lo, exec_lo
	s_or_b32 s37, s37, vcc_lo
	s_or_b32 exec_lo, exec_lo, s14
	s_and_saveexec_b32 s14, s37
	s_cbranch_execnz .LBB2_717
	s_branch .LBB2_718
.LBB2_1036:                             ;   in Loop: Header=BB2_394 Depth=4
	s_mov_b32 s14, -1
	s_mov_b32 s39, exec_lo
                                        ; implicit-def: $sgpr37
	v_cmpx_eq_u16_e64 0x80, v150
; %bb.1037:                             ;   in Loop: Header=BB2_394 Depth=4
	s_mov_b32 s37, 0x7f800001
	s_xor_b32 s14, exec_lo, -1
; %bb.1038:                             ;   in Loop: Header=BB2_394 Depth=4
	s_or_b32 exec_lo, exec_lo, s39
	s_delay_alu instid0(SALU_CYCLE_1)
	s_and_b32 s14, s14, exec_lo
	s_or_saveexec_b32 s38, s38
	v_mov_b32_e32 v161, s37
	s_xor_b32 exec_lo, exec_lo, s38
	s_cbranch_execz .LBB2_720
.LBB2_1039:                             ;   in Loop: Header=BB2_394 Depth=4
	v_cmp_ne_u16_e64 vcc_lo, 0, v150
	v_mov_b32_e32 v161, 0
	s_and_not1_b32 s14, s14, exec_lo
	s_delay_alu instid0(VALU_DEP_2) | instskip(NEXT) | instid1(SALU_CYCLE_1)
	s_and_b32 vcc_lo, vcc_lo, exec_lo
	s_or_b32 s14, s14, vcc_lo
	s_or_b32 exec_lo, exec_lo, s38
	s_and_saveexec_b32 s37, s14
	s_cbranch_execnz .LBB2_721
	s_branch .LBB2_722
.LBB2_1040:                             ;   in Loop: Header=BB2_394 Depth=4
	s_mov_b32 s14, -1
	s_mov_b32 s39, exec_lo
                                        ; implicit-def: $sgpr37
	v_cmpx_eq_u16_e64 0x80, v151
; %bb.1041:                             ;   in Loop: Header=BB2_394 Depth=4
	s_mov_b32 s37, 0x7f800001
	s_xor_b32 s14, exec_lo, -1
; %bb.1042:                             ;   in Loop: Header=BB2_394 Depth=4
	s_or_b32 exec_lo, exec_lo, s39
	s_delay_alu instid0(SALU_CYCLE_1)
	s_and_b32 s14, s14, exec_lo
	s_or_saveexec_b32 s38, s38
	v_mov_b32_e32 v160, s37
	s_xor_b32 exec_lo, exec_lo, s38
	s_cbranch_execz .LBB2_727
.LBB2_1043:                             ;   in Loop: Header=BB2_394 Depth=4
	v_cmp_ne_u16_e64 vcc_lo, 0, v151
	v_mov_b32_e32 v160, 0
	s_and_not1_b32 s14, s14, exec_lo
	s_delay_alu instid0(VALU_DEP_2) | instskip(NEXT) | instid1(SALU_CYCLE_1)
	s_and_b32 vcc_lo, vcc_lo, exec_lo
	s_or_b32 s14, s14, vcc_lo
	s_or_b32 exec_lo, exec_lo, s38
	s_and_saveexec_b32 s37, s14
	s_cbranch_execnz .LBB2_728
	s_branch .LBB2_729
.LBB2_1044:                             ;   in Loop: Header=BB2_394 Depth=4
	s_mov_b32 s14, -1
	s_mov_b32 s39, exec_lo
                                        ; implicit-def: $sgpr37
	v_cmpx_eq_u16_e64 0x80, v150
; %bb.1045:                             ;   in Loop: Header=BB2_394 Depth=4
	s_mov_b32 s37, 0x7f800001
	s_xor_b32 s14, exec_lo, -1
; %bb.1046:                             ;   in Loop: Header=BB2_394 Depth=4
	s_or_b32 exec_lo, exec_lo, s39
	s_delay_alu instid0(SALU_CYCLE_1)
	s_and_b32 s14, s14, exec_lo
	s_or_saveexec_b32 s38, s38
	v_mov_b32_e32 v14, s37
	s_xor_b32 exec_lo, exec_lo, s38
	s_cbranch_execz .LBB2_731
.LBB2_1047:                             ;   in Loop: Header=BB2_394 Depth=4
	v_cmp_ne_u16_e64 vcc_lo, 0, v150
	v_mov_b32_e32 v14, 0
	s_and_not1_b32 s14, s14, exec_lo
	s_delay_alu instid0(VALU_DEP_2) | instskip(NEXT) | instid1(SALU_CYCLE_1)
	s_and_b32 vcc_lo, vcc_lo, exec_lo
	s_or_b32 s14, s14, vcc_lo
	s_or_b32 exec_lo, exec_lo, s38
	s_and_saveexec_b32 s37, s14
	s_cbranch_execnz .LBB2_732
	s_branch .LBB2_733
.LBB2_1048:                             ;   in Loop: Header=BB2_394 Depth=4
	s_mov_b32 s37, -1
	s_mov_b32 s39, exec_lo
                                        ; implicit-def: $sgpr38
	v_cmpx_eq_u16_e32 0x80, v14
; %bb.1049:                             ;   in Loop: Header=BB2_394 Depth=4
	s_mov_b32 s38, 0x7f800001
	s_xor_b32 s37, exec_lo, -1
; %bb.1050:                             ;   in Loop: Header=BB2_394 Depth=4
	s_or_b32 exec_lo, exec_lo, s39
	s_delay_alu instid0(SALU_CYCLE_1)
	s_and_b32 s37, s37, exec_lo
	s_or_saveexec_b32 s14, s14
	v_mov_b32_e32 v150, s38
	s_xor_b32 exec_lo, exec_lo, s14
	s_cbranch_execz .LBB2_745
.LBB2_1051:                             ;   in Loop: Header=BB2_394 Depth=4
	v_cmp_ne_u16_e32 vcc_lo, 0, v14
	v_mov_b32_e32 v150, 0
	s_and_not1_b32 s37, s37, exec_lo
	s_and_b32 vcc_lo, vcc_lo, exec_lo
	s_delay_alu instid0(SALU_CYCLE_1)
	s_or_b32 s37, s37, vcc_lo
	s_or_b32 exec_lo, exec_lo, s14
	s_and_saveexec_b32 s14, s37
	s_cbranch_execnz .LBB2_746
	s_branch .LBB2_747
.LBB2_1052:                             ;   in Loop: Header=BB2_394 Depth=4
	s_mov_b32 s14, -1
	s_mov_b32 s39, exec_lo
                                        ; implicit-def: $sgpr37
	v_cmpx_eq_u16_e64 0x80, v160
; %bb.1053:                             ;   in Loop: Header=BB2_394 Depth=4
	s_mov_b32 s37, 0x7f800001
	s_xor_b32 s14, exec_lo, -1
; %bb.1054:                             ;   in Loop: Header=BB2_394 Depth=4
	s_or_b32 exec_lo, exec_lo, s39
	s_delay_alu instid0(SALU_CYCLE_1)
	s_and_b32 s14, s14, exec_lo
                                        ; implicit-def: $vgpr160
	s_or_saveexec_b32 s38, s38
	v_mov_b32_e32 v151, s37
	s_xor_b32 exec_lo, exec_lo, s38
	s_cbranch_execz .LBB2_749
.LBB2_1055:                             ;   in Loop: Header=BB2_394 Depth=4
	v_cmp_ne_u16_e64 vcc_lo, 0, v160
	v_mov_b32_e32 v151, 0
	s_and_not1_b32 s14, s14, exec_lo
	s_delay_alu instid0(VALU_DEP_2) | instskip(NEXT) | instid1(SALU_CYCLE_1)
	s_and_b32 vcc_lo, vcc_lo, exec_lo
	s_or_b32 s14, s14, vcc_lo
	s_or_b32 exec_lo, exec_lo, s38
	s_and_saveexec_b32 s37, s14
	s_cbranch_execnz .LBB2_750
	s_branch .LBB2_751
.LBB2_1056:                             ;   in Loop: Header=BB2_394 Depth=4
	s_mov_b32 s14, -1
	s_mov_b32 s39, exec_lo
                                        ; implicit-def: $sgpr37
	v_cmpx_eq_u16_e32 0x80, v14
; %bb.1057:                             ;   in Loop: Header=BB2_394 Depth=4
	s_mov_b32 s37, 0x7f800001
	s_xor_b32 s14, exec_lo, -1
; %bb.1058:                             ;   in Loop: Header=BB2_394 Depth=4
	s_or_b32 exec_lo, exec_lo, s39
	s_delay_alu instid0(SALU_CYCLE_1)
	s_and_b32 s14, s14, exec_lo
                                        ; implicit-def: $vgpr14
	s_or_saveexec_b32 s38, s38
	v_mov_b32_e32 v150, s37
	s_xor_b32 exec_lo, exec_lo, s38
	s_cbranch_execz .LBB2_756
.LBB2_1059:                             ;   in Loop: Header=BB2_394 Depth=4
	v_cmp_ne_u16_e32 vcc_lo, 0, v14
	v_mov_b32_e32 v150, 0
	s_and_not1_b32 s14, s14, exec_lo
	s_and_b32 vcc_lo, vcc_lo, exec_lo
	s_delay_alu instid0(SALU_CYCLE_1)
	s_or_b32 s14, s14, vcc_lo
	s_or_b32 exec_lo, exec_lo, s38
	s_and_saveexec_b32 s37, s14
	s_cbranch_execnz .LBB2_757
	s_branch .LBB2_758
.LBB2_1060:                             ;   in Loop: Header=BB2_394 Depth=4
	s_mov_b32 s14, -1
	s_mov_b32 s39, exec_lo
                                        ; implicit-def: $sgpr37
	v_cmpx_eq_u16_e64 0x80, v151
; %bb.1061:                             ;   in Loop: Header=BB2_394 Depth=4
	s_mov_b32 s37, 0x7f800001
	s_xor_b32 s14, exec_lo, -1
; %bb.1062:                             ;   in Loop: Header=BB2_394 Depth=4
	s_or_b32 exec_lo, exec_lo, s39
	s_delay_alu instid0(SALU_CYCLE_1)
	s_and_b32 s14, s14, exec_lo
                                        ; implicit-def: $vgpr151
	s_or_saveexec_b32 s38, s38
	v_mov_b32_e32 v14, s37
	s_xor_b32 exec_lo, exec_lo, s38
	s_cbranch_execz .LBB2_760
.LBB2_1063:                             ;   in Loop: Header=BB2_394 Depth=4
	v_cmp_ne_u16_e64 vcc_lo, 0, v151
	v_mov_b32_e32 v14, 0
	s_and_not1_b32 s14, s14, exec_lo
	s_delay_alu instid0(VALU_DEP_2) | instskip(NEXT) | instid1(SALU_CYCLE_1)
	s_and_b32 vcc_lo, vcc_lo, exec_lo
	s_or_b32 s14, s14, vcc_lo
	s_or_b32 exec_lo, exec_lo, s38
	s_and_saveexec_b32 s37, s14
	s_cbranch_execnz .LBB2_761
	s_branch .LBB2_762
.LBB2_1064:                             ;   in Loop: Header=BB2_394 Depth=4
	s_mov_b32 s37, -1
	s_mov_b32 s39, exec_lo
                                        ; implicit-def: $sgpr38
	v_cmpx_eq_u16_e64 0x80, v151
; %bb.1065:                             ;   in Loop: Header=BB2_394 Depth=4
	s_mov_b32 s38, 0x7f800001
	s_xor_b32 s37, exec_lo, -1
; %bb.1066:                             ;   in Loop: Header=BB2_394 Depth=4
	s_or_b32 exec_lo, exec_lo, s39
	s_delay_alu instid0(SALU_CYCLE_1)
	s_and_b32 s37, s37, exec_lo
	s_or_saveexec_b32 s14, s14
	v_mov_b32_e32 v160, s38
	s_xor_b32 exec_lo, exec_lo, s14
	s_cbranch_execz .LBB2_774
.LBB2_1067:                             ;   in Loop: Header=BB2_394 Depth=4
	v_cmp_ne_u16_e64 vcc_lo, 0, v151
	v_mov_b32_e32 v160, 0
	s_and_not1_b32 s37, s37, exec_lo
	s_delay_alu instid0(VALU_DEP_2) | instskip(NEXT) | instid1(SALU_CYCLE_1)
	s_and_b32 vcc_lo, vcc_lo, exec_lo
	s_or_b32 s37, s37, vcc_lo
	s_or_b32 exec_lo, exec_lo, s14
	s_and_saveexec_b32 s14, s37
	s_cbranch_execnz .LBB2_775
	s_branch .LBB2_776
.LBB2_1068:                             ;   in Loop: Header=BB2_394 Depth=4
	s_mov_b32 s14, -1
	s_mov_b32 s39, exec_lo
                                        ; implicit-def: $sgpr37
	v_cmpx_eq_u16_e64 0x80, v150
; %bb.1069:                             ;   in Loop: Header=BB2_394 Depth=4
	s_mov_b32 s37, 0x7f800001
	s_xor_b32 s14, exec_lo, -1
; %bb.1070:                             ;   in Loop: Header=BB2_394 Depth=4
	s_or_b32 exec_lo, exec_lo, s39
	s_delay_alu instid0(SALU_CYCLE_1)
	s_and_b32 s14, s14, exec_lo
	s_or_saveexec_b32 s38, s38
	v_mov_b32_e32 v161, s37
	s_xor_b32 exec_lo, exec_lo, s38
	s_cbranch_execz .LBB2_778
.LBB2_1071:                             ;   in Loop: Header=BB2_394 Depth=4
	v_cmp_ne_u16_e64 vcc_lo, 0, v150
	v_mov_b32_e32 v161, 0
	s_and_not1_b32 s14, s14, exec_lo
	s_delay_alu instid0(VALU_DEP_2) | instskip(NEXT) | instid1(SALU_CYCLE_1)
	s_and_b32 vcc_lo, vcc_lo, exec_lo
	s_or_b32 s14, s14, vcc_lo
	s_or_b32 exec_lo, exec_lo, s38
	s_and_saveexec_b32 s37, s14
	s_cbranch_execnz .LBB2_779
	s_branch .LBB2_780
.LBB2_1072:                             ;   in Loop: Header=BB2_394 Depth=4
	s_mov_b32 s14, -1
	s_mov_b32 s39, exec_lo
                                        ; implicit-def: $sgpr37
	v_cmpx_eq_u16_e64 0x80, v151
; %bb.1073:                             ;   in Loop: Header=BB2_394 Depth=4
	s_mov_b32 s37, 0x7f800001
	s_xor_b32 s14, exec_lo, -1
; %bb.1074:                             ;   in Loop: Header=BB2_394 Depth=4
	s_or_b32 exec_lo, exec_lo, s39
	s_delay_alu instid0(SALU_CYCLE_1)
	s_and_b32 s14, s14, exec_lo
	s_or_saveexec_b32 s38, s38
	v_mov_b32_e32 v160, s37
	s_xor_b32 exec_lo, exec_lo, s38
	s_cbranch_execz .LBB2_785
.LBB2_1075:                             ;   in Loop: Header=BB2_394 Depth=4
	v_cmp_ne_u16_e64 vcc_lo, 0, v151
	v_mov_b32_e32 v160, 0
	s_and_not1_b32 s14, s14, exec_lo
	s_delay_alu instid0(VALU_DEP_2) | instskip(NEXT) | instid1(SALU_CYCLE_1)
	s_and_b32 vcc_lo, vcc_lo, exec_lo
	s_or_b32 s14, s14, vcc_lo
	s_or_b32 exec_lo, exec_lo, s38
	s_and_saveexec_b32 s37, s14
	s_cbranch_execnz .LBB2_786
	s_branch .LBB2_787
.LBB2_1076:                             ;   in Loop: Header=BB2_394 Depth=4
	s_mov_b32 s14, -1
	s_mov_b32 s39, exec_lo
                                        ; implicit-def: $sgpr37
	v_cmpx_eq_u16_e64 0x80, v150
; %bb.1077:                             ;   in Loop: Header=BB2_394 Depth=4
	s_mov_b32 s37, 0x7f800001
	s_xor_b32 s14, exec_lo, -1
; %bb.1078:                             ;   in Loop: Header=BB2_394 Depth=4
	s_or_b32 exec_lo, exec_lo, s39
	s_delay_alu instid0(SALU_CYCLE_1)
	s_and_b32 s14, s14, exec_lo
	s_or_saveexec_b32 s38, s38
	v_mov_b32_e32 v151, s37
	s_xor_b32 exec_lo, exec_lo, s38
	s_cbranch_execz .LBB2_789
.LBB2_1079:                             ;   in Loop: Header=BB2_394 Depth=4
	v_cmp_ne_u16_e64 vcc_lo, 0, v150
	v_mov_b32_e32 v151, 0
	s_and_not1_b32 s14, s14, exec_lo
	s_delay_alu instid0(VALU_DEP_2) | instskip(NEXT) | instid1(SALU_CYCLE_1)
	s_and_b32 vcc_lo, vcc_lo, exec_lo
	s_or_b32 s14, s14, vcc_lo
	s_or_b32 exec_lo, exec_lo, s38
	s_and_saveexec_b32 s37, s14
	s_cbranch_execnz .LBB2_790
	s_branch .LBB2_791
.LBB2_1080:                             ;   in Loop: Header=BB2_394 Depth=4
	s_mov_b32 s37, -1
	s_mov_b32 s39, exec_lo
                                        ; implicit-def: $sgpr38
	v_cmpx_eq_u16_e64 0x80, v161
; %bb.1081:                             ;   in Loop: Header=BB2_394 Depth=4
	s_mov_b32 s38, 0x7f800001
	s_xor_b32 s37, exec_lo, -1
; %bb.1082:                             ;   in Loop: Header=BB2_394 Depth=4
	s_or_b32 exec_lo, exec_lo, s39
	s_delay_alu instid0(SALU_CYCLE_1)
	s_and_b32 s37, s37, exec_lo
	s_or_saveexec_b32 s14, s14
	v_mov_b32_e32 v162, s38
	s_xor_b32 exec_lo, exec_lo, s14
	s_cbranch_execz .LBB2_803
.LBB2_1083:                             ;   in Loop: Header=BB2_394 Depth=4
	v_cmp_ne_u16_e64 vcc_lo, 0, v161
	v_mov_b32_e32 v162, 0
	s_and_not1_b32 s37, s37, exec_lo
	s_delay_alu instid0(VALU_DEP_2) | instskip(NEXT) | instid1(SALU_CYCLE_1)
	s_and_b32 vcc_lo, vcc_lo, exec_lo
	s_or_b32 s37, s37, vcc_lo
	s_or_b32 exec_lo, exec_lo, s14
	s_and_saveexec_b32 s14, s37
	s_cbranch_execnz .LBB2_804
	s_branch .LBB2_805
.LBB2_1084:                             ;   in Loop: Header=BB2_394 Depth=4
	s_mov_b32 s14, -1
	s_mov_b32 s39, exec_lo
                                        ; implicit-def: $sgpr37
	v_cmpx_eq_u16_e64 0x80, v164
; %bb.1085:                             ;   in Loop: Header=BB2_394 Depth=4
	s_mov_b32 s37, 0x7f800001
	s_xor_b32 s14, exec_lo, -1
; %bb.1086:                             ;   in Loop: Header=BB2_394 Depth=4
	s_or_b32 exec_lo, exec_lo, s39
	s_delay_alu instid0(SALU_CYCLE_1)
	s_and_b32 s14, s14, exec_lo
                                        ; implicit-def: $vgpr164
	s_or_saveexec_b32 s38, s38
	v_mov_b32_e32 v163, s37
	s_xor_b32 exec_lo, exec_lo, s38
	s_cbranch_execz .LBB2_807
.LBB2_1087:                             ;   in Loop: Header=BB2_394 Depth=4
	v_cmp_ne_u16_e64 vcc_lo, 0, v164
	v_mov_b32_e32 v163, 0
	s_and_not1_b32 s14, s14, exec_lo
	s_delay_alu instid0(VALU_DEP_2) | instskip(NEXT) | instid1(SALU_CYCLE_1)
	s_and_b32 vcc_lo, vcc_lo, exec_lo
	s_or_b32 s14, s14, vcc_lo
	s_or_b32 exec_lo, exec_lo, s38
	s_and_saveexec_b32 s37, s14
	s_cbranch_execnz .LBB2_808
	s_branch .LBB2_809
.LBB2_1088:                             ;   in Loop: Header=BB2_394 Depth=4
	s_mov_b32 s14, -1
	s_mov_b32 s39, exec_lo
                                        ; implicit-def: $sgpr37
	v_cmpx_eq_u16_e64 0x80, v161
; %bb.1089:                             ;   in Loop: Header=BB2_394 Depth=4
	s_mov_b32 s37, 0x7f800001
	s_xor_b32 s14, exec_lo, -1
; %bb.1090:                             ;   in Loop: Header=BB2_394 Depth=4
	s_or_b32 exec_lo, exec_lo, s39
	s_delay_alu instid0(SALU_CYCLE_1)
	s_and_b32 s14, s14, exec_lo
                                        ; implicit-def: $vgpr161
	s_or_saveexec_b32 s38, s38
	v_mov_b32_e32 v162, s37
	s_xor_b32 exec_lo, exec_lo, s38
	s_cbranch_execz .LBB2_814
.LBB2_1091:                             ;   in Loop: Header=BB2_394 Depth=4
	v_cmp_ne_u16_e64 vcc_lo, 0, v161
	v_mov_b32_e32 v162, 0
	s_and_not1_b32 s14, s14, exec_lo
	s_delay_alu instid0(VALU_DEP_2) | instskip(NEXT) | instid1(SALU_CYCLE_1)
	s_and_b32 vcc_lo, vcc_lo, exec_lo
	s_or_b32 s14, s14, vcc_lo
	s_or_b32 exec_lo, exec_lo, s38
	s_and_saveexec_b32 s37, s14
	s_cbranch_execnz .LBB2_815
	s_branch .LBB2_816
.LBB2_1092:                             ;   in Loop: Header=BB2_394 Depth=4
	s_mov_b32 s14, -1
	s_mov_b32 s39, exec_lo
                                        ; implicit-def: $sgpr37
	v_cmpx_eq_u16_e64 0x80, v161
; %bb.1093:                             ;   in Loop: Header=BB2_394 Depth=4
	s_mov_b32 s37, 0x7f800001
	s_xor_b32 s14, exec_lo, -1
; %bb.1094:                             ;   in Loop: Header=BB2_394 Depth=4
	s_or_b32 exec_lo, exec_lo, s39
	s_delay_alu instid0(SALU_CYCLE_1)
	s_and_b32 s14, s14, exec_lo
                                        ; implicit-def: $vgpr161
	s_or_saveexec_b32 s38, s38
	v_mov_b32_e32 v160, s37
	s_xor_b32 exec_lo, exec_lo, s38
	s_cbranch_execz .LBB2_818
.LBB2_1095:                             ;   in Loop: Header=BB2_394 Depth=4
	v_cmp_ne_u16_e64 vcc_lo, 0, v161
	v_mov_b32_e32 v160, 0
	s_and_not1_b32 s14, s14, exec_lo
	s_delay_alu instid0(VALU_DEP_2) | instskip(NEXT) | instid1(SALU_CYCLE_1)
	s_and_b32 vcc_lo, vcc_lo, exec_lo
	s_or_b32 s14, s14, vcc_lo
	s_or_b32 exec_lo, exec_lo, s38
	s_and_saveexec_b32 s37, s14
	s_cbranch_execnz .LBB2_819
	s_branch .LBB2_820
.LBB2_1096:                             ;   in Loop: Header=BB2_394 Depth=4
	s_mov_b32 s37, -1
	s_mov_b32 s39, exec_lo
                                        ; implicit-def: $sgpr38
	v_cmpx_eq_u16_e64 0x80, v161
; %bb.1097:                             ;   in Loop: Header=BB2_394 Depth=4
	s_mov_b32 s38, 0x7f800001
	s_xor_b32 s37, exec_lo, -1
; %bb.1098:                             ;   in Loop: Header=BB2_394 Depth=4
	s_or_b32 exec_lo, exec_lo, s39
	s_delay_alu instid0(SALU_CYCLE_1)
	s_and_b32 s37, s37, exec_lo
	s_or_saveexec_b32 s14, s14
	v_mov_b32_e32 v162, s38
	s_xor_b32 exec_lo, exec_lo, s14
	s_cbranch_execz .LBB2_832
.LBB2_1099:                             ;   in Loop: Header=BB2_394 Depth=4
	v_cmp_ne_u16_e64 vcc_lo, 0, v161
	v_mov_b32_e32 v162, 0
	s_and_not1_b32 s37, s37, exec_lo
	s_delay_alu instid0(VALU_DEP_2) | instskip(NEXT) | instid1(SALU_CYCLE_1)
	s_and_b32 vcc_lo, vcc_lo, exec_lo
	s_or_b32 s37, s37, vcc_lo
	s_or_b32 exec_lo, exec_lo, s14
	s_and_saveexec_b32 s14, s37
	s_cbranch_execnz .LBB2_833
	s_branch .LBB2_834
.LBB2_1100:                             ;   in Loop: Header=BB2_394 Depth=4
	s_mov_b32 s14, -1
	s_mov_b32 s39, exec_lo
                                        ; implicit-def: $sgpr37
	v_cmpx_eq_u16_e64 0x80, v160
; %bb.1101:                             ;   in Loop: Header=BB2_394 Depth=4
	s_mov_b32 s37, 0x7f800001
	s_xor_b32 s14, exec_lo, -1
; %bb.1102:                             ;   in Loop: Header=BB2_394 Depth=4
	s_or_b32 exec_lo, exec_lo, s39
	s_delay_alu instid0(SALU_CYCLE_1)
	s_and_b32 s14, s14, exec_lo
	s_or_saveexec_b32 s38, s38
	v_mov_b32_e32 v163, s37
	s_xor_b32 exec_lo, exec_lo, s38
	s_cbranch_execz .LBB2_836
.LBB2_1103:                             ;   in Loop: Header=BB2_394 Depth=4
	v_cmp_ne_u16_e64 vcc_lo, 0, v160
	v_mov_b32_e32 v163, 0
	s_and_not1_b32 s14, s14, exec_lo
	s_delay_alu instid0(VALU_DEP_2) | instskip(NEXT) | instid1(SALU_CYCLE_1)
	s_and_b32 vcc_lo, vcc_lo, exec_lo
	s_or_b32 s14, s14, vcc_lo
	s_or_b32 exec_lo, exec_lo, s38
	s_and_saveexec_b32 s37, s14
	s_cbranch_execnz .LBB2_837
	s_branch .LBB2_838
.LBB2_1104:                             ;   in Loop: Header=BB2_394 Depth=4
	s_mov_b32 s14, -1
	s_mov_b32 s39, exec_lo
                                        ; implicit-def: $sgpr37
	v_cmpx_eq_u16_e64 0x80, v161
; %bb.1105:                             ;   in Loop: Header=BB2_394 Depth=4
	s_mov_b32 s37, 0x7f800001
	s_xor_b32 s14, exec_lo, -1
; %bb.1106:                             ;   in Loop: Header=BB2_394 Depth=4
	s_or_b32 exec_lo, exec_lo, s39
	s_delay_alu instid0(SALU_CYCLE_1)
	s_and_b32 s14, s14, exec_lo
	s_or_saveexec_b32 s38, s38
	v_mov_b32_e32 v162, s37
	s_xor_b32 exec_lo, exec_lo, s38
	s_cbranch_execz .LBB2_843
.LBB2_1107:                             ;   in Loop: Header=BB2_394 Depth=4
	v_cmp_ne_u16_e64 vcc_lo, 0, v161
	v_mov_b32_e32 v162, 0
	s_and_not1_b32 s14, s14, exec_lo
	s_delay_alu instid0(VALU_DEP_2) | instskip(NEXT) | instid1(SALU_CYCLE_1)
	s_and_b32 vcc_lo, vcc_lo, exec_lo
	s_or_b32 s14, s14, vcc_lo
	s_or_b32 exec_lo, exec_lo, s38
	s_and_saveexec_b32 s37, s14
	s_cbranch_execnz .LBB2_844
	s_branch .LBB2_845
.LBB2_1108:                             ;   in Loop: Header=BB2_394 Depth=4
	s_mov_b32 s14, -1
	s_mov_b32 s39, exec_lo
                                        ; implicit-def: $sgpr37
	v_cmpx_eq_u16_e64 0x80, v160
; %bb.1109:                             ;   in Loop: Header=BB2_394 Depth=4
	s_mov_b32 s37, 0x7f800001
	s_xor_b32 s14, exec_lo, -1
; %bb.1110:                             ;   in Loop: Header=BB2_394 Depth=4
	s_or_b32 exec_lo, exec_lo, s39
	s_delay_alu instid0(SALU_CYCLE_1)
	s_and_b32 s14, s14, exec_lo
	s_or_saveexec_b32 s38, s38
	v_mov_b32_e32 v15, s37
	s_xor_b32 exec_lo, exec_lo, s38
	s_cbranch_execz .LBB2_847
.LBB2_1111:                             ;   in Loop: Header=BB2_394 Depth=4
	v_cmp_ne_u16_e64 vcc_lo, 0, v160
	v_mov_b32_e32 v15, 0
	s_and_not1_b32 s14, s14, exec_lo
	s_delay_alu instid0(VALU_DEP_2) | instskip(NEXT) | instid1(SALU_CYCLE_1)
	s_and_b32 vcc_lo, vcc_lo, exec_lo
	s_or_b32 s14, s14, vcc_lo
	s_or_b32 exec_lo, exec_lo, s38
	s_and_saveexec_b32 s37, s14
	s_cbranch_execnz .LBB2_848
	s_branch .LBB2_849
.LBB2_1112:                             ;   in Loop: Header=BB2_305 Depth=3
	s_or_b32 exec_lo, exec_lo, s35
.LBB2_1113:                             ;   in Loop: Header=BB2_305 Depth=3
	s_delay_alu instid0(SALU_CYCLE_1) | instskip(SKIP_3) | instid1(VALU_DEP_1)
	s_or_b32 exec_lo, exec_lo, s34
	v_dual_mov_b32 v14, 0 :: v_dual_and_b32 v9, 15, v55
	s_mov_b32 s35, 0
	s_mov_b32 s34, exec_lo
                                        ; implicit-def: $vgpr15
                                        ; implicit-def: $vgpr66
                                        ; implicit-def: $vgpr8
	v_cndmask_b32_e64 v2, v134, v9, s13
	s_delay_alu instid0(VALU_DEP_1)
	v_cmpx_ne_u32_e32 0, v2
	s_cbranch_execz .LBB2_1842
; %bb.1114:                             ;   in Loop: Header=BB2_305 Depth=3
	v_cmp_lt_i32_e32 vcc_lo, 0, v133
	v_ashrrev_i32_e32 v11, 31, v2
	v_sub_nc_u32_e32 v9, v134, v9
	s_mov_b32 s35, exec_lo
	v_cndmask_b32_e32 v8, 0, v83, vcc_lo
	s_delay_alu instid0(VALU_DEP_3) | instskip(NEXT) | instid1(VALU_DEP_3)
	v_lshrrev_b32_e32 v11, 23, v11
	v_cndmask_b32_e64 v9, 0, v9, s13
	s_delay_alu instid0(VALU_DEP_3) | instskip(NEXT) | instid1(VALU_DEP_3)
	v_sub_nc_u32_e32 v8, v8, v133
	v_add_nc_u32_e32 v11, v2, v11
	s_delay_alu instid0(VALU_DEP_3) | instskip(NEXT) | instid1(VALU_DEP_3)
	v_add_nc_u32_e32 v132, v9, v132
	v_lshl_add_u32 v8, v8, 5, v85
	s_delay_alu instid0(VALU_DEP_3) | instskip(SKIP_1) | instid1(VALU_DEP_3)
	v_and_b32_e32 v133, 0xfffffe00, v11
	v_ashrrev_i32_e32 v11, 9, v11
	v_ashrrev_i32_e32 v10, 31, v8
	s_delay_alu instid0(VALU_DEP_3) | instskip(NEXT) | instid1(VALU_DEP_2)
	v_sub_nc_u32_e32 v134, v2, v133
	v_lshrrev_b32_e32 v10, 27, v10
	s_delay_alu instid0(VALU_DEP_2) | instskip(NEXT) | instid1(VALU_DEP_2)
	v_cmp_lt_i32_e64 s13, 15, v134
	v_add_nc_u32_e32 v10, v8, v10
	s_delay_alu instid0(VALU_DEP_2) | instskip(NEXT) | instid1(VALU_DEP_2)
	v_add_co_ci_u32_e64 v11, vcc_lo, 0, v11, s13
	v_and_b32_e32 v12, 0xffffffe0, v10
	v_ashrrev_i32_e32 v10, 5, v10
	s_delay_alu instid0(VALU_DEP_2) | instskip(NEXT) | instid1(VALU_DEP_2)
	v_sub_nc_u32_e32 v135, v8, v12
	v_sub_nc_u32_e32 v144, v11, v10
	s_delay_alu instid0(VALU_DEP_2) | instskip(NEXT) | instid1(VALU_DEP_1)
	v_lshlrev_b32_e32 v8, 4, v135
	v_lshl_add_u32 v8, v10, 9, v8
	s_delay_alu instid0(VALU_DEP_1) | instskip(NEXT) | instid1(VALU_DEP_1)
	v_sub_nc_u32_e32 v145, v2, v8
	v_cmpx_lt_i32_e32 15, v145
	s_cbranch_execz .LBB2_1839
; %bb.1115:                             ;   in Loop: Header=BB2_305 Depth=3
	s_cbranch_execz .LBB2_1116
; %bb.7626:
	s_getpc_b64 s[48:49]
.Lpost_getpc77:
	s_add_u32 s48, s48, (.LBB2_7302-.Lpost_getpc77)&4294967295
	s_addc_u32 s49, s49, (.LBB2_7302-.Lpost_getpc77)>>32
	s_setpc_b64 s[48:49]
.LBB2_1116:                             ;   in Loop: Header=BB2_305 Depth=3
	ds_load_b128 v[9:12], v0
	ds_load_b64 v[13:14], v0
	v_add_nc_u32_e32 v8, v8, v132
	s_bitcmp1_b32 s31, 0
	s_mov_b32 s36, 0
	s_cselect_b32 s37, -1, 0
	s_delay_alu instid0(VALU_DEP_1) | instskip(SKIP_2) | instid1(VALU_DEP_2)
	v_ashrrev_i32_e32 v15, 31, v8
	s_waitcnt lgkmcnt(1)
	v_add_co_u32 v66, vcc_lo, v9, v8
	v_add_co_ci_u32_e32 v67, vcc_lo, v10, v15, vcc_lo
	v_add_co_u32 v68, vcc_lo, v11, v8
	v_add_co_ci_u32_e32 v69, vcc_lo, v12, v15, vcc_lo
	s_waitcnt lgkmcnt(0)
	v_add_co_u32 v70, vcc_lo, v13, v8
	v_add_co_ci_u32_e32 v71, vcc_lo, v14, v15, vcc_lo
	s_branch .LBB2_1120
.LBB2_1117:                             ;   in Loop: Header=BB2_1120 Depth=4
	s_or_b32 exec_lo, exec_lo, s14
	s_delay_alu instid0(VALU_DEP_1) | instskip(NEXT) | instid1(VALU_DEP_2)
	v_lshrrev_b32_e32 v15, 20, v15
	v_min_i32_e32 v163, 15, v11
	v_cmp_gt_i32_e32 vcc_lo, 16, v11
	v_lshrrev_b32_e32 v164, 24, v165
	s_delay_alu instid0(VALU_DEP_3) | instskip(NEXT) | instid1(VALU_DEP_2)
	v_lshlrev_b32_e32 v163, 3, v163
	v_dual_cndmask_b32 v15, 7, v15 :: v_dual_and_b32 v164, 0x80, v164
	s_delay_alu instid0(VALU_DEP_2) | instskip(NEXT) | instid1(VALU_DEP_2)
	v_and_b32_e32 v163, 0xf8, v163
	v_and_b32_e32 v165, 7, v15
	v_or_b32_e32 v11, v11, v15
	s_delay_alu instid0(VALU_DEP_2) | instskip(NEXT) | instid1(VALU_DEP_2)
	v_or3_b32 v163, v164, v163, v165
	v_cmp_ne_u32_e32 vcc_lo, 0, v11
	s_delay_alu instid0(VALU_DEP_2) | instskip(NEXT) | instid1(VALU_DEP_1)
	v_lshlrev_b32_e32 v15, 8, v163
	v_cndmask_b32_e32 v11, 0, v15, vcc_lo
.LBB2_1118:                             ;   in Loop: Header=BB2_1120 Depth=4
	s_or_b32 exec_lo, exec_lo, s39
.LBB2_1119:                             ;   in Loop: Header=BB2_1120 Depth=4
	s_delay_alu instid0(SALU_CYCLE_1)
	s_or_b32 exec_lo, exec_lo, s38
	v_lshlrev_b32_e32 v15, 8, v149
	v_and_b32_e32 v148, 0xff, v148
	v_or_b32_e32 v9, v9, v150
	v_lshlrev_b32_e32 v147, 8, v147
	v_lshlrev_b32_e32 v149, 8, v151
	v_perm_b32 v12, v15, v12, 0xc0c0500
	v_lshlrev_b32_e32 v15, 16, v148
	v_and_b32_e32 v148, 0xff, v160
	v_lshlrev_b32_e32 v150, 8, v161
	v_lshlrev_b32_e32 v8, 24, v8
	v_perm_b32 v146, v147, v146, 0xc0c0500
	v_lshlrev_b32_e32 v10, 24, v10
	v_lshlrev_b32_e32 v147, 16, v148
	v_perm_b32 v13, v149, v13, 0xc0c0500
	v_perm_b32 v14, v150, v14, 0xc0c0500
	v_or_b32_e32 v11, v11, v162
	v_add_co_u32 v66, vcc_lo, v66, v100
	v_lshl_or_b32 v9, v9, 16, v12
	v_or3_b32 v8, v8, v15, v146
	v_or3_b32 v10, v10, v147, v13
	v_lshl_or_b32 v11, v11, 16, v14
	v_sub_nc_u32_e32 v145, v145, v86
	v_add_co_ci_u32_e32 v67, vcc_lo, v67, v101, vcc_lo
	v_add_co_u32 v68, vcc_lo, v68, v100
	v_add_co_ci_u32_e32 v69, vcc_lo, v69, v101, vcc_lo
	global_store_b128 v[70:71], v[8:11], off glc slc dlc
	v_cmp_gt_i32_e32 vcc_lo, 16, v145
	v_add_co_u32 v70, s14, v70, v100
	s_delay_alu instid0(VALU_DEP_1) | instskip(SKIP_2) | instid1(SALU_CYCLE_1)
	v_add_co_ci_u32_e64 v71, s14, v71, v101, s14
	v_sub_nc_u32_e32 v144, v144, v83
	s_or_b32 s36, vcc_lo, s36
	s_and_not1_b32 exec_lo, exec_lo, s36
	s_cbranch_execz .LBB2_1838
.LBB2_1120:                             ;   Parent Loop BB2_51 Depth=1
                                        ;     Parent Loop BB2_303 Depth=2
                                        ;       Parent Loop BB2_305 Depth=3
                                        ; =>      This Inner Loop Header: Depth=4
	global_load_b128 v[12:15], v[66:67], off slc dlc
	global_load_b128 v[8:11], v[68:69], off slc dlc
	s_and_b32 vcc_lo, exec_lo, s37
	s_cbranch_vccz .LBB2_1130
; %bb.1121:                             ;   in Loop: Header=BB2_1120 Depth=4
	s_waitcnt vmcnt(1)
	v_and_b32_e32 v147, 0xff, v12
	s_mov_b32 s14, 0
	s_mov_b32 s39, exec_lo
                                        ; implicit-def: $sgpr38
	s_delay_alu instid0(VALU_DEP_1)
	v_cmpx_lt_i16_e64 0x7f, v147
	s_xor_b32 s39, exec_lo, s39
	s_cbranch_execnz .LBB2_1582
; %bb.1122:                             ;   in Loop: Header=BB2_1120 Depth=4
	s_or_saveexec_b32 s39, s39
	v_mov_b32_e32 v146, s38
	s_xor_b32 exec_lo, exec_lo, s39
	s_cbranch_execnz .LBB2_1585
.LBB2_1123:                             ;   in Loop: Header=BB2_1120 Depth=4
	s_or_b32 exec_lo, exec_lo, s39
	s_and_saveexec_b32 s38, s14
	s_cbranch_execz .LBB2_1125
.LBB2_1124:                             ;   in Loop: Header=BB2_1120 Depth=4
	v_bfe_u32 v149, v12, 3, 4
	v_lshlrev_b32_e32 v150, 24, v12
	s_delay_alu instid0(VALU_DEP_2) | instskip(SKIP_1) | instid1(VALU_DEP_1)
	v_cmp_eq_u32_e32 vcc_lo, 0, v149
	v_and_b32_e32 v146, 7, v12
	v_clz_i32_u32_e32 v147, v146
	s_delay_alu instid0(VALU_DEP_1) | instskip(NEXT) | instid1(VALU_DEP_1)
	v_min_u32_e32 v147, 32, v147
	v_subrev_nc_u32_e32 v148, 28, v147
	v_sub_nc_u32_e32 v147, 29, v147
	s_delay_alu instid0(VALU_DEP_1) | instskip(NEXT) | instid1(VALU_DEP_1)
	v_dual_cndmask_b32 v147, v149, v147 :: v_dual_lshlrev_b32 v148, v148, v12
	v_and_b32_e32 v148, 7, v148
	s_delay_alu instid0(VALU_DEP_2) | instskip(NEXT) | instid1(VALU_DEP_2)
	v_lshl_add_u32 v147, v147, 23, 0x3b800000
	v_cndmask_b32_e32 v146, v146, v148, vcc_lo
	v_and_b32_e32 v148, 0x80000000, v150
	s_delay_alu instid0(VALU_DEP_2) | instskip(NEXT) | instid1(VALU_DEP_1)
	v_lshlrev_b32_e32 v146, 20, v146
	v_or3_b32 v146, v148, v147, v146
.LBB2_1125:                             ;   in Loop: Header=BB2_1120 Depth=4
	s_or_b32 exec_lo, exec_lo, s38
	s_waitcnt vmcnt(0)
	v_and_b32_e32 v148, 0xff, v8
	s_mov_b32 s14, 0
	s_mov_b32 s39, exec_lo
                                        ; implicit-def: $sgpr38
	s_delay_alu instid0(VALU_DEP_1)
	v_cmpx_lt_i16_e64 0x7f, v148
	s_xor_b32 s39, exec_lo, s39
	s_cbranch_execnz .LBB2_1586
; %bb.1126:                             ;   in Loop: Header=BB2_1120 Depth=4
	s_or_saveexec_b32 s39, s39
	v_mov_b32_e32 v147, s38
	s_xor_b32 exec_lo, exec_lo, s39
	s_cbranch_execnz .LBB2_1589
.LBB2_1127:                             ;   in Loop: Header=BB2_1120 Depth=4
	s_or_b32 exec_lo, exec_lo, s39
	s_and_saveexec_b32 s38, s14
	s_cbranch_execz .LBB2_1129
.LBB2_1128:                             ;   in Loop: Header=BB2_1120 Depth=4
	v_and_b32_e32 v147, 7, v8
	v_bfe_u32 v150, v8, 3, 4
	v_lshlrev_b32_e32 v151, 24, v8
	s_delay_alu instid0(VALU_DEP_3) | instskip(NEXT) | instid1(VALU_DEP_3)
	v_clz_i32_u32_e32 v148, v147
	v_cmp_eq_u32_e32 vcc_lo, 0, v150
	s_delay_alu instid0(VALU_DEP_2) | instskip(NEXT) | instid1(VALU_DEP_1)
	v_min_u32_e32 v148, 32, v148
	v_subrev_nc_u32_e32 v149, 28, v148
	v_sub_nc_u32_e32 v148, 29, v148
	s_delay_alu instid0(VALU_DEP_2) | instskip(NEXT) | instid1(VALU_DEP_1)
	v_lshlrev_b32_e32 v149, v149, v8
	v_dual_cndmask_b32 v148, v150, v148 :: v_dual_and_b32 v149, 7, v149
	s_delay_alu instid0(VALU_DEP_1) | instskip(NEXT) | instid1(VALU_DEP_2)
	v_lshl_add_u32 v148, v148, 23, 0x3b800000
	v_cndmask_b32_e32 v147, v147, v149, vcc_lo
	v_and_b32_e32 v149, 0x80000000, v151
	s_delay_alu instid0(VALU_DEP_2) | instskip(NEXT) | instid1(VALU_DEP_1)
	v_lshlrev_b32_e32 v147, 20, v147
	v_or3_b32 v147, v149, v148, v147
.LBB2_1129:                             ;   in Loop: Header=BB2_1120 Depth=4
	s_or_b32 exec_lo, exec_lo, s38
	s_delay_alu instid0(VALU_DEP_1) | instskip(SKIP_1) | instid1(VALU_DEP_1)
	v_dual_max_f32 v147, v147, v147 :: v_dual_max_f32 v146, v146, v146
	s_mov_b32 s14, 0
	v_max_f32_e32 v147, v146, v147
	s_branch .LBB2_1131
.LBB2_1130:                             ;   in Loop: Header=BB2_1120 Depth=4
	s_mov_b32 s14, -1
                                        ; implicit-def: $vgpr147
.LBB2_1131:                             ;   in Loop: Header=BB2_1120 Depth=4
	s_delay_alu instid0(SALU_CYCLE_1)
	s_and_b32 vcc_lo, exec_lo, s14
	s_cbranch_vccz .LBB2_1141
; %bb.1132:                             ;   in Loop: Header=BB2_1120 Depth=4
	s_waitcnt vmcnt(1)
	v_and_b32_e32 v147, 0xff, v12
	s_mov_b32 s14, 0
	s_mov_b32 s39, exec_lo
                                        ; implicit-def: $sgpr38
	s_delay_alu instid0(VALU_DEP_1)
	v_cmpx_lt_i16_e64 0x7f, v147
	s_xor_b32 s39, exec_lo, s39
	s_cbranch_execnz .LBB2_1590
; %bb.1133:                             ;   in Loop: Header=BB2_1120 Depth=4
	s_or_saveexec_b32 s39, s39
	v_mov_b32_e32 v146, s38
	s_xor_b32 exec_lo, exec_lo, s39
	s_cbranch_execnz .LBB2_1593
.LBB2_1134:                             ;   in Loop: Header=BB2_1120 Depth=4
	s_or_b32 exec_lo, exec_lo, s39
	s_and_saveexec_b32 s38, s14
	s_cbranch_execz .LBB2_1136
.LBB2_1135:                             ;   in Loop: Header=BB2_1120 Depth=4
	v_bfe_u32 v149, v12, 3, 4
	v_lshlrev_b32_e32 v150, 24, v12
	s_delay_alu instid0(VALU_DEP_2) | instskip(SKIP_1) | instid1(VALU_DEP_1)
	v_cmp_eq_u32_e32 vcc_lo, 0, v149
	v_and_b32_e32 v146, 7, v12
	v_clz_i32_u32_e32 v147, v146
	s_delay_alu instid0(VALU_DEP_1) | instskip(NEXT) | instid1(VALU_DEP_1)
	v_min_u32_e32 v147, 32, v147
	v_subrev_nc_u32_e32 v148, 28, v147
	v_sub_nc_u32_e32 v147, 29, v147
	s_delay_alu instid0(VALU_DEP_1) | instskip(NEXT) | instid1(VALU_DEP_1)
	v_dual_cndmask_b32 v147, v149, v147 :: v_dual_lshlrev_b32 v148, v148, v12
	v_and_b32_e32 v148, 7, v148
	s_delay_alu instid0(VALU_DEP_2) | instskip(NEXT) | instid1(VALU_DEP_2)
	v_lshl_add_u32 v147, v147, 23, 0x3b800000
	v_cndmask_b32_e32 v146, v146, v148, vcc_lo
	v_and_b32_e32 v148, 0x80000000, v150
	s_delay_alu instid0(VALU_DEP_2) | instskip(NEXT) | instid1(VALU_DEP_1)
	v_lshlrev_b32_e32 v146, 20, v146
	v_or3_b32 v146, v148, v147, v146
.LBB2_1136:                             ;   in Loop: Header=BB2_1120 Depth=4
	s_or_b32 exec_lo, exec_lo, s38
	s_waitcnt vmcnt(0)
	v_and_b32_e32 v148, 0xff, v8
	s_mov_b32 s14, 0
	s_mov_b32 s39, exec_lo
                                        ; implicit-def: $sgpr38
	s_delay_alu instid0(VALU_DEP_1)
	v_cmpx_lt_i16_e64 0x7f, v148
	s_xor_b32 s39, exec_lo, s39
	s_cbranch_execnz .LBB2_1594
; %bb.1137:                             ;   in Loop: Header=BB2_1120 Depth=4
	s_or_saveexec_b32 s39, s39
	v_mov_b32_e32 v147, s38
	s_xor_b32 exec_lo, exec_lo, s39
	s_cbranch_execnz .LBB2_1597
.LBB2_1138:                             ;   in Loop: Header=BB2_1120 Depth=4
	s_or_b32 exec_lo, exec_lo, s39
	s_and_saveexec_b32 s38, s14
	s_cbranch_execz .LBB2_1140
.LBB2_1139:                             ;   in Loop: Header=BB2_1120 Depth=4
	v_and_b32_e32 v147, 7, v8
	v_bfe_u32 v150, v8, 3, 4
	v_lshlrev_b32_e32 v151, 24, v8
	s_delay_alu instid0(VALU_DEP_3) | instskip(NEXT) | instid1(VALU_DEP_3)
	v_clz_i32_u32_e32 v148, v147
	v_cmp_eq_u32_e32 vcc_lo, 0, v150
	s_delay_alu instid0(VALU_DEP_2) | instskip(NEXT) | instid1(VALU_DEP_1)
	v_min_u32_e32 v148, 32, v148
	v_subrev_nc_u32_e32 v149, 28, v148
	v_sub_nc_u32_e32 v148, 29, v148
	s_delay_alu instid0(VALU_DEP_2) | instskip(NEXT) | instid1(VALU_DEP_1)
	v_lshlrev_b32_e32 v149, v149, v8
	v_dual_cndmask_b32 v148, v150, v148 :: v_dual_and_b32 v149, 7, v149
	s_delay_alu instid0(VALU_DEP_1) | instskip(NEXT) | instid1(VALU_DEP_2)
	v_lshl_add_u32 v148, v148, 23, 0x3b800000
	v_cndmask_b32_e32 v147, v147, v149, vcc_lo
	v_and_b32_e32 v149, 0x80000000, v151
	s_delay_alu instid0(VALU_DEP_2) | instskip(NEXT) | instid1(VALU_DEP_1)
	v_lshlrev_b32_e32 v147, 20, v147
	v_or3_b32 v147, v149, v148, v147
.LBB2_1140:                             ;   in Loop: Header=BB2_1120 Depth=4
	s_or_b32 exec_lo, exec_lo, s38
	s_delay_alu instid0(VALU_DEP_1) | instskip(NEXT) | instid1(VALU_DEP_1)
	v_dual_max_f32 v147, v147, v147 :: v_dual_max_f32 v146, v146, v146
	v_min_f32_e32 v147, v146, v147
.LBB2_1141:                             ;   in Loop: Header=BB2_1120 Depth=4
	s_delay_alu instid0(VALU_DEP_1) | instskip(NEXT) | instid1(VALU_DEP_1)
	v_and_b32_e32 v146, 0x7f800000, v147
	v_cmp_ne_u32_e32 vcc_lo, 0x7f800000, v146
	v_mov_b32_e32 v146, 0x80
	s_and_saveexec_b32 s38, vcc_lo
	s_cbranch_execz .LBB2_1149
; %bb.1142:                             ;   in Loop: Header=BB2_1120 Depth=4
	v_mov_b32_e32 v146, 0
	s_mov_b32 s39, exec_lo
	v_cmpx_ne_u32_e32 0, v147
	s_cbranch_execz .LBB2_1148
; %bb.1143:                             ;   in Loop: Header=BB2_1120 Depth=4
	v_bfe_u32 v146, v147, 23, 8
	s_delay_alu instid0(VALU_DEP_1) | instskip(SKIP_1) | instid1(VALU_DEP_2)
	v_sub_nc_u32_e32 v149, 0x78, v146
	v_cmp_gt_u32_e32 vcc_lo, 0x79, v146
	v_dual_cndmask_b32 v149, 0, v149 :: v_dual_and_b32 v148, 0x7fffff, v147
	s_delay_alu instid0(VALU_DEP_1) | instskip(SKIP_2) | instid1(VALU_DEP_4)
	v_or_b32_e32 v150, 0x800000, v148
	v_cmp_eq_u32_e32 vcc_lo, 0, v146
	v_add_nc_u32_e32 v146, 0xffffff89, v146
	v_cndmask_b32_e64 v149, v149, 0x77, vcc_lo
	s_delay_alu instid0(VALU_DEP_2) | instskip(SKIP_1) | instid1(VALU_DEP_3)
	v_cndmask_b32_e64 v146, v146, 0xffffff8a, vcc_lo
	v_cndmask_b32_e32 v148, v150, v148, vcc_lo
	v_lshl_add_u32 v150, 0x100000, v149, -1
	v_lshlrev_b32_e64 v161, v149, 0x80000
	s_delay_alu instid0(VALU_DEP_3) | instskip(SKIP_1) | instid1(VALU_DEP_4)
	v_lshrrev_b32_e32 v151, v149, v148
	v_add_nc_u32_e32 v149, v149, v146
	v_and_b32_e32 v148, v150, v148
	s_delay_alu instid0(VALU_DEP_3) | instskip(NEXT) | instid1(VALU_DEP_2)
	v_bfe_u32 v160, v151, 20, 1
	v_cmp_eq_u32_e64 s14, v148, v161
	s_delay_alu instid0(VALU_DEP_2) | instskip(NEXT) | instid1(VALU_DEP_1)
	v_add_nc_u32_e32 v150, -1, v160
	v_cndmask_b32_e64 v148, 0, v150, s14
	v_lshrrev_b32_e32 v150, 23, v151
	s_mov_b32 s14, exec_lo
	s_delay_alu instid0(VALU_DEP_2) | instskip(NEXT) | instid1(VALU_DEP_2)
	v_add_nc_u32_e32 v148, v148, v151
	v_xor_b32_e32 v150, 1, v150
	s_delay_alu instid0(VALU_DEP_2) | instskip(NEXT) | instid1(VALU_DEP_1)
	v_and_b32_e32 v146, 0xfffff, v148
	v_add_nc_u32_e32 v148, v146, v151
                                        ; implicit-def: $vgpr146
	s_delay_alu instid0(VALU_DEP_3)
	v_cmpx_ne_u32_e64 v149, v150
	s_xor_b32 s14, exec_lo, s14
; %bb.1144:                             ;   in Loop: Header=BB2_1120 Depth=4
	s_delay_alu instid0(VALU_DEP_2) | instskip(SKIP_2) | instid1(VALU_DEP_2)
	v_cmp_lt_u32_e32 vcc_lo, 0xffffff, v148
	v_sub_nc_u32_e32 v146, v149, v150
	v_cndmask_b32_e64 v149, 0, 1, vcc_lo
	v_add_co_ci_u32_e32 v146, vcc_lo, 0, v146, vcc_lo
	s_delay_alu instid0(VALU_DEP_2)
	v_lshrrev_b32_e32 v148, v149, v148
; %bb.1145:                             ;   in Loop: Header=BB2_1120 Depth=4
	s_and_not1_saveexec_b32 s14, s14
; %bb.1146:                             ;   in Loop: Header=BB2_1120 Depth=4
	s_delay_alu instid0(VALU_DEP_1)
	v_bfe_u32 v146, v148, 23, 1
; %bb.1147:                             ;   in Loop: Header=BB2_1120 Depth=4
	s_or_b32 exec_lo, exec_lo, s14
	v_lshrrev_b32_e32 v148, 20, v148
	s_delay_alu instid0(VALU_DEP_2) | instskip(SKIP_2) | instid1(VALU_DEP_2)
	v_cmp_gt_i32_e32 vcc_lo, 16, v146
	v_lshrrev_b32_e32 v147, 24, v147
	v_min_i32_e32 v149, 15, v146
	v_dual_cndmask_b32 v148, 7, v148 :: v_dual_and_b32 v147, 0x80, v147
	s_delay_alu instid0(VALU_DEP_1) | instskip(SKIP_1) | instid1(VALU_DEP_2)
	v_or_b32_e32 v146, v146, v148
	v_and_b32_e32 v150, 7, v148
	v_cmp_ne_u32_e32 vcc_lo, 0, v146
	v_lshlrev_b32_e32 v149, 3, v149
	s_delay_alu instid0(VALU_DEP_1) | instskip(NEXT) | instid1(VALU_DEP_1)
	v_or3_b32 v147, v149, v147, v150
	v_cndmask_b32_e32 v146, 0, v147, vcc_lo
.LBB2_1148:                             ;   in Loop: Header=BB2_1120 Depth=4
	s_or_b32 exec_lo, exec_lo, s39
.LBB2_1149:                             ;   in Loop: Header=BB2_1120 Depth=4
	s_delay_alu instid0(SALU_CYCLE_1)
	s_or_b32 exec_lo, exec_lo, s38
	s_waitcnt vmcnt(1)
	v_lshrrev_b16 v148, 8, v12
	s_waitcnt vmcnt(0)
	v_lshrrev_b16 v147, 8, v8
	s_and_b32 vcc_lo, exec_lo, s37
	s_cbranch_vccz .LBB2_1159
; %bb.1150:                             ;   in Loop: Header=BB2_1120 Depth=4
	s_mov_b32 s14, 0
	s_mov_b32 s39, exec_lo
                                        ; implicit-def: $sgpr38
	v_cmpx_lt_i16_e64 0x7f, v148
	s_xor_b32 s39, exec_lo, s39
	s_cbranch_execnz .LBB2_1598
; %bb.1151:                             ;   in Loop: Header=BB2_1120 Depth=4
	s_or_saveexec_b32 s39, s39
	v_mov_b32_e32 v149, s38
	s_xor_b32 exec_lo, exec_lo, s39
	s_cbranch_execnz .LBB2_1601
.LBB2_1152:                             ;   in Loop: Header=BB2_1120 Depth=4
	s_or_b32 exec_lo, exec_lo, s39
	s_and_saveexec_b32 s38, s14
	s_cbranch_execz .LBB2_1154
.LBB2_1153:                             ;   in Loop: Header=BB2_1120 Depth=4
	v_and_b32_e32 v149, 0xffff, v148
	v_lshlrev_b32_e32 v161, 16, v12
	s_delay_alu instid0(VALU_DEP_2) | instskip(NEXT) | instid1(VALU_DEP_1)
	v_and_b32_e32 v150, 7, v149
	v_clz_i32_u32_e32 v151, v150
	s_delay_alu instid0(VALU_DEP_1) | instskip(NEXT) | instid1(VALU_DEP_1)
	v_min_u32_e32 v151, 32, v151
	v_subrev_nc_u32_e32 v160, 28, v151
	v_sub_nc_u32_e32 v151, 29, v151
	s_delay_alu instid0(VALU_DEP_2) | instskip(SKIP_1) | instid1(VALU_DEP_2)
	v_lshlrev_b32_e32 v160, v160, v149
	v_bfe_u32 v149, v149, 3, 4
	v_and_b32_e32 v160, 7, v160
	s_delay_alu instid0(VALU_DEP_2) | instskip(NEXT) | instid1(VALU_DEP_2)
	v_cmp_eq_u32_e32 vcc_lo, 0, v149
	v_dual_cndmask_b32 v149, v149, v151 :: v_dual_cndmask_b32 v150, v150, v160
	v_and_b32_e32 v151, 0x80000000, v161
	s_delay_alu instid0(VALU_DEP_2) | instskip(NEXT) | instid1(VALU_DEP_3)
	v_lshl_add_u32 v149, v149, 23, 0x3b800000
	v_lshlrev_b32_e32 v150, 20, v150
	s_delay_alu instid0(VALU_DEP_1)
	v_or3_b32 v149, v151, v149, v150
.LBB2_1154:                             ;   in Loop: Header=BB2_1120 Depth=4
	s_or_b32 exec_lo, exec_lo, s38
	s_mov_b32 s14, 0
	s_mov_b32 s39, exec_lo
                                        ; implicit-def: $sgpr38
	v_cmpx_lt_i16_e64 0x7f, v147
	s_xor_b32 s39, exec_lo, s39
	s_cbranch_execnz .LBB2_1602
; %bb.1155:                             ;   in Loop: Header=BB2_1120 Depth=4
	s_or_saveexec_b32 s39, s39
	v_mov_b32_e32 v150, s38
	s_xor_b32 exec_lo, exec_lo, s39
	s_cbranch_execnz .LBB2_1605
.LBB2_1156:                             ;   in Loop: Header=BB2_1120 Depth=4
	s_or_b32 exec_lo, exec_lo, s39
	s_and_saveexec_b32 s38, s14
	s_cbranch_execz .LBB2_1158
.LBB2_1157:                             ;   in Loop: Header=BB2_1120 Depth=4
	v_and_b32_e32 v150, 0xffff, v147
	v_lshlrev_b32_e32 v162, 16, v8
	s_delay_alu instid0(VALU_DEP_2) | instskip(NEXT) | instid1(VALU_DEP_1)
	v_and_b32_e32 v151, 7, v150
	v_clz_i32_u32_e32 v160, v151
	s_delay_alu instid0(VALU_DEP_1) | instskip(NEXT) | instid1(VALU_DEP_1)
	v_min_u32_e32 v160, 32, v160
	v_subrev_nc_u32_e32 v161, 28, v160
	v_sub_nc_u32_e32 v160, 29, v160
	s_delay_alu instid0(VALU_DEP_2) | instskip(SKIP_1) | instid1(VALU_DEP_2)
	v_lshlrev_b32_e32 v161, v161, v150
	v_bfe_u32 v150, v150, 3, 4
	v_and_b32_e32 v161, 7, v161
	s_delay_alu instid0(VALU_DEP_2) | instskip(NEXT) | instid1(VALU_DEP_2)
	v_cmp_eq_u32_e32 vcc_lo, 0, v150
	v_dual_cndmask_b32 v150, v150, v160 :: v_dual_cndmask_b32 v151, v151, v161
	v_and_b32_e32 v160, 0x80000000, v162
	s_delay_alu instid0(VALU_DEP_2) | instskip(NEXT) | instid1(VALU_DEP_3)
	v_lshl_add_u32 v150, v150, 23, 0x3b800000
	v_lshlrev_b32_e32 v151, 20, v151
	s_delay_alu instid0(VALU_DEP_1)
	v_or3_b32 v150, v160, v150, v151
.LBB2_1158:                             ;   in Loop: Header=BB2_1120 Depth=4
	s_or_b32 exec_lo, exec_lo, s38
	s_delay_alu instid0(VALU_DEP_1) | instskip(SKIP_1) | instid1(VALU_DEP_1)
	v_dual_max_f32 v150, v150, v150 :: v_dual_max_f32 v149, v149, v149
	s_mov_b32 s14, 0
	v_max_f32_e32 v149, v149, v150
	s_branch .LBB2_1160
.LBB2_1159:                             ;   in Loop: Header=BB2_1120 Depth=4
	s_mov_b32 s14, -1
                                        ; implicit-def: $vgpr149
.LBB2_1160:                             ;   in Loop: Header=BB2_1120 Depth=4
	s_delay_alu instid0(SALU_CYCLE_1)
	s_and_b32 vcc_lo, exec_lo, s14
	s_cbranch_vccz .LBB2_1170
; %bb.1161:                             ;   in Loop: Header=BB2_1120 Depth=4
	s_mov_b32 s14, 0
	s_mov_b32 s39, exec_lo
                                        ; implicit-def: $sgpr38
	v_cmpx_lt_i16_e64 0x7f, v148
	s_xor_b32 s39, exec_lo, s39
	s_cbranch_execnz .LBB2_1606
; %bb.1162:                             ;   in Loop: Header=BB2_1120 Depth=4
	s_or_saveexec_b32 s39, s39
	v_mov_b32_e32 v149, s38
	s_xor_b32 exec_lo, exec_lo, s39
	s_cbranch_execnz .LBB2_1609
.LBB2_1163:                             ;   in Loop: Header=BB2_1120 Depth=4
	s_or_b32 exec_lo, exec_lo, s39
	s_and_saveexec_b32 s38, s14
	s_cbranch_execz .LBB2_1165
.LBB2_1164:                             ;   in Loop: Header=BB2_1120 Depth=4
	v_and_b32_e32 v148, 0xffff, v148
	v_lshlrev_b32_e32 v160, 16, v12
	s_delay_alu instid0(VALU_DEP_2) | instskip(NEXT) | instid1(VALU_DEP_1)
	v_and_b32_e32 v149, 7, v148
	v_clz_i32_u32_e32 v150, v149
	s_delay_alu instid0(VALU_DEP_1) | instskip(NEXT) | instid1(VALU_DEP_1)
	v_min_u32_e32 v150, 32, v150
	v_subrev_nc_u32_e32 v151, 28, v150
	v_sub_nc_u32_e32 v150, 29, v150
	s_delay_alu instid0(VALU_DEP_2) | instskip(SKIP_1) | instid1(VALU_DEP_2)
	v_lshlrev_b32_e32 v151, v151, v148
	v_bfe_u32 v148, v148, 3, 4
	v_and_b32_e32 v151, 7, v151
	s_delay_alu instid0(VALU_DEP_2) | instskip(NEXT) | instid1(VALU_DEP_2)
	v_cmp_eq_u32_e32 vcc_lo, 0, v148
	v_dual_cndmask_b32 v148, v148, v150 :: v_dual_cndmask_b32 v149, v149, v151
	v_and_b32_e32 v150, 0x80000000, v160
	s_delay_alu instid0(VALU_DEP_2) | instskip(NEXT) | instid1(VALU_DEP_3)
	v_lshl_add_u32 v148, v148, 23, 0x3b800000
	v_lshlrev_b32_e32 v149, 20, v149
	s_delay_alu instid0(VALU_DEP_1)
	v_or3_b32 v149, v150, v148, v149
.LBB2_1165:                             ;   in Loop: Header=BB2_1120 Depth=4
	s_or_b32 exec_lo, exec_lo, s38
	s_mov_b32 s14, 0
	s_mov_b32 s39, exec_lo
                                        ; implicit-def: $sgpr38
	v_cmpx_lt_i16_e64 0x7f, v147
	s_xor_b32 s39, exec_lo, s39
	s_cbranch_execnz .LBB2_1610
; %bb.1166:                             ;   in Loop: Header=BB2_1120 Depth=4
	s_or_saveexec_b32 s39, s39
	v_mov_b32_e32 v148, s38
	s_xor_b32 exec_lo, exec_lo, s39
	s_cbranch_execnz .LBB2_1613
.LBB2_1167:                             ;   in Loop: Header=BB2_1120 Depth=4
	s_or_b32 exec_lo, exec_lo, s39
	s_and_saveexec_b32 s38, s14
	s_cbranch_execz .LBB2_1169
.LBB2_1168:                             ;   in Loop: Header=BB2_1120 Depth=4
	v_and_b32_e32 v147, 0xffff, v147
	v_lshlrev_b32_e32 v160, 16, v8
	s_delay_alu instid0(VALU_DEP_2) | instskip(NEXT) | instid1(VALU_DEP_1)
	v_and_b32_e32 v148, 7, v147
	v_clz_i32_u32_e32 v150, v148
	s_delay_alu instid0(VALU_DEP_1) | instskip(NEXT) | instid1(VALU_DEP_1)
	v_min_u32_e32 v150, 32, v150
	v_subrev_nc_u32_e32 v151, 28, v150
	v_sub_nc_u32_e32 v150, 29, v150
	s_delay_alu instid0(VALU_DEP_2) | instskip(SKIP_1) | instid1(VALU_DEP_2)
	v_lshlrev_b32_e32 v151, v151, v147
	v_bfe_u32 v147, v147, 3, 4
	v_and_b32_e32 v151, 7, v151
	s_delay_alu instid0(VALU_DEP_2) | instskip(NEXT) | instid1(VALU_DEP_2)
	v_cmp_eq_u32_e32 vcc_lo, 0, v147
	v_dual_cndmask_b32 v147, v147, v150 :: v_dual_cndmask_b32 v148, v148, v151
	v_and_b32_e32 v150, 0x80000000, v160
	s_delay_alu instid0(VALU_DEP_2) | instskip(NEXT) | instid1(VALU_DEP_3)
	v_lshl_add_u32 v147, v147, 23, 0x3b800000
	v_lshlrev_b32_e32 v148, 20, v148
	s_delay_alu instid0(VALU_DEP_1)
	v_or3_b32 v148, v150, v147, v148
.LBB2_1169:                             ;   in Loop: Header=BB2_1120 Depth=4
	s_or_b32 exec_lo, exec_lo, s38
	s_delay_alu instid0(VALU_DEP_1) | instskip(NEXT) | instid1(VALU_DEP_1)
	v_dual_max_f32 v147, v148, v148 :: v_dual_max_f32 v148, v149, v149
	v_min_f32_e32 v149, v148, v147
.LBB2_1170:                             ;   in Loop: Header=BB2_1120 Depth=4
	s_delay_alu instid0(VALU_DEP_1) | instskip(NEXT) | instid1(VALU_DEP_1)
	v_and_b32_e32 v147, 0x7f800000, v149
	v_cmp_ne_u32_e32 vcc_lo, 0x7f800000, v147
	v_mov_b32_e32 v147, 0x80
	s_and_saveexec_b32 s38, vcc_lo
	s_cbranch_execz .LBB2_1178
; %bb.1171:                             ;   in Loop: Header=BB2_1120 Depth=4
	v_mov_b32_e32 v147, 0
	s_mov_b32 s39, exec_lo
	v_cmpx_ne_u32_e32 0, v149
	s_cbranch_execz .LBB2_1177
; %bb.1172:                             ;   in Loop: Header=BB2_1120 Depth=4
	v_bfe_u32 v147, v149, 23, 8
	v_and_b32_e32 v148, 0x7fffff, v149
	s_delay_alu instid0(VALU_DEP_2) | instskip(SKIP_1) | instid1(VALU_DEP_3)
	v_sub_nc_u32_e32 v150, 0x78, v147
	v_cmp_gt_u32_e32 vcc_lo, 0x79, v147
	v_or_b32_e32 v151, 0x800000, v148
	s_delay_alu instid0(VALU_DEP_3) | instskip(SKIP_2) | instid1(VALU_DEP_3)
	v_cndmask_b32_e32 v150, 0, v150, vcc_lo
	v_cmp_eq_u32_e32 vcc_lo, 0, v147
	v_add_nc_u32_e32 v147, 0xffffff89, v147
	v_cndmask_b32_e64 v150, v150, 0x77, vcc_lo
	v_cndmask_b32_e32 v148, v151, v148, vcc_lo
	s_delay_alu instid0(VALU_DEP_3) | instskip(NEXT) | instid1(VALU_DEP_3)
	v_cndmask_b32_e64 v147, v147, 0xffffff8a, vcc_lo
	v_lshl_add_u32 v151, 0x100000, v150, -1
	s_delay_alu instid0(VALU_DEP_3) | instskip(SKIP_1) | instid1(VALU_DEP_4)
	v_lshrrev_b32_e32 v160, v150, v148
	v_lshlrev_b32_e64 v162, v150, 0x80000
	v_add_nc_u32_e32 v150, v150, v147
	s_delay_alu instid0(VALU_DEP_4) | instskip(NEXT) | instid1(VALU_DEP_4)
	v_and_b32_e32 v148, v151, v148
	v_bfe_u32 v161, v160, 20, 1
	s_delay_alu instid0(VALU_DEP_2) | instskip(NEXT) | instid1(VALU_DEP_2)
	v_cmp_eq_u32_e64 s14, v148, v162
	v_add_nc_u32_e32 v151, -1, v161
	s_delay_alu instid0(VALU_DEP_1) | instskip(SKIP_2) | instid1(VALU_DEP_2)
	v_cndmask_b32_e64 v148, 0, v151, s14
	v_lshrrev_b32_e32 v151, 23, v160
	s_mov_b32 s14, exec_lo
	v_add_nc_u32_e32 v148, v148, v160
	s_delay_alu instid0(VALU_DEP_2) | instskip(NEXT) | instid1(VALU_DEP_2)
	v_xor_b32_e32 v151, 1, v151
	v_and_b32_e32 v147, 0xfffff, v148
	s_delay_alu instid0(VALU_DEP_1) | instskip(NEXT) | instid1(VALU_DEP_3)
	v_add_nc_u32_e32 v148, v147, v160
                                        ; implicit-def: $vgpr147
	v_cmpx_ne_u32_e64 v150, v151
	s_xor_b32 s14, exec_lo, s14
; %bb.1173:                             ;   in Loop: Header=BB2_1120 Depth=4
	s_delay_alu instid0(VALU_DEP_2) | instskip(SKIP_2) | instid1(VALU_DEP_2)
	v_cmp_lt_u32_e32 vcc_lo, 0xffffff, v148
	v_sub_nc_u32_e32 v147, v150, v151
	v_cndmask_b32_e64 v150, 0, 1, vcc_lo
	v_add_co_ci_u32_e32 v147, vcc_lo, 0, v147, vcc_lo
	s_delay_alu instid0(VALU_DEP_2)
	v_lshrrev_b32_e32 v148, v150, v148
; %bb.1174:                             ;   in Loop: Header=BB2_1120 Depth=4
	s_and_not1_saveexec_b32 s14, s14
; %bb.1175:                             ;   in Loop: Header=BB2_1120 Depth=4
	s_delay_alu instid0(VALU_DEP_1)
	v_bfe_u32 v147, v148, 23, 1
; %bb.1176:                             ;   in Loop: Header=BB2_1120 Depth=4
	s_or_b32 exec_lo, exec_lo, s14
	v_lshrrev_b32_e32 v148, 20, v148
	s_delay_alu instid0(VALU_DEP_2) | instskip(SKIP_2) | instid1(VALU_DEP_2)
	v_cmp_gt_i32_e32 vcc_lo, 16, v147
	v_lshrrev_b32_e32 v149, 24, v149
	v_min_i32_e32 v150, 15, v147
	v_dual_cndmask_b32 v148, 7, v148 :: v_dual_and_b32 v149, 0x80, v149
	s_delay_alu instid0(VALU_DEP_1) | instskip(SKIP_1) | instid1(VALU_DEP_2)
	v_or_b32_e32 v147, v147, v148
	v_and_b32_e32 v151, 7, v148
	v_cmp_ne_u32_e32 vcc_lo, 0, v147
	v_lshlrev_b32_e32 v150, 3, v150
	s_delay_alu instid0(VALU_DEP_1) | instskip(NEXT) | instid1(VALU_DEP_1)
	v_or3_b32 v148, v150, v149, v151
	v_cndmask_b32_e32 v147, 0, v148, vcc_lo
.LBB2_1177:                             ;   in Loop: Header=BB2_1120 Depth=4
	s_or_b32 exec_lo, exec_lo, s39
.LBB2_1178:                             ;   in Loop: Header=BB2_1120 Depth=4
	s_delay_alu instid0(SALU_CYCLE_1)
	s_or_b32 exec_lo, exec_lo, s38
	v_lshrrev_b32_e32 v149, 16, v12
	v_lshrrev_b32_e32 v148, 16, v8
	s_and_b32 vcc_lo, exec_lo, s37
	s_cbranch_vccz .LBB2_1188
; %bb.1179:                             ;   in Loop: Header=BB2_1120 Depth=4
	s_delay_alu instid0(VALU_DEP_2) | instskip(SKIP_2) | instid1(VALU_DEP_1)
	v_and_b32_e32 v151, 0xff, v149
	s_mov_b32 s14, 0
	s_mov_b32 s39, exec_lo
                                        ; implicit-def: $sgpr38
	v_cmpx_lt_i16_e64 0x7f, v151
	s_xor_b32 s39, exec_lo, s39
	s_cbranch_execnz .LBB2_1614
; %bb.1180:                             ;   in Loop: Header=BB2_1120 Depth=4
	s_or_saveexec_b32 s39, s39
	v_mov_b32_e32 v150, s38
	s_xor_b32 exec_lo, exec_lo, s39
	s_cbranch_execnz .LBB2_1617
.LBB2_1181:                             ;   in Loop: Header=BB2_1120 Depth=4
	s_or_b32 exec_lo, exec_lo, s39
	s_and_saveexec_b32 s38, s14
	s_cbranch_execz .LBB2_1183
.LBB2_1182:                             ;   in Loop: Header=BB2_1120 Depth=4
	v_bfe_u32 v150, v12, 16, 3
	v_bfe_u32 v161, v12, 19, 4
	v_lshlrev_b32_e32 v162, 24, v149
	s_delay_alu instid0(VALU_DEP_3) | instskip(NEXT) | instid1(VALU_DEP_3)
	v_clz_i32_u32_e32 v151, v150
	v_cmp_eq_u32_e32 vcc_lo, 0, v161
	s_delay_alu instid0(VALU_DEP_2) | instskip(NEXT) | instid1(VALU_DEP_1)
	v_min_u32_e32 v151, 32, v151
	v_subrev_nc_u32_e32 v160, 28, v151
	v_sub_nc_u32_e32 v151, 29, v151
	s_delay_alu instid0(VALU_DEP_1) | instskip(NEXT) | instid1(VALU_DEP_1)
	v_dual_cndmask_b32 v151, v161, v151 :: v_dual_lshlrev_b32 v160, v160, v149
	v_and_b32_e32 v160, 7, v160
	s_delay_alu instid0(VALU_DEP_2) | instskip(NEXT) | instid1(VALU_DEP_2)
	v_lshl_add_u32 v151, v151, 23, 0x3b800000
	v_cndmask_b32_e32 v150, v150, v160, vcc_lo
	v_and_b32_e32 v160, 0x80000000, v162
	s_delay_alu instid0(VALU_DEP_2) | instskip(NEXT) | instid1(VALU_DEP_1)
	v_lshlrev_b32_e32 v150, 20, v150
	v_or3_b32 v150, v160, v151, v150
.LBB2_1183:                             ;   in Loop: Header=BB2_1120 Depth=4
	s_or_b32 exec_lo, exec_lo, s38
	v_and_b32_e32 v160, 0xff, v148
	s_mov_b32 s14, 0
	s_mov_b32 s39, exec_lo
                                        ; implicit-def: $sgpr38
	s_delay_alu instid0(VALU_DEP_1)
	v_cmpx_lt_i16_e64 0x7f, v160
	s_xor_b32 s39, exec_lo, s39
	s_cbranch_execnz .LBB2_1618
; %bb.1184:                             ;   in Loop: Header=BB2_1120 Depth=4
	s_or_saveexec_b32 s39, s39
	v_mov_b32_e32 v151, s38
	s_xor_b32 exec_lo, exec_lo, s39
	s_cbranch_execnz .LBB2_1621
.LBB2_1185:                             ;   in Loop: Header=BB2_1120 Depth=4
	s_or_b32 exec_lo, exec_lo, s39
	s_and_saveexec_b32 s38, s14
	s_cbranch_execz .LBB2_1187
.LBB2_1186:                             ;   in Loop: Header=BB2_1120 Depth=4
	v_bfe_u32 v151, v8, 16, 3
	v_bfe_u32 v162, v8, 19, 4
	v_lshlrev_b32_e32 v163, 24, v148
	s_delay_alu instid0(VALU_DEP_3) | instskip(NEXT) | instid1(VALU_DEP_3)
	v_clz_i32_u32_e32 v160, v151
	v_cmp_eq_u32_e32 vcc_lo, 0, v162
	s_delay_alu instid0(VALU_DEP_2) | instskip(NEXT) | instid1(VALU_DEP_1)
	v_min_u32_e32 v160, 32, v160
	v_subrev_nc_u32_e32 v161, 28, v160
	v_sub_nc_u32_e32 v160, 29, v160
	s_delay_alu instid0(VALU_DEP_2) | instskip(NEXT) | instid1(VALU_DEP_1)
	v_lshlrev_b32_e32 v161, v161, v148
	v_dual_cndmask_b32 v160, v162, v160 :: v_dual_and_b32 v161, 7, v161
	s_delay_alu instid0(VALU_DEP_1) | instskip(NEXT) | instid1(VALU_DEP_2)
	v_lshl_add_u32 v160, v160, 23, 0x3b800000
	v_cndmask_b32_e32 v151, v151, v161, vcc_lo
	v_and_b32_e32 v161, 0x80000000, v163
	s_delay_alu instid0(VALU_DEP_2) | instskip(NEXT) | instid1(VALU_DEP_1)
	v_lshlrev_b32_e32 v151, 20, v151
	v_or3_b32 v151, v161, v160, v151
.LBB2_1187:                             ;   in Loop: Header=BB2_1120 Depth=4
	s_or_b32 exec_lo, exec_lo, s38
	s_delay_alu instid0(VALU_DEP_1) | instskip(SKIP_1) | instid1(VALU_DEP_1)
	v_dual_max_f32 v151, v151, v151 :: v_dual_max_f32 v150, v150, v150
	s_mov_b32 s14, 0
	v_max_f32_e32 v150, v150, v151
	s_branch .LBB2_1189
.LBB2_1188:                             ;   in Loop: Header=BB2_1120 Depth=4
	s_mov_b32 s14, -1
                                        ; implicit-def: $vgpr150
.LBB2_1189:                             ;   in Loop: Header=BB2_1120 Depth=4
	s_delay_alu instid0(SALU_CYCLE_1)
	s_and_b32 vcc_lo, exec_lo, s14
	s_cbranch_vccz .LBB2_1199
; %bb.1190:                             ;   in Loop: Header=BB2_1120 Depth=4
	v_and_b32_e32 v151, 0xff, v149
	s_mov_b32 s14, 0
	s_mov_b32 s39, exec_lo
                                        ; implicit-def: $sgpr38
	s_delay_alu instid0(VALU_DEP_1)
	v_cmpx_lt_i16_e64 0x7f, v151
	s_xor_b32 s39, exec_lo, s39
	s_cbranch_execnz .LBB2_1622
; %bb.1191:                             ;   in Loop: Header=BB2_1120 Depth=4
	s_or_saveexec_b32 s39, s39
	v_mov_b32_e32 v150, s38
	s_xor_b32 exec_lo, exec_lo, s39
	s_cbranch_execnz .LBB2_1625
.LBB2_1192:                             ;   in Loop: Header=BB2_1120 Depth=4
	s_or_b32 exec_lo, exec_lo, s39
	s_and_saveexec_b32 s38, s14
	s_cbranch_execz .LBB2_1194
.LBB2_1193:                             ;   in Loop: Header=BB2_1120 Depth=4
	v_bfe_u32 v150, v12, 16, 3
	v_bfe_u32 v161, v12, 19, 4
	s_delay_alu instid0(VALU_DEP_2) | instskip(NEXT) | instid1(VALU_DEP_2)
	v_clz_i32_u32_e32 v151, v150
	v_cmp_eq_u32_e32 vcc_lo, 0, v161
	s_delay_alu instid0(VALU_DEP_2) | instskip(NEXT) | instid1(VALU_DEP_1)
	v_min_u32_e32 v151, 32, v151
	v_subrev_nc_u32_e32 v160, 28, v151
	v_sub_nc_u32_e32 v151, 29, v151
	s_delay_alu instid0(VALU_DEP_1) | instskip(NEXT) | instid1(VALU_DEP_1)
	v_dual_cndmask_b32 v151, v161, v151 :: v_dual_lshlrev_b32 v160, v160, v149
	v_and_b32_e32 v160, 7, v160
	v_lshlrev_b32_e32 v149, 24, v149
	s_delay_alu instid0(VALU_DEP_3) | instskip(NEXT) | instid1(VALU_DEP_2)
	v_lshl_add_u32 v151, v151, 23, 0x3b800000
	v_dual_cndmask_b32 v150, v150, v160 :: v_dual_and_b32 v149, 0x80000000, v149
	s_delay_alu instid0(VALU_DEP_1) | instskip(NEXT) | instid1(VALU_DEP_1)
	v_lshlrev_b32_e32 v150, 20, v150
	v_or3_b32 v150, v149, v151, v150
.LBB2_1194:                             ;   in Loop: Header=BB2_1120 Depth=4
	s_or_b32 exec_lo, exec_lo, s38
	v_and_b32_e32 v151, 0xff, v148
	s_mov_b32 s14, 0
	s_mov_b32 s39, exec_lo
                                        ; implicit-def: $sgpr38
	s_delay_alu instid0(VALU_DEP_1)
	v_cmpx_lt_i16_e64 0x7f, v151
	s_xor_b32 s39, exec_lo, s39
	s_cbranch_execnz .LBB2_1626
; %bb.1195:                             ;   in Loop: Header=BB2_1120 Depth=4
	s_or_saveexec_b32 s39, s39
	v_mov_b32_e32 v149, s38
	s_xor_b32 exec_lo, exec_lo, s39
	s_cbranch_execnz .LBB2_1629
.LBB2_1196:                             ;   in Loop: Header=BB2_1120 Depth=4
	s_or_b32 exec_lo, exec_lo, s39
	s_and_saveexec_b32 s38, s14
	s_cbranch_execz .LBB2_1198
.LBB2_1197:                             ;   in Loop: Header=BB2_1120 Depth=4
	v_bfe_u32 v149, v8, 16, 3
	v_bfe_u32 v161, v8, 19, 4
	s_delay_alu instid0(VALU_DEP_2) | instskip(NEXT) | instid1(VALU_DEP_2)
	v_clz_i32_u32_e32 v151, v149
	v_cmp_eq_u32_e32 vcc_lo, 0, v161
	s_delay_alu instid0(VALU_DEP_2) | instskip(NEXT) | instid1(VALU_DEP_1)
	v_min_u32_e32 v151, 32, v151
	v_subrev_nc_u32_e32 v160, 28, v151
	v_sub_nc_u32_e32 v151, 29, v151
	s_delay_alu instid0(VALU_DEP_1) | instskip(SKIP_1) | instid1(VALU_DEP_2)
	v_dual_cndmask_b32 v151, v161, v151 :: v_dual_lshlrev_b32 v160, v160, v148
	v_lshlrev_b32_e32 v148, 24, v148
	v_and_b32_e32 v160, 7, v160
	s_delay_alu instid0(VALU_DEP_3) | instskip(NEXT) | instid1(VALU_DEP_3)
	v_lshl_add_u32 v151, v151, 23, 0x3b800000
	v_and_b32_e32 v148, 0x80000000, v148
	s_delay_alu instid0(VALU_DEP_3) | instskip(NEXT) | instid1(VALU_DEP_1)
	v_cndmask_b32_e32 v149, v149, v160, vcc_lo
	v_lshlrev_b32_e32 v149, 20, v149
	s_delay_alu instid0(VALU_DEP_1)
	v_or3_b32 v149, v148, v151, v149
.LBB2_1198:                             ;   in Loop: Header=BB2_1120 Depth=4
	s_or_b32 exec_lo, exec_lo, s38
	s_delay_alu instid0(VALU_DEP_1) | instskip(NEXT) | instid1(VALU_DEP_1)
	v_dual_max_f32 v148, v149, v149 :: v_dual_max_f32 v149, v150, v150
	v_min_f32_e32 v150, v149, v148
.LBB2_1199:                             ;   in Loop: Header=BB2_1120 Depth=4
	s_delay_alu instid0(VALU_DEP_1) | instskip(NEXT) | instid1(VALU_DEP_1)
	v_and_b32_e32 v148, 0x7f800000, v150
	v_cmp_ne_u32_e32 vcc_lo, 0x7f800000, v148
	v_mov_b32_e32 v148, 0x80
	s_and_saveexec_b32 s38, vcc_lo
	s_cbranch_execz .LBB2_1207
; %bb.1200:                             ;   in Loop: Header=BB2_1120 Depth=4
	v_mov_b32_e32 v148, 0
	s_mov_b32 s39, exec_lo
	v_cmpx_ne_u32_e32 0, v150
	s_cbranch_execz .LBB2_1206
; %bb.1201:                             ;   in Loop: Header=BB2_1120 Depth=4
	v_bfe_u32 v148, v150, 23, 8
	v_and_b32_e32 v149, 0x7fffff, v150
	s_delay_alu instid0(VALU_DEP_2) | instskip(SKIP_1) | instid1(VALU_DEP_3)
	v_sub_nc_u32_e32 v151, 0x78, v148
	v_cmp_gt_u32_e32 vcc_lo, 0x79, v148
	v_or_b32_e32 v160, 0x800000, v149
	s_delay_alu instid0(VALU_DEP_3) | instskip(SKIP_2) | instid1(VALU_DEP_3)
	v_cndmask_b32_e32 v151, 0, v151, vcc_lo
	v_cmp_eq_u32_e32 vcc_lo, 0, v148
	v_add_nc_u32_e32 v148, 0xffffff89, v148
	v_cndmask_b32_e64 v151, v151, 0x77, vcc_lo
	v_cndmask_b32_e32 v149, v160, v149, vcc_lo
	s_delay_alu instid0(VALU_DEP_3) | instskip(NEXT) | instid1(VALU_DEP_3)
	v_cndmask_b32_e64 v148, v148, 0xffffff8a, vcc_lo
	v_lshl_add_u32 v160, 0x100000, v151, -1
	s_delay_alu instid0(VALU_DEP_3) | instskip(SKIP_1) | instid1(VALU_DEP_4)
	v_lshrrev_b32_e32 v161, v151, v149
	v_lshlrev_b32_e64 v163, v151, 0x80000
	v_add_nc_u32_e32 v151, v151, v148
	s_delay_alu instid0(VALU_DEP_4) | instskip(NEXT) | instid1(VALU_DEP_4)
	v_and_b32_e32 v149, v160, v149
	v_bfe_u32 v162, v161, 20, 1
	s_delay_alu instid0(VALU_DEP_2) | instskip(NEXT) | instid1(VALU_DEP_2)
	v_cmp_eq_u32_e64 s14, v149, v163
	v_add_nc_u32_e32 v160, -1, v162
	s_delay_alu instid0(VALU_DEP_1) | instskip(SKIP_2) | instid1(VALU_DEP_2)
	v_cndmask_b32_e64 v149, 0, v160, s14
	v_lshrrev_b32_e32 v160, 23, v161
	s_mov_b32 s14, exec_lo
	v_add_nc_u32_e32 v149, v149, v161
	s_delay_alu instid0(VALU_DEP_2) | instskip(NEXT) | instid1(VALU_DEP_2)
	v_xor_b32_e32 v160, 1, v160
	v_and_b32_e32 v148, 0xfffff, v149
	s_delay_alu instid0(VALU_DEP_1) | instskip(NEXT) | instid1(VALU_DEP_3)
	v_add_nc_u32_e32 v149, v148, v161
                                        ; implicit-def: $vgpr148
	v_cmpx_ne_u32_e64 v151, v160
	s_xor_b32 s14, exec_lo, s14
; %bb.1202:                             ;   in Loop: Header=BB2_1120 Depth=4
	s_delay_alu instid0(VALU_DEP_2) | instskip(SKIP_2) | instid1(VALU_DEP_2)
	v_cmp_lt_u32_e32 vcc_lo, 0xffffff, v149
	v_sub_nc_u32_e32 v148, v151, v160
	v_cndmask_b32_e64 v151, 0, 1, vcc_lo
	v_add_co_ci_u32_e32 v148, vcc_lo, 0, v148, vcc_lo
	s_delay_alu instid0(VALU_DEP_2)
	v_lshrrev_b32_e32 v149, v151, v149
; %bb.1203:                             ;   in Loop: Header=BB2_1120 Depth=4
	s_and_not1_saveexec_b32 s14, s14
; %bb.1204:                             ;   in Loop: Header=BB2_1120 Depth=4
	s_delay_alu instid0(VALU_DEP_1)
	v_bfe_u32 v148, v149, 23, 1
; %bb.1205:                             ;   in Loop: Header=BB2_1120 Depth=4
	s_or_b32 exec_lo, exec_lo, s14
	v_lshrrev_b32_e32 v149, 20, v149
	s_delay_alu instid0(VALU_DEP_2) | instskip(SKIP_2) | instid1(VALU_DEP_2)
	v_cmp_gt_i32_e32 vcc_lo, 16, v148
	v_lshrrev_b32_e32 v150, 24, v150
	v_min_i32_e32 v151, 15, v148
	v_dual_cndmask_b32 v149, 7, v149 :: v_dual_and_b32 v150, 0x80, v150
	s_delay_alu instid0(VALU_DEP_1) | instskip(SKIP_1) | instid1(VALU_DEP_2)
	v_or_b32_e32 v148, v148, v149
	v_and_b32_e32 v160, 7, v149
	v_cmp_ne_u32_e32 vcc_lo, 0, v148
	v_lshlrev_b32_e32 v151, 3, v151
	s_delay_alu instid0(VALU_DEP_1) | instskip(NEXT) | instid1(VALU_DEP_1)
	v_or3_b32 v149, v151, v150, v160
	v_cndmask_b32_e32 v148, 0, v149, vcc_lo
.LBB2_1206:                             ;   in Loop: Header=BB2_1120 Depth=4
	s_or_b32 exec_lo, exec_lo, s39
.LBB2_1207:                             ;   in Loop: Header=BB2_1120 Depth=4
	s_delay_alu instid0(SALU_CYCLE_1)
	s_or_b32 exec_lo, exec_lo, s38
	v_lshrrev_b32_e32 v150, 24, v12
	v_lshrrev_b32_e32 v149, 24, v8
	s_and_b32 vcc_lo, exec_lo, s37
	s_cbranch_vccz .LBB2_1217
; %bb.1208:                             ;   in Loop: Header=BB2_1120 Depth=4
	s_mov_b32 s14, 0
	s_mov_b32 s39, exec_lo
                                        ; implicit-def: $sgpr38
	v_cmpx_lt_i16_e64 0x7f, v150
	s_xor_b32 s39, exec_lo, s39
	s_cbranch_execnz .LBB2_1630
; %bb.1209:                             ;   in Loop: Header=BB2_1120 Depth=4
	s_or_saveexec_b32 s39, s39
	v_mov_b32_e32 v151, s38
	s_xor_b32 exec_lo, exec_lo, s39
	s_cbranch_execnz .LBB2_1633
.LBB2_1210:                             ;   in Loop: Header=BB2_1120 Depth=4
	s_or_b32 exec_lo, exec_lo, s39
	s_and_saveexec_b32 s38, s14
	s_cbranch_execz .LBB2_1212
.LBB2_1211:                             ;   in Loop: Header=BB2_1120 Depth=4
	v_bfe_u32 v151, v12, 24, 3
	v_bfe_u32 v162, v12, 27, 4
	s_delay_alu instid0(VALU_DEP_2) | instskip(NEXT) | instid1(VALU_DEP_2)
	v_clz_i32_u32_e32 v160, v151
	v_cmp_eq_u32_e32 vcc_lo, 0, v162
	s_delay_alu instid0(VALU_DEP_2) | instskip(NEXT) | instid1(VALU_DEP_1)
	v_min_u32_e32 v160, 32, v160
	v_subrev_nc_u32_e32 v161, 28, v160
	v_sub_nc_u32_e32 v160, 29, v160
	s_delay_alu instid0(VALU_DEP_1) | instskip(NEXT) | instid1(VALU_DEP_1)
	v_dual_cndmask_b32 v160, v162, v160 :: v_dual_lshlrev_b32 v161, v161, v150
	v_and_b32_e32 v161, 7, v161
	s_delay_alu instid0(VALU_DEP_2) | instskip(NEXT) | instid1(VALU_DEP_2)
	v_lshl_add_u32 v160, v160, 23, 0x3b800000
	v_cndmask_b32_e32 v151, v151, v161, vcc_lo
	v_and_b32_e32 v161, 0x80000000, v12
	s_delay_alu instid0(VALU_DEP_2) | instskip(NEXT) | instid1(VALU_DEP_1)
	v_lshlrev_b32_e32 v151, 20, v151
	v_or3_b32 v151, v161, v160, v151
.LBB2_1212:                             ;   in Loop: Header=BB2_1120 Depth=4
	s_or_b32 exec_lo, exec_lo, s38
	s_mov_b32 s14, 0
	s_mov_b32 s39, exec_lo
                                        ; implicit-def: $sgpr38
	v_cmpx_lt_i16_e64 0x7f, v149
	s_xor_b32 s39, exec_lo, s39
	s_cbranch_execnz .LBB2_1634
; %bb.1213:                             ;   in Loop: Header=BB2_1120 Depth=4
	s_or_saveexec_b32 s39, s39
	v_mov_b32_e32 v160, s38
	s_xor_b32 exec_lo, exec_lo, s39
	s_cbranch_execnz .LBB2_1637
.LBB2_1214:                             ;   in Loop: Header=BB2_1120 Depth=4
	s_or_b32 exec_lo, exec_lo, s39
	s_and_saveexec_b32 s38, s14
	s_cbranch_execz .LBB2_1216
.LBB2_1215:                             ;   in Loop: Header=BB2_1120 Depth=4
	v_bfe_u32 v160, v8, 24, 3
	v_bfe_u32 v163, v8, 27, 4
	s_delay_alu instid0(VALU_DEP_2) | instskip(NEXT) | instid1(VALU_DEP_2)
	v_clz_i32_u32_e32 v161, v160
	v_cmp_eq_u32_e32 vcc_lo, 0, v163
	s_delay_alu instid0(VALU_DEP_2) | instskip(NEXT) | instid1(VALU_DEP_1)
	v_min_u32_e32 v161, 32, v161
	v_subrev_nc_u32_e32 v162, 28, v161
	v_sub_nc_u32_e32 v161, 29, v161
	s_delay_alu instid0(VALU_DEP_2) | instskip(NEXT) | instid1(VALU_DEP_1)
	v_lshlrev_b32_e32 v162, v162, v149
	v_dual_cndmask_b32 v161, v163, v161 :: v_dual_and_b32 v162, 7, v162
	s_delay_alu instid0(VALU_DEP_1) | instskip(NEXT) | instid1(VALU_DEP_2)
	v_lshl_add_u32 v161, v161, 23, 0x3b800000
	v_cndmask_b32_e32 v160, v160, v162, vcc_lo
	v_and_b32_e32 v162, 0x80000000, v8
	s_delay_alu instid0(VALU_DEP_2) | instskip(NEXT) | instid1(VALU_DEP_1)
	v_lshlrev_b32_e32 v160, 20, v160
	v_or3_b32 v160, v162, v161, v160
.LBB2_1216:                             ;   in Loop: Header=BB2_1120 Depth=4
	s_or_b32 exec_lo, exec_lo, s38
	s_delay_alu instid0(VALU_DEP_1) | instskip(SKIP_1) | instid1(VALU_DEP_1)
	v_dual_max_f32 v160, v160, v160 :: v_dual_max_f32 v151, v151, v151
	s_mov_b32 s14, 0
	v_max_f32_e32 v151, v151, v160
	s_branch .LBB2_1218
.LBB2_1217:                             ;   in Loop: Header=BB2_1120 Depth=4
	s_mov_b32 s14, -1
                                        ; implicit-def: $vgpr151
.LBB2_1218:                             ;   in Loop: Header=BB2_1120 Depth=4
	s_delay_alu instid0(SALU_CYCLE_1)
	s_and_b32 vcc_lo, exec_lo, s14
	s_cbranch_vccz .LBB2_1228
; %bb.1219:                             ;   in Loop: Header=BB2_1120 Depth=4
	s_mov_b32 s14, 0
	s_mov_b32 s39, exec_lo
                                        ; implicit-def: $sgpr38
	v_cmpx_lt_i16_e64 0x7f, v150
	s_xor_b32 s39, exec_lo, s39
	s_cbranch_execnz .LBB2_1638
; %bb.1220:                             ;   in Loop: Header=BB2_1120 Depth=4
	s_or_saveexec_b32 s39, s39
	v_mov_b32_e32 v151, s38
	s_xor_b32 exec_lo, exec_lo, s39
	s_cbranch_execnz .LBB2_1641
.LBB2_1221:                             ;   in Loop: Header=BB2_1120 Depth=4
	s_or_b32 exec_lo, exec_lo, s39
	s_and_saveexec_b32 s38, s14
	s_cbranch_execz .LBB2_1223
.LBB2_1222:                             ;   in Loop: Header=BB2_1120 Depth=4
	v_bfe_u32 v151, v12, 24, 3
	s_delay_alu instid0(VALU_DEP_1) | instskip(NEXT) | instid1(VALU_DEP_1)
	v_clz_i32_u32_e32 v160, v151
	v_min_u32_e32 v160, 32, v160
	s_delay_alu instid0(VALU_DEP_1) | instskip(SKIP_1) | instid1(VALU_DEP_2)
	v_subrev_nc_u32_e32 v161, 28, v160
	v_sub_nc_u32_e32 v160, 29, v160
	v_lshlrev_b32_e32 v150, v161, v150
	v_bfe_u32 v161, v12, 27, 4
	v_and_b32_e32 v12, 0x80000000, v12
	s_delay_alu instid0(VALU_DEP_3) | instskip(NEXT) | instid1(VALU_DEP_3)
	v_and_b32_e32 v150, 7, v150
	v_cmp_eq_u32_e32 vcc_lo, 0, v161
	v_cndmask_b32_e32 v160, v161, v160, vcc_lo
	s_delay_alu instid0(VALU_DEP_3) | instskip(NEXT) | instid1(VALU_DEP_2)
	v_cndmask_b32_e32 v150, v151, v150, vcc_lo
	v_lshl_add_u32 v151, v160, 23, 0x3b800000
	s_delay_alu instid0(VALU_DEP_2) | instskip(NEXT) | instid1(VALU_DEP_1)
	v_lshlrev_b32_e32 v150, 20, v150
	v_or3_b32 v151, v12, v151, v150
.LBB2_1223:                             ;   in Loop: Header=BB2_1120 Depth=4
	s_or_b32 exec_lo, exec_lo, s38
	s_mov_b32 s14, 0
	s_mov_b32 s39, exec_lo
                                        ; implicit-def: $sgpr38
	v_cmpx_lt_i16_e64 0x7f, v149
	s_xor_b32 s39, exec_lo, s39
	s_cbranch_execnz .LBB2_1642
; %bb.1224:                             ;   in Loop: Header=BB2_1120 Depth=4
	s_or_saveexec_b32 s39, s39
	v_mov_b32_e32 v12, s38
	s_xor_b32 exec_lo, exec_lo, s39
	s_cbranch_execnz .LBB2_1645
.LBB2_1225:                             ;   in Loop: Header=BB2_1120 Depth=4
	s_or_b32 exec_lo, exec_lo, s39
	s_and_saveexec_b32 s38, s14
	s_cbranch_execz .LBB2_1227
.LBB2_1226:                             ;   in Loop: Header=BB2_1120 Depth=4
	v_bfe_u32 v12, v8, 24, 3
	s_delay_alu instid0(VALU_DEP_1) | instskip(NEXT) | instid1(VALU_DEP_1)
	v_clz_i32_u32_e32 v150, v12
	v_min_u32_e32 v150, 32, v150
	s_delay_alu instid0(VALU_DEP_1) | instskip(SKIP_1) | instid1(VALU_DEP_2)
	v_subrev_nc_u32_e32 v160, 28, v150
	v_sub_nc_u32_e32 v150, 29, v150
	v_lshlrev_b32_e32 v149, v160, v149
	v_bfe_u32 v160, v8, 27, 4
	v_and_b32_e32 v8, 0x80000000, v8
	s_delay_alu instid0(VALU_DEP_2) | instskip(NEXT) | instid1(VALU_DEP_4)
	v_cmp_eq_u32_e32 vcc_lo, 0, v160
	v_dual_cndmask_b32 v150, v160, v150 :: v_dual_and_b32 v149, 7, v149
	s_delay_alu instid0(VALU_DEP_1) | instskip(NEXT) | instid1(VALU_DEP_2)
	v_cndmask_b32_e32 v12, v12, v149, vcc_lo
	v_lshl_add_u32 v149, v150, 23, 0x3b800000
	s_delay_alu instid0(VALU_DEP_2) | instskip(NEXT) | instid1(VALU_DEP_1)
	v_lshlrev_b32_e32 v12, 20, v12
	v_or3_b32 v12, v8, v149, v12
.LBB2_1227:                             ;   in Loop: Header=BB2_1120 Depth=4
	s_or_b32 exec_lo, exec_lo, s38
	s_delay_alu instid0(VALU_DEP_1) | instskip(SKIP_1) | instid1(VALU_DEP_1)
	v_max_f32_e32 v8, v12, v12
	v_max_f32_e32 v12, v151, v151
	v_min_f32_e32 v151, v12, v8
.LBB2_1228:                             ;   in Loop: Header=BB2_1120 Depth=4
	s_delay_alu instid0(VALU_DEP_1) | instskip(NEXT) | instid1(VALU_DEP_1)
	v_and_b32_e32 v8, 0x7f800000, v151
	v_cmp_ne_u32_e32 vcc_lo, 0x7f800000, v8
	v_mov_b32_e32 v8, 0x80
	s_and_saveexec_b32 s38, vcc_lo
	s_cbranch_execz .LBB2_1236
; %bb.1229:                             ;   in Loop: Header=BB2_1120 Depth=4
	v_mov_b32_e32 v8, 0
	s_mov_b32 s39, exec_lo
	v_cmpx_ne_u32_e32 0, v151
	s_cbranch_execz .LBB2_1235
; %bb.1230:                             ;   in Loop: Header=BB2_1120 Depth=4
	v_bfe_u32 v8, v151, 23, 8
	s_delay_alu instid0(VALU_DEP_1) | instskip(SKIP_1) | instid1(VALU_DEP_2)
	v_sub_nc_u32_e32 v149, 0x78, v8
	v_cmp_gt_u32_e32 vcc_lo, 0x79, v8
	v_dual_cndmask_b32 v149, 0, v149 :: v_dual_and_b32 v12, 0x7fffff, v151
	s_delay_alu instid0(VALU_DEP_1) | instskip(SKIP_2) | instid1(VALU_DEP_4)
	v_or_b32_e32 v150, 0x800000, v12
	v_cmp_eq_u32_e32 vcc_lo, 0, v8
	v_add_nc_u32_e32 v8, 0xffffff89, v8
	v_cndmask_b32_e64 v149, v149, 0x77, vcc_lo
	s_delay_alu instid0(VALU_DEP_4) | instskip(NEXT) | instid1(VALU_DEP_3)
	v_cndmask_b32_e32 v12, v150, v12, vcc_lo
	v_cndmask_b32_e64 v8, v8, 0xffffff8a, vcc_lo
	s_delay_alu instid0(VALU_DEP_3) | instskip(NEXT) | instid1(VALU_DEP_3)
	v_lshl_add_u32 v150, 0x100000, v149, -1
	v_lshrrev_b32_e32 v160, v149, v12
	v_lshlrev_b32_e64 v162, v149, 0x80000
	s_delay_alu instid0(VALU_DEP_4) | instskip(NEXT) | instid1(VALU_DEP_4)
	v_add_nc_u32_e32 v149, v149, v8
	v_and_b32_e32 v12, v150, v12
	s_delay_alu instid0(VALU_DEP_4) | instskip(NEXT) | instid1(VALU_DEP_2)
	v_bfe_u32 v161, v160, 20, 1
	v_cmp_eq_u32_e64 s14, v12, v162
	s_delay_alu instid0(VALU_DEP_2) | instskip(NEXT) | instid1(VALU_DEP_1)
	v_add_nc_u32_e32 v150, -1, v161
	v_cndmask_b32_e64 v12, 0, v150, s14
	v_lshrrev_b32_e32 v150, 23, v160
	s_mov_b32 s14, exec_lo
	s_delay_alu instid0(VALU_DEP_2) | instskip(NEXT) | instid1(VALU_DEP_2)
	v_add_nc_u32_e32 v12, v12, v160
	v_xor_b32_e32 v150, 1, v150
	s_delay_alu instid0(VALU_DEP_2) | instskip(NEXT) | instid1(VALU_DEP_1)
	v_and_b32_e32 v8, 0xfffff, v12
	v_add_nc_u32_e32 v12, v8, v160
                                        ; implicit-def: $vgpr8
	s_delay_alu instid0(VALU_DEP_3)
	v_cmpx_ne_u32_e64 v149, v150
	s_xor_b32 s14, exec_lo, s14
; %bb.1231:                             ;   in Loop: Header=BB2_1120 Depth=4
	s_delay_alu instid0(VALU_DEP_2) | instskip(SKIP_2) | instid1(VALU_DEP_2)
	v_cmp_lt_u32_e32 vcc_lo, 0xffffff, v12
	v_sub_nc_u32_e32 v8, v149, v150
	v_cndmask_b32_e64 v149, 0, 1, vcc_lo
	v_add_co_ci_u32_e32 v8, vcc_lo, 0, v8, vcc_lo
	s_delay_alu instid0(VALU_DEP_2)
	v_lshrrev_b32_e32 v12, v149, v12
; %bb.1232:                             ;   in Loop: Header=BB2_1120 Depth=4
	s_and_not1_saveexec_b32 s14, s14
; %bb.1233:                             ;   in Loop: Header=BB2_1120 Depth=4
	s_delay_alu instid0(VALU_DEP_1)
	v_bfe_u32 v8, v12, 23, 1
; %bb.1234:                             ;   in Loop: Header=BB2_1120 Depth=4
	s_or_b32 exec_lo, exec_lo, s14
	v_lshrrev_b32_e32 v12, 20, v12
	s_delay_alu instid0(VALU_DEP_2) | instskip(SKIP_2) | instid1(VALU_DEP_2)
	v_cmp_gt_i32_e32 vcc_lo, 16, v8
	v_lshrrev_b32_e32 v149, 24, v151
	v_min_i32_e32 v150, 15, v8
	v_dual_cndmask_b32 v12, 7, v12 :: v_dual_and_b32 v149, 0x80, v149
	s_delay_alu instid0(VALU_DEP_2) | instskip(NEXT) | instid1(VALU_DEP_2)
	v_lshlrev_b32_e32 v150, 3, v150
	v_and_b32_e32 v151, 7, v12
	v_or_b32_e32 v8, v8, v12
	s_delay_alu instid0(VALU_DEP_2) | instskip(NEXT) | instid1(VALU_DEP_2)
	v_or3_b32 v12, v150, v149, v151
	v_cmp_ne_u32_e32 vcc_lo, 0, v8
	s_delay_alu instid0(VALU_DEP_2)
	v_cndmask_b32_e32 v8, 0, v12, vcc_lo
.LBB2_1235:                             ;   in Loop: Header=BB2_1120 Depth=4
	s_or_b32 exec_lo, exec_lo, s39
.LBB2_1236:                             ;   in Loop: Header=BB2_1120 Depth=4
	s_delay_alu instid0(SALU_CYCLE_1) | instskip(NEXT) | instid1(SALU_CYCLE_1)
	s_or_b32 exec_lo, exec_lo, s38
	s_and_b32 vcc_lo, exec_lo, s37
	s_cbranch_vccz .LBB2_1246
; %bb.1237:                             ;   in Loop: Header=BB2_1120 Depth=4
	v_and_b32_e32 v149, 0xff, v13
	s_mov_b32 s14, 0
	s_mov_b32 s39, exec_lo
                                        ; implicit-def: $sgpr38
	s_delay_alu instid0(VALU_DEP_1)
	v_cmpx_lt_i16_e64 0x7f, v149
	s_xor_b32 s39, exec_lo, s39
	s_cbranch_execnz .LBB2_1646
; %bb.1238:                             ;   in Loop: Header=BB2_1120 Depth=4
	s_or_saveexec_b32 s39, s39
	v_mov_b32_e32 v12, s38
	s_xor_b32 exec_lo, exec_lo, s39
	s_cbranch_execnz .LBB2_1649
.LBB2_1239:                             ;   in Loop: Header=BB2_1120 Depth=4
	s_or_b32 exec_lo, exec_lo, s39
	s_and_saveexec_b32 s38, s14
	s_cbranch_execz .LBB2_1241
.LBB2_1240:                             ;   in Loop: Header=BB2_1120 Depth=4
	v_and_b32_e32 v12, 7, v13
	v_bfe_u32 v151, v13, 3, 4
	v_lshlrev_b32_e32 v160, 24, v13
	s_delay_alu instid0(VALU_DEP_3) | instskip(NEXT) | instid1(VALU_DEP_3)
	v_clz_i32_u32_e32 v149, v12
	v_cmp_eq_u32_e32 vcc_lo, 0, v151
	s_delay_alu instid0(VALU_DEP_2) | instskip(NEXT) | instid1(VALU_DEP_1)
	v_min_u32_e32 v149, 32, v149
	v_subrev_nc_u32_e32 v150, 28, v149
	v_sub_nc_u32_e32 v149, 29, v149
	s_delay_alu instid0(VALU_DEP_2) | instskip(NEXT) | instid1(VALU_DEP_1)
	v_lshlrev_b32_e32 v150, v150, v13
	v_dual_cndmask_b32 v149, v151, v149 :: v_dual_and_b32 v150, 7, v150
	s_delay_alu instid0(VALU_DEP_1) | instskip(NEXT) | instid1(VALU_DEP_2)
	v_lshl_add_u32 v149, v149, 23, 0x3b800000
	v_cndmask_b32_e32 v12, v12, v150, vcc_lo
	v_and_b32_e32 v150, 0x80000000, v160
	s_delay_alu instid0(VALU_DEP_2) | instskip(NEXT) | instid1(VALU_DEP_1)
	v_lshlrev_b32_e32 v12, 20, v12
	v_or3_b32 v12, v150, v149, v12
.LBB2_1241:                             ;   in Loop: Header=BB2_1120 Depth=4
	s_or_b32 exec_lo, exec_lo, s38
	v_and_b32_e32 v150, 0xff, v9
	s_mov_b32 s14, 0
	s_mov_b32 s39, exec_lo
                                        ; implicit-def: $sgpr38
	s_delay_alu instid0(VALU_DEP_1)
	v_cmpx_lt_i16_e64 0x7f, v150
	s_xor_b32 s39, exec_lo, s39
	s_cbranch_execnz .LBB2_1650
; %bb.1242:                             ;   in Loop: Header=BB2_1120 Depth=4
	s_or_saveexec_b32 s39, s39
	v_mov_b32_e32 v149, s38
	s_xor_b32 exec_lo, exec_lo, s39
	s_cbranch_execnz .LBB2_1653
.LBB2_1243:                             ;   in Loop: Header=BB2_1120 Depth=4
	s_or_b32 exec_lo, exec_lo, s39
	s_and_saveexec_b32 s38, s14
	s_cbranch_execz .LBB2_1245
.LBB2_1244:                             ;   in Loop: Header=BB2_1120 Depth=4
	v_bfe_u32 v160, v9, 3, 4
	v_lshlrev_b32_e32 v161, 24, v9
	s_delay_alu instid0(VALU_DEP_2) | instskip(SKIP_1) | instid1(VALU_DEP_1)
	v_cmp_eq_u32_e32 vcc_lo, 0, v160
	v_and_b32_e32 v149, 7, v9
	v_clz_i32_u32_e32 v150, v149
	s_delay_alu instid0(VALU_DEP_1) | instskip(NEXT) | instid1(VALU_DEP_1)
	v_min_u32_e32 v150, 32, v150
	v_subrev_nc_u32_e32 v151, 28, v150
	v_sub_nc_u32_e32 v150, 29, v150
	s_delay_alu instid0(VALU_DEP_1) | instskip(NEXT) | instid1(VALU_DEP_1)
	v_dual_cndmask_b32 v150, v160, v150 :: v_dual_lshlrev_b32 v151, v151, v9
	v_and_b32_e32 v151, 7, v151
	s_delay_alu instid0(VALU_DEP_2) | instskip(NEXT) | instid1(VALU_DEP_2)
	v_lshl_add_u32 v150, v150, 23, 0x3b800000
	v_cndmask_b32_e32 v149, v149, v151, vcc_lo
	v_and_b32_e32 v151, 0x80000000, v161
	s_delay_alu instid0(VALU_DEP_2) | instskip(NEXT) | instid1(VALU_DEP_1)
	v_lshlrev_b32_e32 v149, 20, v149
	v_or3_b32 v149, v151, v150, v149
.LBB2_1245:                             ;   in Loop: Header=BB2_1120 Depth=4
	s_or_b32 exec_lo, exec_lo, s38
	s_delay_alu instid0(VALU_DEP_1) | instskip(SKIP_1) | instid1(VALU_DEP_1)
	v_dual_max_f32 v149, v149, v149 :: v_dual_max_f32 v12, v12, v12
	s_mov_b32 s14, 0
	v_max_f32_e32 v149, v12, v149
	s_branch .LBB2_1247
.LBB2_1246:                             ;   in Loop: Header=BB2_1120 Depth=4
	s_mov_b32 s14, -1
                                        ; implicit-def: $vgpr149
.LBB2_1247:                             ;   in Loop: Header=BB2_1120 Depth=4
	s_delay_alu instid0(SALU_CYCLE_1)
	s_and_b32 vcc_lo, exec_lo, s14
	s_cbranch_vccz .LBB2_1257
; %bb.1248:                             ;   in Loop: Header=BB2_1120 Depth=4
	v_and_b32_e32 v149, 0xff, v13
	s_mov_b32 s14, 0
	s_mov_b32 s39, exec_lo
                                        ; implicit-def: $sgpr38
	s_delay_alu instid0(VALU_DEP_1)
	v_cmpx_lt_i16_e64 0x7f, v149
	s_xor_b32 s39, exec_lo, s39
	s_cbranch_execnz .LBB2_1654
; %bb.1249:                             ;   in Loop: Header=BB2_1120 Depth=4
	s_or_saveexec_b32 s39, s39
	v_mov_b32_e32 v12, s38
	s_xor_b32 exec_lo, exec_lo, s39
	s_cbranch_execnz .LBB2_1657
.LBB2_1250:                             ;   in Loop: Header=BB2_1120 Depth=4
	s_or_b32 exec_lo, exec_lo, s39
	s_and_saveexec_b32 s38, s14
	s_cbranch_execz .LBB2_1252
.LBB2_1251:                             ;   in Loop: Header=BB2_1120 Depth=4
	v_and_b32_e32 v12, 7, v13
	v_bfe_u32 v151, v13, 3, 4
	v_lshlrev_b32_e32 v160, 24, v13
	s_delay_alu instid0(VALU_DEP_3) | instskip(NEXT) | instid1(VALU_DEP_3)
	v_clz_i32_u32_e32 v149, v12
	v_cmp_eq_u32_e32 vcc_lo, 0, v151
	s_delay_alu instid0(VALU_DEP_2) | instskip(NEXT) | instid1(VALU_DEP_1)
	v_min_u32_e32 v149, 32, v149
	v_subrev_nc_u32_e32 v150, 28, v149
	v_sub_nc_u32_e32 v149, 29, v149
	s_delay_alu instid0(VALU_DEP_2) | instskip(NEXT) | instid1(VALU_DEP_1)
	v_lshlrev_b32_e32 v150, v150, v13
	v_dual_cndmask_b32 v149, v151, v149 :: v_dual_and_b32 v150, 7, v150
	s_delay_alu instid0(VALU_DEP_1) | instskip(NEXT) | instid1(VALU_DEP_2)
	v_lshl_add_u32 v149, v149, 23, 0x3b800000
	v_cndmask_b32_e32 v12, v12, v150, vcc_lo
	v_and_b32_e32 v150, 0x80000000, v160
	s_delay_alu instid0(VALU_DEP_2) | instskip(NEXT) | instid1(VALU_DEP_1)
	v_lshlrev_b32_e32 v12, 20, v12
	v_or3_b32 v12, v150, v149, v12
.LBB2_1252:                             ;   in Loop: Header=BB2_1120 Depth=4
	s_or_b32 exec_lo, exec_lo, s38
	v_and_b32_e32 v150, 0xff, v9
	s_mov_b32 s14, 0
	s_mov_b32 s39, exec_lo
                                        ; implicit-def: $sgpr38
	s_delay_alu instid0(VALU_DEP_1)
	v_cmpx_lt_i16_e64 0x7f, v150
	s_xor_b32 s39, exec_lo, s39
	s_cbranch_execnz .LBB2_1658
; %bb.1253:                             ;   in Loop: Header=BB2_1120 Depth=4
	s_or_saveexec_b32 s39, s39
	v_mov_b32_e32 v149, s38
	s_xor_b32 exec_lo, exec_lo, s39
	s_cbranch_execnz .LBB2_1661
.LBB2_1254:                             ;   in Loop: Header=BB2_1120 Depth=4
	s_or_b32 exec_lo, exec_lo, s39
	s_and_saveexec_b32 s38, s14
	s_cbranch_execz .LBB2_1256
.LBB2_1255:                             ;   in Loop: Header=BB2_1120 Depth=4
	v_bfe_u32 v160, v9, 3, 4
	v_lshlrev_b32_e32 v161, 24, v9
	s_delay_alu instid0(VALU_DEP_2) | instskip(SKIP_1) | instid1(VALU_DEP_1)
	v_cmp_eq_u32_e32 vcc_lo, 0, v160
	v_and_b32_e32 v149, 7, v9
	v_clz_i32_u32_e32 v150, v149
	s_delay_alu instid0(VALU_DEP_1) | instskip(NEXT) | instid1(VALU_DEP_1)
	v_min_u32_e32 v150, 32, v150
	v_subrev_nc_u32_e32 v151, 28, v150
	v_sub_nc_u32_e32 v150, 29, v150
	s_delay_alu instid0(VALU_DEP_1) | instskip(NEXT) | instid1(VALU_DEP_1)
	v_dual_cndmask_b32 v150, v160, v150 :: v_dual_lshlrev_b32 v151, v151, v9
	v_and_b32_e32 v151, 7, v151
	s_delay_alu instid0(VALU_DEP_2) | instskip(NEXT) | instid1(VALU_DEP_2)
	v_lshl_add_u32 v150, v150, 23, 0x3b800000
	v_cndmask_b32_e32 v149, v149, v151, vcc_lo
	v_and_b32_e32 v151, 0x80000000, v161
	s_delay_alu instid0(VALU_DEP_2) | instskip(NEXT) | instid1(VALU_DEP_1)
	v_lshlrev_b32_e32 v149, 20, v149
	v_or3_b32 v149, v151, v150, v149
.LBB2_1256:                             ;   in Loop: Header=BB2_1120 Depth=4
	s_or_b32 exec_lo, exec_lo, s38
	s_delay_alu instid0(VALU_DEP_1) | instskip(NEXT) | instid1(VALU_DEP_1)
	v_dual_max_f32 v149, v149, v149 :: v_dual_max_f32 v12, v12, v12
	v_min_f32_e32 v149, v12, v149
.LBB2_1257:                             ;   in Loop: Header=BB2_1120 Depth=4
	s_delay_alu instid0(VALU_DEP_1) | instskip(NEXT) | instid1(VALU_DEP_1)
	v_and_b32_e32 v12, 0x7f800000, v149
	v_cmp_ne_u32_e32 vcc_lo, 0x7f800000, v12
	v_mov_b32_e32 v12, 0x80
	s_and_saveexec_b32 s38, vcc_lo
	s_cbranch_execz .LBB2_1265
; %bb.1258:                             ;   in Loop: Header=BB2_1120 Depth=4
	v_mov_b32_e32 v12, 0
	s_mov_b32 s39, exec_lo
	v_cmpx_ne_u32_e32 0, v149
	s_cbranch_execz .LBB2_1264
; %bb.1259:                             ;   in Loop: Header=BB2_1120 Depth=4
	v_bfe_u32 v12, v149, 23, 8
	s_delay_alu instid0(VALU_DEP_1) | instskip(SKIP_1) | instid1(VALU_DEP_2)
	v_sub_nc_u32_e32 v151, 0x78, v12
	v_cmp_gt_u32_e32 vcc_lo, 0x79, v12
	v_dual_cndmask_b32 v151, 0, v151 :: v_dual_and_b32 v150, 0x7fffff, v149
	s_delay_alu instid0(VALU_DEP_1) | instskip(SKIP_2) | instid1(VALU_DEP_4)
	v_or_b32_e32 v160, 0x800000, v150
	v_cmp_eq_u32_e32 vcc_lo, 0, v12
	v_add_nc_u32_e32 v12, 0xffffff89, v12
	v_cndmask_b32_e64 v151, v151, 0x77, vcc_lo
	s_delay_alu instid0(VALU_DEP_2) | instskip(SKIP_1) | instid1(VALU_DEP_3)
	v_cndmask_b32_e64 v12, v12, 0xffffff8a, vcc_lo
	v_cndmask_b32_e32 v150, v160, v150, vcc_lo
	v_lshl_add_u32 v160, 0x100000, v151, -1
	v_lshlrev_b32_e64 v163, v151, 0x80000
	s_delay_alu instid0(VALU_DEP_3) | instskip(SKIP_1) | instid1(VALU_DEP_4)
	v_lshrrev_b32_e32 v161, v151, v150
	v_add_nc_u32_e32 v151, v151, v12
	v_and_b32_e32 v150, v160, v150
	s_delay_alu instid0(VALU_DEP_3) | instskip(NEXT) | instid1(VALU_DEP_2)
	v_bfe_u32 v162, v161, 20, 1
	v_cmp_eq_u32_e64 s14, v150, v163
	s_delay_alu instid0(VALU_DEP_2) | instskip(NEXT) | instid1(VALU_DEP_1)
	v_add_nc_u32_e32 v160, -1, v162
	v_cndmask_b32_e64 v150, 0, v160, s14
	v_lshrrev_b32_e32 v160, 23, v161
	s_mov_b32 s14, exec_lo
	s_delay_alu instid0(VALU_DEP_2) | instskip(NEXT) | instid1(VALU_DEP_2)
	v_add_nc_u32_e32 v150, v150, v161
	v_xor_b32_e32 v160, 1, v160
	s_delay_alu instid0(VALU_DEP_2) | instskip(NEXT) | instid1(VALU_DEP_1)
	v_and_b32_e32 v12, 0xfffff, v150
	v_add_nc_u32_e32 v150, v12, v161
                                        ; implicit-def: $vgpr12
	s_delay_alu instid0(VALU_DEP_3)
	v_cmpx_ne_u32_e64 v151, v160
	s_xor_b32 s14, exec_lo, s14
; %bb.1260:                             ;   in Loop: Header=BB2_1120 Depth=4
	s_delay_alu instid0(VALU_DEP_2) | instskip(SKIP_2) | instid1(VALU_DEP_2)
	v_cmp_lt_u32_e32 vcc_lo, 0xffffff, v150
	v_sub_nc_u32_e32 v12, v151, v160
	v_cndmask_b32_e64 v151, 0, 1, vcc_lo
	v_add_co_ci_u32_e32 v12, vcc_lo, 0, v12, vcc_lo
	s_delay_alu instid0(VALU_DEP_2)
	v_lshrrev_b32_e32 v150, v151, v150
; %bb.1261:                             ;   in Loop: Header=BB2_1120 Depth=4
	s_and_not1_saveexec_b32 s14, s14
; %bb.1262:                             ;   in Loop: Header=BB2_1120 Depth=4
	s_delay_alu instid0(VALU_DEP_1)
	v_bfe_u32 v12, v150, 23, 1
; %bb.1263:                             ;   in Loop: Header=BB2_1120 Depth=4
	s_or_b32 exec_lo, exec_lo, s14
	v_lshrrev_b32_e32 v150, 20, v150
	s_delay_alu instid0(VALU_DEP_2) | instskip(SKIP_2) | instid1(VALU_DEP_2)
	v_cmp_gt_i32_e32 vcc_lo, 16, v12
	v_lshrrev_b32_e32 v149, 24, v149
	v_min_i32_e32 v151, 15, v12
	v_dual_cndmask_b32 v150, 7, v150 :: v_dual_and_b32 v149, 0x80, v149
	s_delay_alu instid0(VALU_DEP_1) | instskip(SKIP_1) | instid1(VALU_DEP_2)
	v_or_b32_e32 v12, v12, v150
	v_and_b32_e32 v160, 7, v150
	v_cmp_ne_u32_e32 vcc_lo, 0, v12
	v_lshlrev_b32_e32 v151, 3, v151
	s_delay_alu instid0(VALU_DEP_1) | instskip(NEXT) | instid1(VALU_DEP_1)
	v_or3_b32 v149, v151, v149, v160
	v_cndmask_b32_e32 v12, 0, v149, vcc_lo
.LBB2_1264:                             ;   in Loop: Header=BB2_1120 Depth=4
	s_or_b32 exec_lo, exec_lo, s39
.LBB2_1265:                             ;   in Loop: Header=BB2_1120 Depth=4
	s_delay_alu instid0(SALU_CYCLE_1)
	s_or_b32 exec_lo, exec_lo, s38
	v_lshrrev_b16 v150, 8, v13
	v_lshrrev_b16 v149, 8, v9
	s_and_b32 vcc_lo, exec_lo, s37
	s_cbranch_vccz .LBB2_1275
; %bb.1266:                             ;   in Loop: Header=BB2_1120 Depth=4
	s_mov_b32 s14, 0
	s_mov_b32 s39, exec_lo
                                        ; implicit-def: $sgpr38
	v_cmpx_lt_i16_e64 0x7f, v150
	s_xor_b32 s39, exec_lo, s39
	s_cbranch_execnz .LBB2_1662
; %bb.1267:                             ;   in Loop: Header=BB2_1120 Depth=4
	s_or_saveexec_b32 s39, s39
	v_mov_b32_e32 v151, s38
	s_xor_b32 exec_lo, exec_lo, s39
	s_cbranch_execnz .LBB2_1665
.LBB2_1268:                             ;   in Loop: Header=BB2_1120 Depth=4
	s_or_b32 exec_lo, exec_lo, s39
	s_and_saveexec_b32 s38, s14
	s_cbranch_execz .LBB2_1270
.LBB2_1269:                             ;   in Loop: Header=BB2_1120 Depth=4
	v_and_b32_e32 v151, 0xffff, v150
	s_delay_alu instid0(VALU_DEP_1) | instskip(NEXT) | instid1(VALU_DEP_1)
	v_and_b32_e32 v160, 7, v151
	v_clz_i32_u32_e32 v161, v160
	s_delay_alu instid0(VALU_DEP_1) | instskip(NEXT) | instid1(VALU_DEP_1)
	v_min_u32_e32 v161, 32, v161
	v_subrev_nc_u32_e32 v162, 28, v161
	v_sub_nc_u32_e32 v161, 29, v161
	s_delay_alu instid0(VALU_DEP_2) | instskip(SKIP_1) | instid1(VALU_DEP_2)
	v_lshlrev_b32_e32 v162, v162, v151
	v_bfe_u32 v151, v151, 3, 4
	v_and_b32_e32 v162, 7, v162
	s_delay_alu instid0(VALU_DEP_2) | instskip(SKIP_1) | instid1(VALU_DEP_3)
	v_cmp_eq_u32_e32 vcc_lo, 0, v151
	v_cndmask_b32_e32 v151, v151, v161, vcc_lo
	v_dual_cndmask_b32 v160, v160, v162 :: v_dual_lshlrev_b32 v163, 16, v13
	s_delay_alu instid0(VALU_DEP_2) | instskip(NEXT) | instid1(VALU_DEP_2)
	v_lshl_add_u32 v151, v151, 23, 0x3b800000
	v_and_b32_e32 v161, 0x80000000, v163
	s_delay_alu instid0(VALU_DEP_3) | instskip(NEXT) | instid1(VALU_DEP_1)
	v_lshlrev_b32_e32 v160, 20, v160
	v_or3_b32 v151, v161, v151, v160
.LBB2_1270:                             ;   in Loop: Header=BB2_1120 Depth=4
	s_or_b32 exec_lo, exec_lo, s38
	s_mov_b32 s14, 0
	s_mov_b32 s39, exec_lo
                                        ; implicit-def: $sgpr38
	v_cmpx_lt_i16_e64 0x7f, v149
	s_xor_b32 s39, exec_lo, s39
	s_cbranch_execnz .LBB2_1666
; %bb.1271:                             ;   in Loop: Header=BB2_1120 Depth=4
	s_or_saveexec_b32 s39, s39
	v_mov_b32_e32 v160, s38
	s_xor_b32 exec_lo, exec_lo, s39
	s_cbranch_execnz .LBB2_1669
.LBB2_1272:                             ;   in Loop: Header=BB2_1120 Depth=4
	s_or_b32 exec_lo, exec_lo, s39
	s_and_saveexec_b32 s38, s14
	s_cbranch_execz .LBB2_1274
.LBB2_1273:                             ;   in Loop: Header=BB2_1120 Depth=4
	v_and_b32_e32 v160, 0xffff, v149
	v_lshlrev_b32_e32 v164, 16, v9
	s_delay_alu instid0(VALU_DEP_2) | instskip(NEXT) | instid1(VALU_DEP_1)
	v_and_b32_e32 v161, 7, v160
	v_clz_i32_u32_e32 v162, v161
	s_delay_alu instid0(VALU_DEP_1) | instskip(NEXT) | instid1(VALU_DEP_1)
	v_min_u32_e32 v162, 32, v162
	v_subrev_nc_u32_e32 v163, 28, v162
	v_sub_nc_u32_e32 v162, 29, v162
	s_delay_alu instid0(VALU_DEP_2) | instskip(SKIP_1) | instid1(VALU_DEP_2)
	v_lshlrev_b32_e32 v163, v163, v160
	v_bfe_u32 v160, v160, 3, 4
	v_and_b32_e32 v163, 7, v163
	s_delay_alu instid0(VALU_DEP_2) | instskip(NEXT) | instid1(VALU_DEP_2)
	v_cmp_eq_u32_e32 vcc_lo, 0, v160
	v_dual_cndmask_b32 v160, v160, v162 :: v_dual_cndmask_b32 v161, v161, v163
	v_and_b32_e32 v162, 0x80000000, v164
	s_delay_alu instid0(VALU_DEP_2) | instskip(NEXT) | instid1(VALU_DEP_3)
	v_lshl_add_u32 v160, v160, 23, 0x3b800000
	v_lshlrev_b32_e32 v161, 20, v161
	s_delay_alu instid0(VALU_DEP_1)
	v_or3_b32 v160, v162, v160, v161
.LBB2_1274:                             ;   in Loop: Header=BB2_1120 Depth=4
	s_or_b32 exec_lo, exec_lo, s38
	s_delay_alu instid0(VALU_DEP_1) | instskip(SKIP_1) | instid1(VALU_DEP_1)
	v_dual_max_f32 v160, v160, v160 :: v_dual_max_f32 v151, v151, v151
	s_mov_b32 s14, 0
	v_max_f32_e32 v151, v151, v160
	s_branch .LBB2_1276
.LBB2_1275:                             ;   in Loop: Header=BB2_1120 Depth=4
	s_mov_b32 s14, -1
                                        ; implicit-def: $vgpr151
.LBB2_1276:                             ;   in Loop: Header=BB2_1120 Depth=4
	s_delay_alu instid0(SALU_CYCLE_1)
	s_and_b32 vcc_lo, exec_lo, s14
	s_cbranch_vccz .LBB2_1286
; %bb.1277:                             ;   in Loop: Header=BB2_1120 Depth=4
	s_mov_b32 s14, 0
	s_mov_b32 s39, exec_lo
                                        ; implicit-def: $sgpr38
	v_cmpx_lt_i16_e64 0x7f, v150
	s_xor_b32 s39, exec_lo, s39
	s_cbranch_execnz .LBB2_1670
; %bb.1278:                             ;   in Loop: Header=BB2_1120 Depth=4
	s_or_saveexec_b32 s39, s39
	v_mov_b32_e32 v151, s38
	s_xor_b32 exec_lo, exec_lo, s39
	s_cbranch_execnz .LBB2_1673
.LBB2_1279:                             ;   in Loop: Header=BB2_1120 Depth=4
	s_or_b32 exec_lo, exec_lo, s39
	s_and_saveexec_b32 s38, s14
	s_cbranch_execz .LBB2_1281
.LBB2_1280:                             ;   in Loop: Header=BB2_1120 Depth=4
	v_and_b32_e32 v150, 0xffff, v150
	v_lshlrev_b32_e32 v162, 16, v13
	s_delay_alu instid0(VALU_DEP_2) | instskip(NEXT) | instid1(VALU_DEP_1)
	v_and_b32_e32 v151, 7, v150
	v_clz_i32_u32_e32 v160, v151
	s_delay_alu instid0(VALU_DEP_1) | instskip(NEXT) | instid1(VALU_DEP_1)
	v_min_u32_e32 v160, 32, v160
	v_subrev_nc_u32_e32 v161, 28, v160
	v_sub_nc_u32_e32 v160, 29, v160
	s_delay_alu instid0(VALU_DEP_2) | instskip(SKIP_1) | instid1(VALU_DEP_2)
	v_lshlrev_b32_e32 v161, v161, v150
	v_bfe_u32 v150, v150, 3, 4
	v_and_b32_e32 v161, 7, v161
	s_delay_alu instid0(VALU_DEP_2) | instskip(NEXT) | instid1(VALU_DEP_2)
	v_cmp_eq_u32_e32 vcc_lo, 0, v150
	v_dual_cndmask_b32 v150, v150, v160 :: v_dual_cndmask_b32 v151, v151, v161
	v_and_b32_e32 v160, 0x80000000, v162
	s_delay_alu instid0(VALU_DEP_2) | instskip(NEXT) | instid1(VALU_DEP_3)
	v_lshl_add_u32 v150, v150, 23, 0x3b800000
	v_lshlrev_b32_e32 v151, 20, v151
	s_delay_alu instid0(VALU_DEP_1)
	v_or3_b32 v151, v160, v150, v151
.LBB2_1281:                             ;   in Loop: Header=BB2_1120 Depth=4
	s_or_b32 exec_lo, exec_lo, s38
	s_mov_b32 s14, 0
	s_mov_b32 s39, exec_lo
                                        ; implicit-def: $sgpr38
	v_cmpx_lt_i16_e64 0x7f, v149
	s_xor_b32 s39, exec_lo, s39
	s_cbranch_execnz .LBB2_1674
; %bb.1282:                             ;   in Loop: Header=BB2_1120 Depth=4
	s_or_saveexec_b32 s39, s39
	v_mov_b32_e32 v150, s38
	s_xor_b32 exec_lo, exec_lo, s39
	s_cbranch_execnz .LBB2_1677
.LBB2_1283:                             ;   in Loop: Header=BB2_1120 Depth=4
	s_or_b32 exec_lo, exec_lo, s39
	s_and_saveexec_b32 s38, s14
	s_cbranch_execz .LBB2_1285
.LBB2_1284:                             ;   in Loop: Header=BB2_1120 Depth=4
	v_and_b32_e32 v149, 0xffff, v149
	v_lshlrev_b32_e32 v162, 16, v9
	s_delay_alu instid0(VALU_DEP_2) | instskip(NEXT) | instid1(VALU_DEP_1)
	v_and_b32_e32 v150, 7, v149
	v_clz_i32_u32_e32 v160, v150
	s_delay_alu instid0(VALU_DEP_1) | instskip(NEXT) | instid1(VALU_DEP_1)
	v_min_u32_e32 v160, 32, v160
	v_subrev_nc_u32_e32 v161, 28, v160
	v_sub_nc_u32_e32 v160, 29, v160
	s_delay_alu instid0(VALU_DEP_2) | instskip(SKIP_1) | instid1(VALU_DEP_2)
	v_lshlrev_b32_e32 v161, v161, v149
	v_bfe_u32 v149, v149, 3, 4
	v_and_b32_e32 v161, 7, v161
	s_delay_alu instid0(VALU_DEP_2) | instskip(NEXT) | instid1(VALU_DEP_2)
	v_cmp_eq_u32_e32 vcc_lo, 0, v149
	v_dual_cndmask_b32 v149, v149, v160 :: v_dual_cndmask_b32 v150, v150, v161
	v_and_b32_e32 v160, 0x80000000, v162
	s_delay_alu instid0(VALU_DEP_2) | instskip(NEXT) | instid1(VALU_DEP_3)
	v_lshl_add_u32 v149, v149, 23, 0x3b800000
	v_lshlrev_b32_e32 v150, 20, v150
	s_delay_alu instid0(VALU_DEP_1)
	v_or3_b32 v150, v160, v149, v150
.LBB2_1285:                             ;   in Loop: Header=BB2_1120 Depth=4
	s_or_b32 exec_lo, exec_lo, s38
	s_delay_alu instid0(VALU_DEP_1) | instskip(NEXT) | instid1(VALU_DEP_1)
	v_dual_max_f32 v149, v150, v150 :: v_dual_max_f32 v150, v151, v151
	v_min_f32_e32 v151, v150, v149
.LBB2_1286:                             ;   in Loop: Header=BB2_1120 Depth=4
	s_delay_alu instid0(VALU_DEP_1) | instskip(NEXT) | instid1(VALU_DEP_1)
	v_and_b32_e32 v149, 0x7f800000, v151
	v_cmp_ne_u32_e32 vcc_lo, 0x7f800000, v149
	v_mov_b32_e32 v149, 0x80
	s_and_saveexec_b32 s38, vcc_lo
	s_cbranch_execz .LBB2_1294
; %bb.1287:                             ;   in Loop: Header=BB2_1120 Depth=4
	v_mov_b32_e32 v149, 0
	s_mov_b32 s39, exec_lo
	v_cmpx_ne_u32_e32 0, v151
	s_cbranch_execz .LBB2_1293
; %bb.1288:                             ;   in Loop: Header=BB2_1120 Depth=4
	v_bfe_u32 v149, v151, 23, 8
	v_and_b32_e32 v150, 0x7fffff, v151
	s_delay_alu instid0(VALU_DEP_2) | instskip(SKIP_1) | instid1(VALU_DEP_3)
	v_sub_nc_u32_e32 v160, 0x78, v149
	v_cmp_gt_u32_e32 vcc_lo, 0x79, v149
	v_or_b32_e32 v161, 0x800000, v150
	s_delay_alu instid0(VALU_DEP_3) | instskip(SKIP_2) | instid1(VALU_DEP_3)
	v_cndmask_b32_e32 v160, 0, v160, vcc_lo
	v_cmp_eq_u32_e32 vcc_lo, 0, v149
	v_add_nc_u32_e32 v149, 0xffffff89, v149
	v_cndmask_b32_e64 v160, v160, 0x77, vcc_lo
	v_cndmask_b32_e32 v150, v161, v150, vcc_lo
	s_delay_alu instid0(VALU_DEP_3) | instskip(NEXT) | instid1(VALU_DEP_3)
	v_cndmask_b32_e64 v149, v149, 0xffffff8a, vcc_lo
	v_lshl_add_u32 v161, 0x100000, v160, -1
	s_delay_alu instid0(VALU_DEP_3) | instskip(SKIP_1) | instid1(VALU_DEP_4)
	v_lshrrev_b32_e32 v162, v160, v150
	v_lshlrev_b32_e64 v164, v160, 0x80000
	v_add_nc_u32_e32 v160, v160, v149
	s_delay_alu instid0(VALU_DEP_4) | instskip(NEXT) | instid1(VALU_DEP_4)
	v_and_b32_e32 v150, v161, v150
	v_bfe_u32 v163, v162, 20, 1
	s_delay_alu instid0(VALU_DEP_2) | instskip(NEXT) | instid1(VALU_DEP_2)
	v_cmp_eq_u32_e64 s14, v150, v164
	v_add_nc_u32_e32 v161, -1, v163
	s_delay_alu instid0(VALU_DEP_1) | instskip(SKIP_2) | instid1(VALU_DEP_2)
	v_cndmask_b32_e64 v150, 0, v161, s14
	v_lshrrev_b32_e32 v161, 23, v162
	s_mov_b32 s14, exec_lo
	v_add_nc_u32_e32 v150, v150, v162
	s_delay_alu instid0(VALU_DEP_2) | instskip(NEXT) | instid1(VALU_DEP_2)
	v_xor_b32_e32 v161, 1, v161
	v_and_b32_e32 v149, 0xfffff, v150
	s_delay_alu instid0(VALU_DEP_1) | instskip(NEXT) | instid1(VALU_DEP_3)
	v_add_nc_u32_e32 v150, v149, v162
                                        ; implicit-def: $vgpr149
	v_cmpx_ne_u32_e64 v160, v161
	s_xor_b32 s14, exec_lo, s14
; %bb.1289:                             ;   in Loop: Header=BB2_1120 Depth=4
	s_delay_alu instid0(VALU_DEP_2) | instskip(SKIP_2) | instid1(VALU_DEP_2)
	v_cmp_lt_u32_e32 vcc_lo, 0xffffff, v150
	v_sub_nc_u32_e32 v149, v160, v161
	v_cndmask_b32_e64 v160, 0, 1, vcc_lo
	v_add_co_ci_u32_e32 v149, vcc_lo, 0, v149, vcc_lo
	s_delay_alu instid0(VALU_DEP_2)
	v_lshrrev_b32_e32 v150, v160, v150
; %bb.1290:                             ;   in Loop: Header=BB2_1120 Depth=4
	s_and_not1_saveexec_b32 s14, s14
; %bb.1291:                             ;   in Loop: Header=BB2_1120 Depth=4
	s_delay_alu instid0(VALU_DEP_1)
	v_bfe_u32 v149, v150, 23, 1
; %bb.1292:                             ;   in Loop: Header=BB2_1120 Depth=4
	s_or_b32 exec_lo, exec_lo, s14
	v_lshrrev_b32_e32 v150, 20, v150
	s_delay_alu instid0(VALU_DEP_2) | instskip(SKIP_2) | instid1(VALU_DEP_2)
	v_cmp_gt_i32_e32 vcc_lo, 16, v149
	v_lshrrev_b32_e32 v151, 24, v151
	v_min_i32_e32 v160, 15, v149
	v_dual_cndmask_b32 v150, 7, v150 :: v_dual_and_b32 v151, 0x80, v151
	s_delay_alu instid0(VALU_DEP_1) | instskip(SKIP_1) | instid1(VALU_DEP_2)
	v_or_b32_e32 v149, v149, v150
	v_and_b32_e32 v161, 7, v150
	v_cmp_ne_u32_e32 vcc_lo, 0, v149
	v_lshlrev_b32_e32 v160, 3, v160
	s_delay_alu instid0(VALU_DEP_1) | instskip(NEXT) | instid1(VALU_DEP_1)
	v_or3_b32 v150, v160, v151, v161
	v_cndmask_b32_e32 v149, 0, v150, vcc_lo
.LBB2_1293:                             ;   in Loop: Header=BB2_1120 Depth=4
	s_or_b32 exec_lo, exec_lo, s39
.LBB2_1294:                             ;   in Loop: Header=BB2_1120 Depth=4
	s_delay_alu instid0(SALU_CYCLE_1)
	s_or_b32 exec_lo, exec_lo, s38
	v_lshrrev_b32_e32 v151, 16, v13
	v_lshrrev_b32_e32 v150, 16, v9
	s_and_b32 vcc_lo, exec_lo, s37
	s_cbranch_vccz .LBB2_1304
; %bb.1295:                             ;   in Loop: Header=BB2_1120 Depth=4
	s_delay_alu instid0(VALU_DEP_2) | instskip(SKIP_2) | instid1(VALU_DEP_1)
	v_and_b32_e32 v161, 0xff, v151
	s_mov_b32 s14, 0
	s_mov_b32 s39, exec_lo
                                        ; implicit-def: $sgpr38
	v_cmpx_lt_i16_e64 0x7f, v161
	s_xor_b32 s39, exec_lo, s39
	s_cbranch_execnz .LBB2_1678
; %bb.1296:                             ;   in Loop: Header=BB2_1120 Depth=4
	s_or_saveexec_b32 s39, s39
	v_mov_b32_e32 v160, s38
	s_xor_b32 exec_lo, exec_lo, s39
	s_cbranch_execnz .LBB2_1681
.LBB2_1297:                             ;   in Loop: Header=BB2_1120 Depth=4
	s_or_b32 exec_lo, exec_lo, s39
	s_and_saveexec_b32 s38, s14
	s_cbranch_execz .LBB2_1299
.LBB2_1298:                             ;   in Loop: Header=BB2_1120 Depth=4
	v_bfe_u32 v160, v13, 16, 3
	v_bfe_u32 v163, v13, 19, 4
	v_lshlrev_b32_e32 v164, 24, v151
	s_delay_alu instid0(VALU_DEP_3) | instskip(NEXT) | instid1(VALU_DEP_3)
	v_clz_i32_u32_e32 v161, v160
	v_cmp_eq_u32_e32 vcc_lo, 0, v163
	s_delay_alu instid0(VALU_DEP_2) | instskip(NEXT) | instid1(VALU_DEP_1)
	v_min_u32_e32 v161, 32, v161
	v_subrev_nc_u32_e32 v162, 28, v161
	v_sub_nc_u32_e32 v161, 29, v161
	s_delay_alu instid0(VALU_DEP_1) | instskip(NEXT) | instid1(VALU_DEP_1)
	v_dual_cndmask_b32 v161, v163, v161 :: v_dual_lshlrev_b32 v162, v162, v151
	v_and_b32_e32 v162, 7, v162
	s_delay_alu instid0(VALU_DEP_2) | instskip(NEXT) | instid1(VALU_DEP_2)
	v_lshl_add_u32 v161, v161, 23, 0x3b800000
	v_cndmask_b32_e32 v160, v160, v162, vcc_lo
	v_and_b32_e32 v162, 0x80000000, v164
	s_delay_alu instid0(VALU_DEP_2) | instskip(NEXT) | instid1(VALU_DEP_1)
	v_lshlrev_b32_e32 v160, 20, v160
	v_or3_b32 v160, v162, v161, v160
.LBB2_1299:                             ;   in Loop: Header=BB2_1120 Depth=4
	s_or_b32 exec_lo, exec_lo, s38
	v_and_b32_e32 v162, 0xff, v150
	s_mov_b32 s14, 0
	s_mov_b32 s39, exec_lo
                                        ; implicit-def: $sgpr38
	s_delay_alu instid0(VALU_DEP_1)
	v_cmpx_lt_i16_e64 0x7f, v162
	s_xor_b32 s39, exec_lo, s39
	s_cbranch_execnz .LBB2_1682
; %bb.1300:                             ;   in Loop: Header=BB2_1120 Depth=4
	s_or_saveexec_b32 s39, s39
	v_mov_b32_e32 v161, s38
	s_xor_b32 exec_lo, exec_lo, s39
	s_cbranch_execnz .LBB2_1685
.LBB2_1301:                             ;   in Loop: Header=BB2_1120 Depth=4
	s_or_b32 exec_lo, exec_lo, s39
	s_and_saveexec_b32 s38, s14
	s_cbranch_execz .LBB2_1303
.LBB2_1302:                             ;   in Loop: Header=BB2_1120 Depth=4
	v_bfe_u32 v161, v9, 16, 3
	v_bfe_u32 v164, v9, 19, 4
	v_lshlrev_b32_e32 v165, 24, v150
	s_delay_alu instid0(VALU_DEP_3) | instskip(NEXT) | instid1(VALU_DEP_3)
	v_clz_i32_u32_e32 v162, v161
	v_cmp_eq_u32_e32 vcc_lo, 0, v164
	s_delay_alu instid0(VALU_DEP_2) | instskip(NEXT) | instid1(VALU_DEP_1)
	v_min_u32_e32 v162, 32, v162
	v_subrev_nc_u32_e32 v163, 28, v162
	v_sub_nc_u32_e32 v162, 29, v162
	s_delay_alu instid0(VALU_DEP_2) | instskip(NEXT) | instid1(VALU_DEP_1)
	v_lshlrev_b32_e32 v163, v163, v150
	v_dual_cndmask_b32 v162, v164, v162 :: v_dual_and_b32 v163, 7, v163
	s_delay_alu instid0(VALU_DEP_1) | instskip(NEXT) | instid1(VALU_DEP_2)
	v_lshl_add_u32 v162, v162, 23, 0x3b800000
	v_cndmask_b32_e32 v161, v161, v163, vcc_lo
	v_and_b32_e32 v163, 0x80000000, v165
	s_delay_alu instid0(VALU_DEP_2) | instskip(NEXT) | instid1(VALU_DEP_1)
	v_lshlrev_b32_e32 v161, 20, v161
	v_or3_b32 v161, v163, v162, v161
.LBB2_1303:                             ;   in Loop: Header=BB2_1120 Depth=4
	s_or_b32 exec_lo, exec_lo, s38
	s_delay_alu instid0(VALU_DEP_1) | instskip(SKIP_1) | instid1(VALU_DEP_1)
	v_dual_max_f32 v161, v161, v161 :: v_dual_max_f32 v160, v160, v160
	s_mov_b32 s14, 0
	v_max_f32_e32 v160, v160, v161
	s_branch .LBB2_1305
.LBB2_1304:                             ;   in Loop: Header=BB2_1120 Depth=4
	s_mov_b32 s14, -1
                                        ; implicit-def: $vgpr160
.LBB2_1305:                             ;   in Loop: Header=BB2_1120 Depth=4
	s_delay_alu instid0(SALU_CYCLE_1)
	s_and_b32 vcc_lo, exec_lo, s14
	s_cbranch_vccz .LBB2_1315
; %bb.1306:                             ;   in Loop: Header=BB2_1120 Depth=4
	v_and_b32_e32 v161, 0xff, v151
	s_mov_b32 s14, 0
	s_mov_b32 s39, exec_lo
                                        ; implicit-def: $sgpr38
	s_delay_alu instid0(VALU_DEP_1)
	v_cmpx_lt_i16_e64 0x7f, v161
	s_xor_b32 s39, exec_lo, s39
	s_cbranch_execnz .LBB2_1686
; %bb.1307:                             ;   in Loop: Header=BB2_1120 Depth=4
	s_or_saveexec_b32 s39, s39
	v_mov_b32_e32 v160, s38
	s_xor_b32 exec_lo, exec_lo, s39
	s_cbranch_execnz .LBB2_1689
.LBB2_1308:                             ;   in Loop: Header=BB2_1120 Depth=4
	s_or_b32 exec_lo, exec_lo, s39
	s_and_saveexec_b32 s38, s14
	s_cbranch_execz .LBB2_1310
.LBB2_1309:                             ;   in Loop: Header=BB2_1120 Depth=4
	v_bfe_u32 v160, v13, 16, 3
	v_bfe_u32 v163, v13, 19, 4
	s_delay_alu instid0(VALU_DEP_2) | instskip(NEXT) | instid1(VALU_DEP_2)
	v_clz_i32_u32_e32 v161, v160
	v_cmp_eq_u32_e32 vcc_lo, 0, v163
	s_delay_alu instid0(VALU_DEP_2) | instskip(NEXT) | instid1(VALU_DEP_1)
	v_min_u32_e32 v161, 32, v161
	v_subrev_nc_u32_e32 v162, 28, v161
	v_sub_nc_u32_e32 v161, 29, v161
	s_delay_alu instid0(VALU_DEP_1) | instskip(NEXT) | instid1(VALU_DEP_1)
	v_dual_cndmask_b32 v161, v163, v161 :: v_dual_lshlrev_b32 v162, v162, v151
	v_and_b32_e32 v162, 7, v162
	v_lshlrev_b32_e32 v151, 24, v151
	s_delay_alu instid0(VALU_DEP_3) | instskip(NEXT) | instid1(VALU_DEP_2)
	v_lshl_add_u32 v161, v161, 23, 0x3b800000
	v_dual_cndmask_b32 v160, v160, v162 :: v_dual_and_b32 v151, 0x80000000, v151
	s_delay_alu instid0(VALU_DEP_1) | instskip(NEXT) | instid1(VALU_DEP_1)
	v_lshlrev_b32_e32 v160, 20, v160
	v_or3_b32 v160, v151, v161, v160
.LBB2_1310:                             ;   in Loop: Header=BB2_1120 Depth=4
	s_or_b32 exec_lo, exec_lo, s38
	v_and_b32_e32 v161, 0xff, v150
	s_mov_b32 s14, 0
	s_mov_b32 s39, exec_lo
                                        ; implicit-def: $sgpr38
	s_delay_alu instid0(VALU_DEP_1)
	v_cmpx_lt_i16_e64 0x7f, v161
	s_xor_b32 s39, exec_lo, s39
	s_cbranch_execnz .LBB2_1690
; %bb.1311:                             ;   in Loop: Header=BB2_1120 Depth=4
	s_or_saveexec_b32 s39, s39
	v_mov_b32_e32 v151, s38
	s_xor_b32 exec_lo, exec_lo, s39
	s_cbranch_execnz .LBB2_1693
.LBB2_1312:                             ;   in Loop: Header=BB2_1120 Depth=4
	s_or_b32 exec_lo, exec_lo, s39
	s_and_saveexec_b32 s38, s14
	s_cbranch_execz .LBB2_1314
.LBB2_1313:                             ;   in Loop: Header=BB2_1120 Depth=4
	v_bfe_u32 v151, v9, 16, 3
	v_bfe_u32 v163, v9, 19, 4
	s_delay_alu instid0(VALU_DEP_2) | instskip(NEXT) | instid1(VALU_DEP_2)
	v_clz_i32_u32_e32 v161, v151
	v_cmp_eq_u32_e32 vcc_lo, 0, v163
	s_delay_alu instid0(VALU_DEP_2) | instskip(NEXT) | instid1(VALU_DEP_1)
	v_min_u32_e32 v161, 32, v161
	v_subrev_nc_u32_e32 v162, 28, v161
	v_sub_nc_u32_e32 v161, 29, v161
	s_delay_alu instid0(VALU_DEP_1) | instskip(SKIP_1) | instid1(VALU_DEP_2)
	v_dual_cndmask_b32 v161, v163, v161 :: v_dual_lshlrev_b32 v162, v162, v150
	v_lshlrev_b32_e32 v150, 24, v150
	v_and_b32_e32 v162, 7, v162
	s_delay_alu instid0(VALU_DEP_3) | instskip(NEXT) | instid1(VALU_DEP_3)
	v_lshl_add_u32 v161, v161, 23, 0x3b800000
	v_and_b32_e32 v150, 0x80000000, v150
	s_delay_alu instid0(VALU_DEP_3) | instskip(NEXT) | instid1(VALU_DEP_1)
	v_cndmask_b32_e32 v151, v151, v162, vcc_lo
	v_lshlrev_b32_e32 v151, 20, v151
	s_delay_alu instid0(VALU_DEP_1)
	v_or3_b32 v151, v150, v161, v151
.LBB2_1314:                             ;   in Loop: Header=BB2_1120 Depth=4
	s_or_b32 exec_lo, exec_lo, s38
	s_delay_alu instid0(VALU_DEP_1) | instskip(NEXT) | instid1(VALU_DEP_1)
	v_dual_max_f32 v150, v151, v151 :: v_dual_max_f32 v151, v160, v160
	v_min_f32_e32 v160, v151, v150
.LBB2_1315:                             ;   in Loop: Header=BB2_1120 Depth=4
	s_delay_alu instid0(VALU_DEP_1) | instskip(NEXT) | instid1(VALU_DEP_1)
	v_and_b32_e32 v150, 0x7f800000, v160
	v_cmp_ne_u32_e32 vcc_lo, 0x7f800000, v150
	v_mov_b32_e32 v150, 0x80
	s_and_saveexec_b32 s38, vcc_lo
	s_cbranch_execz .LBB2_1323
; %bb.1316:                             ;   in Loop: Header=BB2_1120 Depth=4
	v_mov_b32_e32 v150, 0
	s_mov_b32 s39, exec_lo
	v_cmpx_ne_u32_e32 0, v160
	s_cbranch_execz .LBB2_1322
; %bb.1317:                             ;   in Loop: Header=BB2_1120 Depth=4
	v_bfe_u32 v150, v160, 23, 8
	v_and_b32_e32 v151, 0x7fffff, v160
	s_delay_alu instid0(VALU_DEP_2) | instskip(SKIP_1) | instid1(VALU_DEP_3)
	v_sub_nc_u32_e32 v161, 0x78, v150
	v_cmp_gt_u32_e32 vcc_lo, 0x79, v150
	v_or_b32_e32 v162, 0x800000, v151
	s_delay_alu instid0(VALU_DEP_3) | instskip(SKIP_2) | instid1(VALU_DEP_3)
	v_cndmask_b32_e32 v161, 0, v161, vcc_lo
	v_cmp_eq_u32_e32 vcc_lo, 0, v150
	v_add_nc_u32_e32 v150, 0xffffff89, v150
	v_cndmask_b32_e64 v161, v161, 0x77, vcc_lo
	v_cndmask_b32_e32 v151, v162, v151, vcc_lo
	s_delay_alu instid0(VALU_DEP_3) | instskip(NEXT) | instid1(VALU_DEP_3)
	v_cndmask_b32_e64 v150, v150, 0xffffff8a, vcc_lo
	v_lshl_add_u32 v162, 0x100000, v161, -1
	s_delay_alu instid0(VALU_DEP_3) | instskip(SKIP_1) | instid1(VALU_DEP_4)
	v_lshrrev_b32_e32 v163, v161, v151
	v_lshlrev_b32_e64 v165, v161, 0x80000
	v_add_nc_u32_e32 v161, v161, v150
	s_delay_alu instid0(VALU_DEP_4) | instskip(NEXT) | instid1(VALU_DEP_4)
	v_and_b32_e32 v151, v162, v151
	v_bfe_u32 v164, v163, 20, 1
	s_delay_alu instid0(VALU_DEP_2) | instskip(NEXT) | instid1(VALU_DEP_2)
	v_cmp_eq_u32_e64 s14, v151, v165
	v_add_nc_u32_e32 v162, -1, v164
	s_delay_alu instid0(VALU_DEP_1) | instskip(SKIP_2) | instid1(VALU_DEP_2)
	v_cndmask_b32_e64 v151, 0, v162, s14
	v_lshrrev_b32_e32 v162, 23, v163
	s_mov_b32 s14, exec_lo
	v_add_nc_u32_e32 v151, v151, v163
	s_delay_alu instid0(VALU_DEP_2) | instskip(NEXT) | instid1(VALU_DEP_2)
	v_xor_b32_e32 v162, 1, v162
	v_and_b32_e32 v150, 0xfffff, v151
	s_delay_alu instid0(VALU_DEP_1) | instskip(NEXT) | instid1(VALU_DEP_3)
	v_add_nc_u32_e32 v151, v150, v163
                                        ; implicit-def: $vgpr150
	v_cmpx_ne_u32_e64 v161, v162
	s_xor_b32 s14, exec_lo, s14
; %bb.1318:                             ;   in Loop: Header=BB2_1120 Depth=4
	s_delay_alu instid0(VALU_DEP_2) | instskip(SKIP_2) | instid1(VALU_DEP_2)
	v_cmp_lt_u32_e32 vcc_lo, 0xffffff, v151
	v_sub_nc_u32_e32 v150, v161, v162
	v_cndmask_b32_e64 v161, 0, 1, vcc_lo
	v_add_co_ci_u32_e32 v150, vcc_lo, 0, v150, vcc_lo
	s_delay_alu instid0(VALU_DEP_2)
	v_lshrrev_b32_e32 v151, v161, v151
; %bb.1319:                             ;   in Loop: Header=BB2_1120 Depth=4
	s_and_not1_saveexec_b32 s14, s14
; %bb.1320:                             ;   in Loop: Header=BB2_1120 Depth=4
	s_delay_alu instid0(VALU_DEP_1)
	v_bfe_u32 v150, v151, 23, 1
; %bb.1321:                             ;   in Loop: Header=BB2_1120 Depth=4
	s_or_b32 exec_lo, exec_lo, s14
	v_lshrrev_b32_e32 v151, 20, v151
	s_delay_alu instid0(VALU_DEP_2) | instskip(SKIP_2) | instid1(VALU_DEP_2)
	v_cmp_gt_i32_e32 vcc_lo, 16, v150
	v_lshrrev_b32_e32 v160, 24, v160
	v_min_i32_e32 v161, 15, v150
	v_dual_cndmask_b32 v151, 7, v151 :: v_dual_and_b32 v160, 0x80, v160
	s_delay_alu instid0(VALU_DEP_1) | instskip(SKIP_1) | instid1(VALU_DEP_2)
	v_or_b32_e32 v150, v150, v151
	v_and_b32_e32 v162, 7, v151
	v_cmp_ne_u32_e32 vcc_lo, 0, v150
	v_lshlrev_b32_e32 v161, 3, v161
	s_delay_alu instid0(VALU_DEP_1) | instskip(NEXT) | instid1(VALU_DEP_1)
	v_and_b32_e32 v161, 0xf8, v161
	v_or3_b32 v151, v161, v160, v162
	s_delay_alu instid0(VALU_DEP_1)
	v_cndmask_b32_e32 v150, 0, v151, vcc_lo
.LBB2_1322:                             ;   in Loop: Header=BB2_1120 Depth=4
	s_or_b32 exec_lo, exec_lo, s39
.LBB2_1323:                             ;   in Loop: Header=BB2_1120 Depth=4
	s_delay_alu instid0(SALU_CYCLE_1)
	s_or_b32 exec_lo, exec_lo, s38
	v_lshrrev_b32_e32 v160, 24, v13
	v_lshrrev_b32_e32 v151, 24, v9
	s_and_b32 vcc_lo, exec_lo, s37
	s_cbranch_vccz .LBB2_1333
; %bb.1324:                             ;   in Loop: Header=BB2_1120 Depth=4
	s_mov_b32 s14, 0
	s_mov_b32 s39, exec_lo
                                        ; implicit-def: $sgpr38
	v_cmpx_lt_i16_e64 0x7f, v160
	s_xor_b32 s39, exec_lo, s39
	s_cbranch_execnz .LBB2_1694
; %bb.1325:                             ;   in Loop: Header=BB2_1120 Depth=4
	s_or_saveexec_b32 s39, s39
	v_mov_b32_e32 v161, s38
	s_xor_b32 exec_lo, exec_lo, s39
	s_cbranch_execnz .LBB2_1697
.LBB2_1326:                             ;   in Loop: Header=BB2_1120 Depth=4
	s_or_b32 exec_lo, exec_lo, s39
	s_and_saveexec_b32 s38, s14
	s_cbranch_execz .LBB2_1328
.LBB2_1327:                             ;   in Loop: Header=BB2_1120 Depth=4
	v_bfe_u32 v161, v13, 24, 3
	v_bfe_u32 v164, v13, 27, 4
	s_delay_alu instid0(VALU_DEP_2) | instskip(NEXT) | instid1(VALU_DEP_2)
	v_clz_i32_u32_e32 v162, v161
	v_cmp_eq_u32_e32 vcc_lo, 0, v164
	s_delay_alu instid0(VALU_DEP_2) | instskip(NEXT) | instid1(VALU_DEP_1)
	v_min_u32_e32 v162, 32, v162
	v_subrev_nc_u32_e32 v163, 28, v162
	v_sub_nc_u32_e32 v162, 29, v162
	s_delay_alu instid0(VALU_DEP_1) | instskip(NEXT) | instid1(VALU_DEP_1)
	v_dual_cndmask_b32 v162, v164, v162 :: v_dual_lshlrev_b32 v163, v163, v160
	v_and_b32_e32 v163, 7, v163
	s_delay_alu instid0(VALU_DEP_2) | instskip(NEXT) | instid1(VALU_DEP_2)
	v_lshl_add_u32 v162, v162, 23, 0x3b800000
	v_cndmask_b32_e32 v161, v161, v163, vcc_lo
	v_and_b32_e32 v163, 0x80000000, v13
	s_delay_alu instid0(VALU_DEP_2) | instskip(NEXT) | instid1(VALU_DEP_1)
	v_lshlrev_b32_e32 v161, 20, v161
	v_or3_b32 v161, v163, v162, v161
.LBB2_1328:                             ;   in Loop: Header=BB2_1120 Depth=4
	s_or_b32 exec_lo, exec_lo, s38
	s_mov_b32 s14, 0
	s_mov_b32 s39, exec_lo
                                        ; implicit-def: $sgpr38
	v_cmpx_lt_i16_e64 0x7f, v151
	s_xor_b32 s39, exec_lo, s39
	s_cbranch_execnz .LBB2_1698
; %bb.1329:                             ;   in Loop: Header=BB2_1120 Depth=4
	s_or_saveexec_b32 s39, s39
	v_mov_b32_e32 v162, s38
	s_xor_b32 exec_lo, exec_lo, s39
	s_cbranch_execnz .LBB2_1701
.LBB2_1330:                             ;   in Loop: Header=BB2_1120 Depth=4
	s_or_b32 exec_lo, exec_lo, s39
	s_and_saveexec_b32 s38, s14
	s_cbranch_execz .LBB2_1332
.LBB2_1331:                             ;   in Loop: Header=BB2_1120 Depth=4
	v_bfe_u32 v162, v9, 24, 3
	v_bfe_u32 v165, v9, 27, 4
	s_delay_alu instid0(VALU_DEP_2) | instskip(NEXT) | instid1(VALU_DEP_2)
	v_clz_i32_u32_e32 v163, v162
	v_cmp_eq_u32_e32 vcc_lo, 0, v165
	s_delay_alu instid0(VALU_DEP_2) | instskip(NEXT) | instid1(VALU_DEP_1)
	v_min_u32_e32 v163, 32, v163
	v_subrev_nc_u32_e32 v164, 28, v163
	v_sub_nc_u32_e32 v163, 29, v163
	s_delay_alu instid0(VALU_DEP_2) | instskip(NEXT) | instid1(VALU_DEP_1)
	v_lshlrev_b32_e32 v164, v164, v151
	v_dual_cndmask_b32 v163, v165, v163 :: v_dual_and_b32 v164, 7, v164
	s_delay_alu instid0(VALU_DEP_1) | instskip(NEXT) | instid1(VALU_DEP_2)
	v_lshl_add_u32 v163, v163, 23, 0x3b800000
	v_cndmask_b32_e32 v162, v162, v164, vcc_lo
	v_and_b32_e32 v164, 0x80000000, v9
	s_delay_alu instid0(VALU_DEP_2) | instskip(NEXT) | instid1(VALU_DEP_1)
	v_lshlrev_b32_e32 v162, 20, v162
	v_or3_b32 v162, v164, v163, v162
.LBB2_1332:                             ;   in Loop: Header=BB2_1120 Depth=4
	s_or_b32 exec_lo, exec_lo, s38
	s_delay_alu instid0(VALU_DEP_1) | instskip(SKIP_1) | instid1(VALU_DEP_1)
	v_dual_max_f32 v162, v162, v162 :: v_dual_max_f32 v161, v161, v161
	s_mov_b32 s14, 0
	v_max_f32_e32 v161, v161, v162
	s_branch .LBB2_1334
.LBB2_1333:                             ;   in Loop: Header=BB2_1120 Depth=4
	s_mov_b32 s14, -1
                                        ; implicit-def: $vgpr161
.LBB2_1334:                             ;   in Loop: Header=BB2_1120 Depth=4
	s_delay_alu instid0(SALU_CYCLE_1)
	s_and_b32 vcc_lo, exec_lo, s14
	s_cbranch_vccz .LBB2_1344
; %bb.1335:                             ;   in Loop: Header=BB2_1120 Depth=4
	s_mov_b32 s14, 0
	s_mov_b32 s39, exec_lo
                                        ; implicit-def: $sgpr38
	v_cmpx_lt_i16_e64 0x7f, v160
	s_xor_b32 s39, exec_lo, s39
	s_cbranch_execnz .LBB2_1702
; %bb.1336:                             ;   in Loop: Header=BB2_1120 Depth=4
	s_or_saveexec_b32 s39, s39
	v_mov_b32_e32 v161, s38
	s_xor_b32 exec_lo, exec_lo, s39
	s_cbranch_execnz .LBB2_1705
.LBB2_1337:                             ;   in Loop: Header=BB2_1120 Depth=4
	s_or_b32 exec_lo, exec_lo, s39
	s_and_saveexec_b32 s38, s14
	s_cbranch_execz .LBB2_1339
.LBB2_1338:                             ;   in Loop: Header=BB2_1120 Depth=4
	v_bfe_u32 v161, v13, 24, 3
	s_delay_alu instid0(VALU_DEP_1) | instskip(NEXT) | instid1(VALU_DEP_1)
	v_clz_i32_u32_e32 v162, v161
	v_min_u32_e32 v162, 32, v162
	s_delay_alu instid0(VALU_DEP_1) | instskip(SKIP_1) | instid1(VALU_DEP_2)
	v_subrev_nc_u32_e32 v163, 28, v162
	v_sub_nc_u32_e32 v162, 29, v162
	v_lshlrev_b32_e32 v160, v163, v160
	v_bfe_u32 v163, v13, 27, 4
	v_and_b32_e32 v13, 0x80000000, v13
	s_delay_alu instid0(VALU_DEP_3) | instskip(NEXT) | instid1(VALU_DEP_3)
	v_and_b32_e32 v160, 7, v160
	v_cmp_eq_u32_e32 vcc_lo, 0, v163
	v_cndmask_b32_e32 v162, v163, v162, vcc_lo
	s_delay_alu instid0(VALU_DEP_3) | instskip(NEXT) | instid1(VALU_DEP_2)
	v_cndmask_b32_e32 v160, v161, v160, vcc_lo
	v_lshl_add_u32 v161, v162, 23, 0x3b800000
	s_delay_alu instid0(VALU_DEP_2) | instskip(NEXT) | instid1(VALU_DEP_1)
	v_lshlrev_b32_e32 v160, 20, v160
	v_or3_b32 v161, v13, v161, v160
.LBB2_1339:                             ;   in Loop: Header=BB2_1120 Depth=4
	s_or_b32 exec_lo, exec_lo, s38
	s_mov_b32 s14, 0
	s_mov_b32 s39, exec_lo
                                        ; implicit-def: $sgpr38
	v_cmpx_lt_i16_e64 0x7f, v151
	s_xor_b32 s39, exec_lo, s39
	s_cbranch_execnz .LBB2_1706
; %bb.1340:                             ;   in Loop: Header=BB2_1120 Depth=4
	s_or_saveexec_b32 s39, s39
	v_mov_b32_e32 v13, s38
	s_xor_b32 exec_lo, exec_lo, s39
	s_cbranch_execnz .LBB2_1709
.LBB2_1341:                             ;   in Loop: Header=BB2_1120 Depth=4
	s_or_b32 exec_lo, exec_lo, s39
	s_and_saveexec_b32 s38, s14
	s_cbranch_execz .LBB2_1343
.LBB2_1342:                             ;   in Loop: Header=BB2_1120 Depth=4
	v_bfe_u32 v13, v9, 24, 3
	s_delay_alu instid0(VALU_DEP_1) | instskip(NEXT) | instid1(VALU_DEP_1)
	v_clz_i32_u32_e32 v160, v13
	v_min_u32_e32 v160, 32, v160
	s_delay_alu instid0(VALU_DEP_1) | instskip(SKIP_1) | instid1(VALU_DEP_2)
	v_subrev_nc_u32_e32 v162, 28, v160
	v_sub_nc_u32_e32 v160, 29, v160
	v_lshlrev_b32_e32 v151, v162, v151
	v_bfe_u32 v162, v9, 27, 4
	v_and_b32_e32 v9, 0x80000000, v9
	s_delay_alu instid0(VALU_DEP_2) | instskip(NEXT) | instid1(VALU_DEP_4)
	v_cmp_eq_u32_e32 vcc_lo, 0, v162
	v_dual_cndmask_b32 v160, v162, v160 :: v_dual_and_b32 v151, 7, v151
	s_delay_alu instid0(VALU_DEP_1) | instskip(NEXT) | instid1(VALU_DEP_2)
	v_cndmask_b32_e32 v13, v13, v151, vcc_lo
	v_lshl_add_u32 v151, v160, 23, 0x3b800000
	s_delay_alu instid0(VALU_DEP_2) | instskip(NEXT) | instid1(VALU_DEP_1)
	v_lshlrev_b32_e32 v13, 20, v13
	v_or3_b32 v13, v9, v151, v13
.LBB2_1343:                             ;   in Loop: Header=BB2_1120 Depth=4
	s_or_b32 exec_lo, exec_lo, s38
	s_delay_alu instid0(VALU_DEP_1) | instskip(SKIP_1) | instid1(VALU_DEP_1)
	v_max_f32_e32 v9, v13, v13
	v_max_f32_e32 v13, v161, v161
	v_min_f32_e32 v161, v13, v9
.LBB2_1344:                             ;   in Loop: Header=BB2_1120 Depth=4
	s_delay_alu instid0(VALU_DEP_1) | instskip(NEXT) | instid1(VALU_DEP_1)
	v_and_b32_e32 v9, 0x7f800000, v161
	v_cmp_ne_u32_e32 vcc_lo, 0x7f800000, v9
	v_mov_b32_e32 v9, 0x8000
	s_and_saveexec_b32 s38, vcc_lo
	s_cbranch_execz .LBB2_1352
; %bb.1345:                             ;   in Loop: Header=BB2_1120 Depth=4
	v_mov_b32_e32 v9, 0
	s_mov_b32 s39, exec_lo
	v_cmpx_ne_u32_e32 0, v161
	s_cbranch_execz .LBB2_1351
; %bb.1346:                             ;   in Loop: Header=BB2_1120 Depth=4
	v_bfe_u32 v9, v161, 23, 8
	v_and_b32_e32 v13, 0x7fffff, v161
	s_delay_alu instid0(VALU_DEP_2) | instskip(SKIP_1) | instid1(VALU_DEP_3)
	v_sub_nc_u32_e32 v151, 0x78, v9
	v_cmp_gt_u32_e32 vcc_lo, 0x79, v9
	v_or_b32_e32 v160, 0x800000, v13
	s_delay_alu instid0(VALU_DEP_3) | instskip(SKIP_2) | instid1(VALU_DEP_3)
	v_cndmask_b32_e32 v151, 0, v151, vcc_lo
	v_cmp_eq_u32_e32 vcc_lo, 0, v9
	v_add_nc_u32_e32 v9, 0xffffff89, v9
	v_cndmask_b32_e64 v151, v151, 0x77, vcc_lo
	v_cndmask_b32_e32 v13, v160, v13, vcc_lo
	s_delay_alu instid0(VALU_DEP_3) | instskip(NEXT) | instid1(VALU_DEP_3)
	v_cndmask_b32_e64 v9, v9, 0xffffff8a, vcc_lo
	v_lshl_add_u32 v160, 0x100000, v151, -1
	s_delay_alu instid0(VALU_DEP_3) | instskip(SKIP_1) | instid1(VALU_DEP_4)
	v_lshrrev_b32_e32 v162, v151, v13
	v_lshlrev_b32_e64 v164, v151, 0x80000
	v_add_nc_u32_e32 v151, v151, v9
	s_delay_alu instid0(VALU_DEP_4) | instskip(NEXT) | instid1(VALU_DEP_4)
	v_and_b32_e32 v13, v160, v13
	v_bfe_u32 v163, v162, 20, 1
	s_delay_alu instid0(VALU_DEP_2) | instskip(NEXT) | instid1(VALU_DEP_2)
	v_cmp_eq_u32_e64 s14, v13, v164
	v_add_nc_u32_e32 v160, -1, v163
	s_delay_alu instid0(VALU_DEP_1) | instskip(SKIP_2) | instid1(VALU_DEP_2)
	v_cndmask_b32_e64 v13, 0, v160, s14
	v_lshrrev_b32_e32 v160, 23, v162
	s_mov_b32 s14, exec_lo
	v_add_nc_u32_e32 v13, v13, v162
	s_delay_alu instid0(VALU_DEP_2) | instskip(NEXT) | instid1(VALU_DEP_2)
	v_xor_b32_e32 v160, 1, v160
	v_and_b32_e32 v9, 0xfffff, v13
	s_delay_alu instid0(VALU_DEP_1) | instskip(NEXT) | instid1(VALU_DEP_3)
	v_add_nc_u32_e32 v13, v9, v162
                                        ; implicit-def: $vgpr9
	v_cmpx_ne_u32_e64 v151, v160
	s_xor_b32 s14, exec_lo, s14
; %bb.1347:                             ;   in Loop: Header=BB2_1120 Depth=4
	s_delay_alu instid0(VALU_DEP_2) | instskip(SKIP_2) | instid1(VALU_DEP_2)
	v_cmp_lt_u32_e32 vcc_lo, 0xffffff, v13
	v_sub_nc_u32_e32 v9, v151, v160
	v_cndmask_b32_e64 v151, 0, 1, vcc_lo
	v_add_co_ci_u32_e32 v9, vcc_lo, 0, v9, vcc_lo
	s_delay_alu instid0(VALU_DEP_2)
	v_lshrrev_b32_e32 v13, v151, v13
; %bb.1348:                             ;   in Loop: Header=BB2_1120 Depth=4
	s_and_not1_saveexec_b32 s14, s14
; %bb.1349:                             ;   in Loop: Header=BB2_1120 Depth=4
	s_delay_alu instid0(VALU_DEP_1)
	v_bfe_u32 v9, v13, 23, 1
; %bb.1350:                             ;   in Loop: Header=BB2_1120 Depth=4
	s_or_b32 exec_lo, exec_lo, s14
	v_lshrrev_b32_e32 v13, 20, v13
	s_delay_alu instid0(VALU_DEP_2) | instskip(SKIP_2) | instid1(VALU_DEP_3)
	v_min_i32_e32 v151, 15, v9
	v_cmp_gt_i32_e32 vcc_lo, 16, v9
	v_lshrrev_b32_e32 v160, 24, v161
	v_lshlrev_b32_e32 v151, 3, v151
	s_delay_alu instid0(VALU_DEP_2) | instskip(NEXT) | instid1(VALU_DEP_2)
	v_dual_cndmask_b32 v13, 7, v13 :: v_dual_and_b32 v160, 0x80, v160
	v_and_b32_e32 v151, 0xf8, v151
	s_delay_alu instid0(VALU_DEP_2) | instskip(SKIP_1) | instid1(VALU_DEP_2)
	v_and_b32_e32 v161, 7, v13
	v_or_b32_e32 v9, v9, v13
	v_or3_b32 v151, v160, v151, v161
	s_delay_alu instid0(VALU_DEP_2) | instskip(NEXT) | instid1(VALU_DEP_2)
	v_cmp_ne_u32_e32 vcc_lo, 0, v9
	v_lshlrev_b32_e32 v13, 8, v151
	s_delay_alu instid0(VALU_DEP_1)
	v_cndmask_b32_e32 v9, 0, v13, vcc_lo
.LBB2_1351:                             ;   in Loop: Header=BB2_1120 Depth=4
	s_or_b32 exec_lo, exec_lo, s39
.LBB2_1352:                             ;   in Loop: Header=BB2_1120 Depth=4
	s_delay_alu instid0(SALU_CYCLE_1) | instskip(NEXT) | instid1(SALU_CYCLE_1)
	s_or_b32 exec_lo, exec_lo, s38
	s_and_b32 vcc_lo, exec_lo, s37
	s_cbranch_vccz .LBB2_1362
; %bb.1353:                             ;   in Loop: Header=BB2_1120 Depth=4
	v_and_b32_e32 v151, 0xff, v14
	s_mov_b32 s14, 0
	s_mov_b32 s39, exec_lo
                                        ; implicit-def: $sgpr38
	s_delay_alu instid0(VALU_DEP_1)
	v_cmpx_lt_i16_e64 0x7f, v151
	s_xor_b32 s39, exec_lo, s39
	s_cbranch_execnz .LBB2_1710
; %bb.1354:                             ;   in Loop: Header=BB2_1120 Depth=4
	s_or_saveexec_b32 s39, s39
	v_mov_b32_e32 v13, s38
	s_xor_b32 exec_lo, exec_lo, s39
	s_cbranch_execnz .LBB2_1713
.LBB2_1355:                             ;   in Loop: Header=BB2_1120 Depth=4
	s_or_b32 exec_lo, exec_lo, s39
	s_and_saveexec_b32 s38, s14
	s_cbranch_execz .LBB2_1357
.LBB2_1356:                             ;   in Loop: Header=BB2_1120 Depth=4
	v_and_b32_e32 v13, 7, v14
	v_bfe_u32 v161, v14, 3, 4
	s_delay_alu instid0(VALU_DEP_2) | instskip(NEXT) | instid1(VALU_DEP_2)
	v_clz_i32_u32_e32 v151, v13
	v_cmp_eq_u32_e32 vcc_lo, 0, v161
	s_delay_alu instid0(VALU_DEP_2) | instskip(NEXT) | instid1(VALU_DEP_1)
	v_min_u32_e32 v151, 32, v151
	v_subrev_nc_u32_e32 v160, 28, v151
	v_sub_nc_u32_e32 v151, 29, v151
	s_delay_alu instid0(VALU_DEP_1) | instskip(NEXT) | instid1(VALU_DEP_1)
	v_dual_cndmask_b32 v151, v161, v151 :: v_dual_lshlrev_b32 v160, v160, v14
	v_and_b32_e32 v160, 7, v160
	v_lshlrev_b32_e32 v162, 24, v14
	s_delay_alu instid0(VALU_DEP_3) | instskip(NEXT) | instid1(VALU_DEP_2)
	v_lshl_add_u32 v151, v151, 23, 0x3b800000
	v_dual_cndmask_b32 v13, v13, v160 :: v_dual_and_b32 v160, 0x80000000, v162
	s_delay_alu instid0(VALU_DEP_1) | instskip(NEXT) | instid1(VALU_DEP_1)
	v_lshlrev_b32_e32 v13, 20, v13
	v_or3_b32 v13, v160, v151, v13
.LBB2_1357:                             ;   in Loop: Header=BB2_1120 Depth=4
	s_or_b32 exec_lo, exec_lo, s38
	v_and_b32_e32 v160, 0xff, v10
	s_mov_b32 s14, 0
	s_mov_b32 s39, exec_lo
                                        ; implicit-def: $sgpr38
	s_delay_alu instid0(VALU_DEP_1)
	v_cmpx_lt_i16_e64 0x7f, v160
	s_xor_b32 s39, exec_lo, s39
	s_cbranch_execnz .LBB2_1714
; %bb.1358:                             ;   in Loop: Header=BB2_1120 Depth=4
	s_or_saveexec_b32 s39, s39
	v_mov_b32_e32 v151, s38
	s_xor_b32 exec_lo, exec_lo, s39
	s_cbranch_execnz .LBB2_1717
.LBB2_1359:                             ;   in Loop: Header=BB2_1120 Depth=4
	s_or_b32 exec_lo, exec_lo, s39
	s_and_saveexec_b32 s38, s14
	s_cbranch_execz .LBB2_1361
.LBB2_1360:                             ;   in Loop: Header=BB2_1120 Depth=4
	v_bfe_u32 v162, v10, 3, 4
	v_lshlrev_b32_e32 v163, 24, v10
	s_delay_alu instid0(VALU_DEP_2) | instskip(SKIP_1) | instid1(VALU_DEP_1)
	v_cmp_eq_u32_e32 vcc_lo, 0, v162
	v_and_b32_e32 v151, 7, v10
	v_clz_i32_u32_e32 v160, v151
	s_delay_alu instid0(VALU_DEP_1) | instskip(NEXT) | instid1(VALU_DEP_1)
	v_min_u32_e32 v160, 32, v160
	v_subrev_nc_u32_e32 v161, 28, v160
	v_sub_nc_u32_e32 v160, 29, v160
	s_delay_alu instid0(VALU_DEP_1) | instskip(NEXT) | instid1(VALU_DEP_1)
	v_dual_cndmask_b32 v160, v162, v160 :: v_dual_lshlrev_b32 v161, v161, v10
	v_and_b32_e32 v161, 7, v161
	s_delay_alu instid0(VALU_DEP_2) | instskip(NEXT) | instid1(VALU_DEP_2)
	v_lshl_add_u32 v160, v160, 23, 0x3b800000
	v_cndmask_b32_e32 v151, v151, v161, vcc_lo
	v_and_b32_e32 v161, 0x80000000, v163
	s_delay_alu instid0(VALU_DEP_2) | instskip(NEXT) | instid1(VALU_DEP_1)
	v_lshlrev_b32_e32 v151, 20, v151
	v_or3_b32 v151, v161, v160, v151
.LBB2_1361:                             ;   in Loop: Header=BB2_1120 Depth=4
	s_or_b32 exec_lo, exec_lo, s38
	s_delay_alu instid0(VALU_DEP_1) | instskip(SKIP_2) | instid1(VALU_DEP_1)
	v_max_f32_e32 v151, v151, v151
	v_max_f32_e32 v13, v13, v13
	s_mov_b32 s14, 0
	v_max_f32_e32 v151, v13, v151
	s_branch .LBB2_1363
.LBB2_1362:                             ;   in Loop: Header=BB2_1120 Depth=4
	s_mov_b32 s14, -1
                                        ; implicit-def: $vgpr151
.LBB2_1363:                             ;   in Loop: Header=BB2_1120 Depth=4
	s_delay_alu instid0(SALU_CYCLE_1)
	s_and_b32 vcc_lo, exec_lo, s14
	s_cbranch_vccz .LBB2_1373
; %bb.1364:                             ;   in Loop: Header=BB2_1120 Depth=4
	v_and_b32_e32 v151, 0xff, v14
	s_mov_b32 s14, 0
	s_mov_b32 s39, exec_lo
                                        ; implicit-def: $sgpr38
	s_delay_alu instid0(VALU_DEP_1)
	v_cmpx_lt_i16_e64 0x7f, v151
	s_xor_b32 s39, exec_lo, s39
	s_cbranch_execnz .LBB2_1718
; %bb.1365:                             ;   in Loop: Header=BB2_1120 Depth=4
	s_or_saveexec_b32 s39, s39
	v_mov_b32_e32 v13, s38
	s_xor_b32 exec_lo, exec_lo, s39
	s_cbranch_execnz .LBB2_1721
.LBB2_1366:                             ;   in Loop: Header=BB2_1120 Depth=4
	s_or_b32 exec_lo, exec_lo, s39
	s_and_saveexec_b32 s38, s14
	s_cbranch_execz .LBB2_1368
.LBB2_1367:                             ;   in Loop: Header=BB2_1120 Depth=4
	v_and_b32_e32 v13, 7, v14
	v_bfe_u32 v161, v14, 3, 4
	s_delay_alu instid0(VALU_DEP_2) | instskip(NEXT) | instid1(VALU_DEP_2)
	v_clz_i32_u32_e32 v151, v13
	v_cmp_eq_u32_e32 vcc_lo, 0, v161
	s_delay_alu instid0(VALU_DEP_2) | instskip(NEXT) | instid1(VALU_DEP_1)
	v_min_u32_e32 v151, 32, v151
	v_subrev_nc_u32_e32 v160, 28, v151
	v_sub_nc_u32_e32 v151, 29, v151
	s_delay_alu instid0(VALU_DEP_1) | instskip(NEXT) | instid1(VALU_DEP_1)
	v_dual_cndmask_b32 v151, v161, v151 :: v_dual_lshlrev_b32 v160, v160, v14
	v_and_b32_e32 v160, 7, v160
	v_lshlrev_b32_e32 v162, 24, v14
	s_delay_alu instid0(VALU_DEP_3) | instskip(NEXT) | instid1(VALU_DEP_2)
	v_lshl_add_u32 v151, v151, 23, 0x3b800000
	v_dual_cndmask_b32 v13, v13, v160 :: v_dual_and_b32 v160, 0x80000000, v162
	s_delay_alu instid0(VALU_DEP_1) | instskip(NEXT) | instid1(VALU_DEP_1)
	v_lshlrev_b32_e32 v13, 20, v13
	v_or3_b32 v13, v160, v151, v13
.LBB2_1368:                             ;   in Loop: Header=BB2_1120 Depth=4
	s_or_b32 exec_lo, exec_lo, s38
	v_and_b32_e32 v160, 0xff, v10
	s_mov_b32 s14, 0
	s_mov_b32 s39, exec_lo
                                        ; implicit-def: $sgpr38
	s_delay_alu instid0(VALU_DEP_1)
	v_cmpx_lt_i16_e64 0x7f, v160
	s_xor_b32 s39, exec_lo, s39
	s_cbranch_execnz .LBB2_1722
; %bb.1369:                             ;   in Loop: Header=BB2_1120 Depth=4
	s_or_saveexec_b32 s39, s39
	v_mov_b32_e32 v151, s38
	s_xor_b32 exec_lo, exec_lo, s39
	s_cbranch_execnz .LBB2_1725
.LBB2_1370:                             ;   in Loop: Header=BB2_1120 Depth=4
	s_or_b32 exec_lo, exec_lo, s39
	s_and_saveexec_b32 s38, s14
	s_cbranch_execz .LBB2_1372
.LBB2_1371:                             ;   in Loop: Header=BB2_1120 Depth=4
	v_bfe_u32 v162, v10, 3, 4
	v_lshlrev_b32_e32 v163, 24, v10
	s_delay_alu instid0(VALU_DEP_2) | instskip(SKIP_1) | instid1(VALU_DEP_1)
	v_cmp_eq_u32_e32 vcc_lo, 0, v162
	v_and_b32_e32 v151, 7, v10
	v_clz_i32_u32_e32 v160, v151
	s_delay_alu instid0(VALU_DEP_1) | instskip(NEXT) | instid1(VALU_DEP_1)
	v_min_u32_e32 v160, 32, v160
	v_subrev_nc_u32_e32 v161, 28, v160
	v_sub_nc_u32_e32 v160, 29, v160
	s_delay_alu instid0(VALU_DEP_1) | instskip(NEXT) | instid1(VALU_DEP_1)
	v_dual_cndmask_b32 v160, v162, v160 :: v_dual_lshlrev_b32 v161, v161, v10
	v_and_b32_e32 v161, 7, v161
	s_delay_alu instid0(VALU_DEP_2) | instskip(NEXT) | instid1(VALU_DEP_2)
	v_lshl_add_u32 v160, v160, 23, 0x3b800000
	v_cndmask_b32_e32 v151, v151, v161, vcc_lo
	v_and_b32_e32 v161, 0x80000000, v163
	s_delay_alu instid0(VALU_DEP_2) | instskip(NEXT) | instid1(VALU_DEP_1)
	v_lshlrev_b32_e32 v151, 20, v151
	v_or3_b32 v151, v161, v160, v151
.LBB2_1372:                             ;   in Loop: Header=BB2_1120 Depth=4
	s_or_b32 exec_lo, exec_lo, s38
	s_delay_alu instid0(VALU_DEP_1) | instskip(SKIP_1) | instid1(VALU_DEP_1)
	v_max_f32_e32 v151, v151, v151
	v_max_f32_e32 v13, v13, v13
	v_min_f32_e32 v151, v13, v151
.LBB2_1373:                             ;   in Loop: Header=BB2_1120 Depth=4
	s_delay_alu instid0(VALU_DEP_1) | instskip(NEXT) | instid1(VALU_DEP_1)
	v_and_b32_e32 v13, 0x7f800000, v151
	v_cmp_ne_u32_e32 vcc_lo, 0x7f800000, v13
	v_mov_b32_e32 v13, 0x80
	s_and_saveexec_b32 s38, vcc_lo
	s_cbranch_execz .LBB2_1381
; %bb.1374:                             ;   in Loop: Header=BB2_1120 Depth=4
	v_mov_b32_e32 v13, 0
	s_mov_b32 s39, exec_lo
	v_cmpx_ne_u32_e32 0, v151
	s_cbranch_execz .LBB2_1380
; %bb.1375:                             ;   in Loop: Header=BB2_1120 Depth=4
	v_bfe_u32 v13, v151, 23, 8
	s_delay_alu instid0(VALU_DEP_1) | instskip(SKIP_1) | instid1(VALU_DEP_2)
	v_sub_nc_u32_e32 v161, 0x78, v13
	v_cmp_gt_u32_e32 vcc_lo, 0x79, v13
	v_dual_cndmask_b32 v161, 0, v161 :: v_dual_and_b32 v160, 0x7fffff, v151
	s_delay_alu instid0(VALU_DEP_1) | instskip(SKIP_2) | instid1(VALU_DEP_4)
	v_or_b32_e32 v162, 0x800000, v160
	v_cmp_eq_u32_e32 vcc_lo, 0, v13
	v_add_nc_u32_e32 v13, 0xffffff89, v13
	v_cndmask_b32_e64 v161, v161, 0x77, vcc_lo
	s_delay_alu instid0(VALU_DEP_4) | instskip(NEXT) | instid1(VALU_DEP_3)
	v_cndmask_b32_e32 v160, v162, v160, vcc_lo
	v_cndmask_b32_e64 v13, v13, 0xffffff8a, vcc_lo
	s_delay_alu instid0(VALU_DEP_3) | instskip(NEXT) | instid1(VALU_DEP_3)
	v_lshl_add_u32 v162, 0x100000, v161, -1
	v_lshrrev_b32_e32 v163, v161, v160
	v_lshlrev_b32_e64 v165, v161, 0x80000
	s_delay_alu instid0(VALU_DEP_4) | instskip(NEXT) | instid1(VALU_DEP_4)
	v_add_nc_u32_e32 v161, v161, v13
	v_and_b32_e32 v160, v162, v160
	s_delay_alu instid0(VALU_DEP_4) | instskip(NEXT) | instid1(VALU_DEP_2)
	v_bfe_u32 v164, v163, 20, 1
	v_cmp_eq_u32_e64 s14, v160, v165
	s_delay_alu instid0(VALU_DEP_2) | instskip(NEXT) | instid1(VALU_DEP_1)
	v_add_nc_u32_e32 v162, -1, v164
	v_cndmask_b32_e64 v160, 0, v162, s14
	v_lshrrev_b32_e32 v162, 23, v163
	s_mov_b32 s14, exec_lo
	s_delay_alu instid0(VALU_DEP_2) | instskip(NEXT) | instid1(VALU_DEP_2)
	v_add_nc_u32_e32 v160, v160, v163
	v_xor_b32_e32 v162, 1, v162
	s_delay_alu instid0(VALU_DEP_2) | instskip(NEXT) | instid1(VALU_DEP_1)
	v_and_b32_e32 v13, 0xfffff, v160
	v_add_nc_u32_e32 v160, v13, v163
                                        ; implicit-def: $vgpr13
	s_delay_alu instid0(VALU_DEP_3)
	v_cmpx_ne_u32_e64 v161, v162
	s_xor_b32 s14, exec_lo, s14
; %bb.1376:                             ;   in Loop: Header=BB2_1120 Depth=4
	s_delay_alu instid0(VALU_DEP_2) | instskip(SKIP_2) | instid1(VALU_DEP_2)
	v_cmp_lt_u32_e32 vcc_lo, 0xffffff, v160
	v_sub_nc_u32_e32 v13, v161, v162
	v_cndmask_b32_e64 v161, 0, 1, vcc_lo
	v_add_co_ci_u32_e32 v13, vcc_lo, 0, v13, vcc_lo
	s_delay_alu instid0(VALU_DEP_2)
	v_lshrrev_b32_e32 v160, v161, v160
; %bb.1377:                             ;   in Loop: Header=BB2_1120 Depth=4
	s_and_not1_saveexec_b32 s14, s14
; %bb.1378:                             ;   in Loop: Header=BB2_1120 Depth=4
	s_delay_alu instid0(VALU_DEP_1)
	v_bfe_u32 v13, v160, 23, 1
; %bb.1379:                             ;   in Loop: Header=BB2_1120 Depth=4
	s_or_b32 exec_lo, exec_lo, s14
	v_lshrrev_b32_e32 v160, 20, v160
	s_delay_alu instid0(VALU_DEP_2) | instskip(SKIP_2) | instid1(VALU_DEP_2)
	v_cmp_gt_i32_e32 vcc_lo, 16, v13
	v_lshrrev_b32_e32 v151, 24, v151
	v_min_i32_e32 v161, 15, v13
	v_dual_cndmask_b32 v160, 7, v160 :: v_dual_and_b32 v151, 0x80, v151
	s_delay_alu instid0(VALU_DEP_2) | instskip(NEXT) | instid1(VALU_DEP_2)
	v_lshlrev_b32_e32 v161, 3, v161
	v_or_b32_e32 v13, v13, v160
	s_delay_alu instid0(VALU_DEP_1) | instskip(SKIP_1) | instid1(VALU_DEP_1)
	v_cmp_ne_u32_e32 vcc_lo, 0, v13
	v_and_b32_e32 v162, 7, v160
	v_or3_b32 v151, v161, v151, v162
	s_delay_alu instid0(VALU_DEP_1)
	v_cndmask_b32_e32 v13, 0, v151, vcc_lo
.LBB2_1380:                             ;   in Loop: Header=BB2_1120 Depth=4
	s_or_b32 exec_lo, exec_lo, s39
.LBB2_1381:                             ;   in Loop: Header=BB2_1120 Depth=4
	s_delay_alu instid0(SALU_CYCLE_1)
	s_or_b32 exec_lo, exec_lo, s38
	v_lshrrev_b16 v160, 8, v14
	v_lshrrev_b16 v151, 8, v10
	s_and_b32 vcc_lo, exec_lo, s37
	s_cbranch_vccz .LBB2_1391
; %bb.1382:                             ;   in Loop: Header=BB2_1120 Depth=4
	s_mov_b32 s14, 0
	s_mov_b32 s39, exec_lo
                                        ; implicit-def: $sgpr38
	v_cmpx_lt_i16_e64 0x7f, v160
	s_xor_b32 s39, exec_lo, s39
	s_cbranch_execnz .LBB2_1726
; %bb.1383:                             ;   in Loop: Header=BB2_1120 Depth=4
	s_or_saveexec_b32 s39, s39
	v_mov_b32_e32 v161, s38
	s_xor_b32 exec_lo, exec_lo, s39
	s_cbranch_execnz .LBB2_1729
.LBB2_1384:                             ;   in Loop: Header=BB2_1120 Depth=4
	s_or_b32 exec_lo, exec_lo, s39
	s_and_saveexec_b32 s38, s14
	s_cbranch_execz .LBB2_1386
.LBB2_1385:                             ;   in Loop: Header=BB2_1120 Depth=4
	v_and_b32_e32 v161, 0xffff, v160
	s_delay_alu instid0(VALU_DEP_1) | instskip(NEXT) | instid1(VALU_DEP_1)
	v_and_b32_e32 v162, 7, v161
	v_clz_i32_u32_e32 v163, v162
	s_delay_alu instid0(VALU_DEP_1) | instskip(NEXT) | instid1(VALU_DEP_1)
	v_min_u32_e32 v163, 32, v163
	v_subrev_nc_u32_e32 v164, 28, v163
	v_sub_nc_u32_e32 v163, 29, v163
	s_delay_alu instid0(VALU_DEP_2) | instskip(SKIP_1) | instid1(VALU_DEP_2)
	v_lshlrev_b32_e32 v164, v164, v161
	v_bfe_u32 v161, v161, 3, 4
	v_and_b32_e32 v164, 7, v164
	s_delay_alu instid0(VALU_DEP_2) | instskip(SKIP_1) | instid1(VALU_DEP_3)
	v_cmp_eq_u32_e32 vcc_lo, 0, v161
	v_cndmask_b32_e32 v161, v161, v163, vcc_lo
	v_dual_cndmask_b32 v162, v162, v164 :: v_dual_lshlrev_b32 v165, 16, v14
	s_delay_alu instid0(VALU_DEP_2) | instskip(NEXT) | instid1(VALU_DEP_2)
	v_lshl_add_u32 v161, v161, 23, 0x3b800000
	v_and_b32_e32 v163, 0x80000000, v165
	s_delay_alu instid0(VALU_DEP_3) | instskip(NEXT) | instid1(VALU_DEP_1)
	v_lshlrev_b32_e32 v162, 20, v162
	v_or3_b32 v161, v163, v161, v162
.LBB2_1386:                             ;   in Loop: Header=BB2_1120 Depth=4
	s_or_b32 exec_lo, exec_lo, s38
	s_mov_b32 s14, 0
	s_mov_b32 s39, exec_lo
                                        ; implicit-def: $sgpr38
	v_cmpx_lt_i16_e64 0x7f, v151
	s_xor_b32 s39, exec_lo, s39
	s_cbranch_execnz .LBB2_1730
; %bb.1387:                             ;   in Loop: Header=BB2_1120 Depth=4
	s_or_saveexec_b32 s39, s39
	v_mov_b32_e32 v162, s38
	s_xor_b32 exec_lo, exec_lo, s39
	s_cbranch_execnz .LBB2_1733
.LBB2_1388:                             ;   in Loop: Header=BB2_1120 Depth=4
	s_or_b32 exec_lo, exec_lo, s39
	s_and_saveexec_b32 s38, s14
	s_cbranch_execz .LBB2_1390
.LBB2_1389:                             ;   in Loop: Header=BB2_1120 Depth=4
	v_and_b32_e32 v162, 0xffff, v151
	v_lshlrev_b32_e32 v166, 16, v10
	s_delay_alu instid0(VALU_DEP_2) | instskip(NEXT) | instid1(VALU_DEP_1)
	v_and_b32_e32 v163, 7, v162
	v_clz_i32_u32_e32 v164, v163
	s_delay_alu instid0(VALU_DEP_1) | instskip(NEXT) | instid1(VALU_DEP_1)
	v_min_u32_e32 v164, 32, v164
	v_subrev_nc_u32_e32 v165, 28, v164
	v_sub_nc_u32_e32 v164, 29, v164
	s_delay_alu instid0(VALU_DEP_2) | instskip(SKIP_1) | instid1(VALU_DEP_2)
	v_lshlrev_b32_e32 v165, v165, v162
	v_bfe_u32 v162, v162, 3, 4
	v_and_b32_e32 v165, 7, v165
	s_delay_alu instid0(VALU_DEP_2) | instskip(NEXT) | instid1(VALU_DEP_2)
	v_cmp_eq_u32_e32 vcc_lo, 0, v162
	v_dual_cndmask_b32 v162, v162, v164 :: v_dual_cndmask_b32 v163, v163, v165
	v_and_b32_e32 v164, 0x80000000, v166
	s_delay_alu instid0(VALU_DEP_2) | instskip(NEXT) | instid1(VALU_DEP_3)
	v_lshl_add_u32 v162, v162, 23, 0x3b800000
	v_lshlrev_b32_e32 v163, 20, v163
	s_delay_alu instid0(VALU_DEP_1)
	v_or3_b32 v162, v164, v162, v163
.LBB2_1390:                             ;   in Loop: Header=BB2_1120 Depth=4
	s_or_b32 exec_lo, exec_lo, s38
	s_delay_alu instid0(VALU_DEP_1) | instskip(SKIP_1) | instid1(VALU_DEP_1)
	v_dual_max_f32 v162, v162, v162 :: v_dual_max_f32 v161, v161, v161
	s_mov_b32 s14, 0
	v_max_f32_e32 v161, v161, v162
	s_branch .LBB2_1392
.LBB2_1391:                             ;   in Loop: Header=BB2_1120 Depth=4
	s_mov_b32 s14, -1
                                        ; implicit-def: $vgpr161
.LBB2_1392:                             ;   in Loop: Header=BB2_1120 Depth=4
	s_delay_alu instid0(SALU_CYCLE_1)
	s_and_b32 vcc_lo, exec_lo, s14
	s_cbranch_vccz .LBB2_1402
; %bb.1393:                             ;   in Loop: Header=BB2_1120 Depth=4
	s_mov_b32 s14, 0
	s_mov_b32 s39, exec_lo
                                        ; implicit-def: $sgpr38
	v_cmpx_lt_i16_e64 0x7f, v160
	s_xor_b32 s39, exec_lo, s39
	s_cbranch_execnz .LBB2_1734
; %bb.1394:                             ;   in Loop: Header=BB2_1120 Depth=4
	s_or_saveexec_b32 s39, s39
	v_mov_b32_e32 v161, s38
	s_xor_b32 exec_lo, exec_lo, s39
	s_cbranch_execnz .LBB2_1737
.LBB2_1395:                             ;   in Loop: Header=BB2_1120 Depth=4
	s_or_b32 exec_lo, exec_lo, s39
	s_and_saveexec_b32 s38, s14
	s_cbranch_execz .LBB2_1397
.LBB2_1396:                             ;   in Loop: Header=BB2_1120 Depth=4
	v_and_b32_e32 v160, 0xffff, v160
	v_lshlrev_b32_e32 v164, 16, v14
	s_delay_alu instid0(VALU_DEP_2) | instskip(NEXT) | instid1(VALU_DEP_1)
	v_and_b32_e32 v161, 7, v160
	v_clz_i32_u32_e32 v162, v161
	s_delay_alu instid0(VALU_DEP_1) | instskip(NEXT) | instid1(VALU_DEP_1)
	v_min_u32_e32 v162, 32, v162
	v_subrev_nc_u32_e32 v163, 28, v162
	v_sub_nc_u32_e32 v162, 29, v162
	s_delay_alu instid0(VALU_DEP_2) | instskip(SKIP_1) | instid1(VALU_DEP_2)
	v_lshlrev_b32_e32 v163, v163, v160
	v_bfe_u32 v160, v160, 3, 4
	v_and_b32_e32 v163, 7, v163
	s_delay_alu instid0(VALU_DEP_2) | instskip(NEXT) | instid1(VALU_DEP_2)
	v_cmp_eq_u32_e32 vcc_lo, 0, v160
	v_dual_cndmask_b32 v160, v160, v162 :: v_dual_cndmask_b32 v161, v161, v163
	v_and_b32_e32 v162, 0x80000000, v164
	s_delay_alu instid0(VALU_DEP_2) | instskip(NEXT) | instid1(VALU_DEP_3)
	v_lshl_add_u32 v160, v160, 23, 0x3b800000
	v_lshlrev_b32_e32 v161, 20, v161
	s_delay_alu instid0(VALU_DEP_1)
	v_or3_b32 v161, v162, v160, v161
.LBB2_1397:                             ;   in Loop: Header=BB2_1120 Depth=4
	s_or_b32 exec_lo, exec_lo, s38
	s_mov_b32 s14, 0
	s_mov_b32 s39, exec_lo
                                        ; implicit-def: $sgpr38
	v_cmpx_lt_i16_e64 0x7f, v151
	s_xor_b32 s39, exec_lo, s39
	s_cbranch_execnz .LBB2_1738
; %bb.1398:                             ;   in Loop: Header=BB2_1120 Depth=4
	s_or_saveexec_b32 s39, s39
	v_mov_b32_e32 v160, s38
	s_xor_b32 exec_lo, exec_lo, s39
	s_cbranch_execnz .LBB2_1741
.LBB2_1399:                             ;   in Loop: Header=BB2_1120 Depth=4
	s_or_b32 exec_lo, exec_lo, s39
	s_and_saveexec_b32 s38, s14
	s_cbranch_execz .LBB2_1401
.LBB2_1400:                             ;   in Loop: Header=BB2_1120 Depth=4
	v_and_b32_e32 v151, 0xffff, v151
	v_lshlrev_b32_e32 v164, 16, v10
	s_delay_alu instid0(VALU_DEP_2) | instskip(NEXT) | instid1(VALU_DEP_1)
	v_and_b32_e32 v160, 7, v151
	v_clz_i32_u32_e32 v162, v160
	s_delay_alu instid0(VALU_DEP_1) | instskip(NEXT) | instid1(VALU_DEP_1)
	v_min_u32_e32 v162, 32, v162
	v_subrev_nc_u32_e32 v163, 28, v162
	v_sub_nc_u32_e32 v162, 29, v162
	s_delay_alu instid0(VALU_DEP_2) | instskip(SKIP_1) | instid1(VALU_DEP_2)
	v_lshlrev_b32_e32 v163, v163, v151
	v_bfe_u32 v151, v151, 3, 4
	v_and_b32_e32 v163, 7, v163
	s_delay_alu instid0(VALU_DEP_2) | instskip(NEXT) | instid1(VALU_DEP_2)
	v_cmp_eq_u32_e32 vcc_lo, 0, v151
	v_dual_cndmask_b32 v151, v151, v162 :: v_dual_cndmask_b32 v160, v160, v163
	v_and_b32_e32 v162, 0x80000000, v164
	s_delay_alu instid0(VALU_DEP_2) | instskip(NEXT) | instid1(VALU_DEP_3)
	v_lshl_add_u32 v151, v151, 23, 0x3b800000
	v_lshlrev_b32_e32 v160, 20, v160
	s_delay_alu instid0(VALU_DEP_1)
	v_or3_b32 v160, v162, v151, v160
.LBB2_1401:                             ;   in Loop: Header=BB2_1120 Depth=4
	s_or_b32 exec_lo, exec_lo, s38
	s_delay_alu instid0(VALU_DEP_1) | instskip(NEXT) | instid1(VALU_DEP_1)
	v_dual_max_f32 v151, v160, v160 :: v_dual_max_f32 v160, v161, v161
	v_min_f32_e32 v161, v160, v151
.LBB2_1402:                             ;   in Loop: Header=BB2_1120 Depth=4
	s_delay_alu instid0(VALU_DEP_1) | instskip(NEXT) | instid1(VALU_DEP_1)
	v_and_b32_e32 v151, 0x7f800000, v161
	v_cmp_ne_u32_e32 vcc_lo, 0x7f800000, v151
	v_mov_b32_e32 v151, 0x80
	s_and_saveexec_b32 s38, vcc_lo
	s_cbranch_execz .LBB2_1410
; %bb.1403:                             ;   in Loop: Header=BB2_1120 Depth=4
	v_mov_b32_e32 v151, 0
	s_mov_b32 s39, exec_lo
	v_cmpx_ne_u32_e32 0, v161
	s_cbranch_execz .LBB2_1409
; %bb.1404:                             ;   in Loop: Header=BB2_1120 Depth=4
	v_bfe_u32 v151, v161, 23, 8
	v_and_b32_e32 v160, 0x7fffff, v161
	s_delay_alu instid0(VALU_DEP_2) | instskip(SKIP_1) | instid1(VALU_DEP_3)
	v_sub_nc_u32_e32 v162, 0x78, v151
	v_cmp_gt_u32_e32 vcc_lo, 0x79, v151
	v_or_b32_e32 v163, 0x800000, v160
	s_delay_alu instid0(VALU_DEP_3) | instskip(SKIP_2) | instid1(VALU_DEP_3)
	v_cndmask_b32_e32 v162, 0, v162, vcc_lo
	v_cmp_eq_u32_e32 vcc_lo, 0, v151
	v_add_nc_u32_e32 v151, 0xffffff89, v151
	v_cndmask_b32_e64 v162, v162, 0x77, vcc_lo
	v_cndmask_b32_e32 v160, v163, v160, vcc_lo
	s_delay_alu instid0(VALU_DEP_3) | instskip(NEXT) | instid1(VALU_DEP_3)
	v_cndmask_b32_e64 v151, v151, 0xffffff8a, vcc_lo
	v_lshl_add_u32 v163, 0x100000, v162, -1
	s_delay_alu instid0(VALU_DEP_3) | instskip(SKIP_1) | instid1(VALU_DEP_4)
	v_lshrrev_b32_e32 v164, v162, v160
	v_lshlrev_b32_e64 v166, v162, 0x80000
	v_add_nc_u32_e32 v162, v162, v151
	s_delay_alu instid0(VALU_DEP_4) | instskip(NEXT) | instid1(VALU_DEP_4)
	v_and_b32_e32 v160, v163, v160
	v_bfe_u32 v165, v164, 20, 1
	s_delay_alu instid0(VALU_DEP_2) | instskip(NEXT) | instid1(VALU_DEP_2)
	v_cmp_eq_u32_e64 s14, v160, v166
	v_add_nc_u32_e32 v163, -1, v165
	s_delay_alu instid0(VALU_DEP_1) | instskip(SKIP_2) | instid1(VALU_DEP_2)
	v_cndmask_b32_e64 v160, 0, v163, s14
	v_lshrrev_b32_e32 v163, 23, v164
	s_mov_b32 s14, exec_lo
	v_add_nc_u32_e32 v160, v160, v164
	s_delay_alu instid0(VALU_DEP_2) | instskip(NEXT) | instid1(VALU_DEP_2)
	v_xor_b32_e32 v163, 1, v163
	v_and_b32_e32 v151, 0xfffff, v160
	s_delay_alu instid0(VALU_DEP_1) | instskip(NEXT) | instid1(VALU_DEP_3)
	v_add_nc_u32_e32 v160, v151, v164
                                        ; implicit-def: $vgpr151
	v_cmpx_ne_u32_e64 v162, v163
	s_xor_b32 s14, exec_lo, s14
; %bb.1405:                             ;   in Loop: Header=BB2_1120 Depth=4
	s_delay_alu instid0(VALU_DEP_2) | instskip(SKIP_2) | instid1(VALU_DEP_2)
	v_cmp_lt_u32_e32 vcc_lo, 0xffffff, v160
	v_sub_nc_u32_e32 v151, v162, v163
	v_cndmask_b32_e64 v162, 0, 1, vcc_lo
	v_add_co_ci_u32_e32 v151, vcc_lo, 0, v151, vcc_lo
	s_delay_alu instid0(VALU_DEP_2)
	v_lshrrev_b32_e32 v160, v162, v160
; %bb.1406:                             ;   in Loop: Header=BB2_1120 Depth=4
	s_and_not1_saveexec_b32 s14, s14
; %bb.1407:                             ;   in Loop: Header=BB2_1120 Depth=4
	s_delay_alu instid0(VALU_DEP_1)
	v_bfe_u32 v151, v160, 23, 1
; %bb.1408:                             ;   in Loop: Header=BB2_1120 Depth=4
	s_or_b32 exec_lo, exec_lo, s14
	v_lshrrev_b32_e32 v160, 20, v160
	s_delay_alu instid0(VALU_DEP_2) | instskip(SKIP_2) | instid1(VALU_DEP_2)
	v_cmp_gt_i32_e32 vcc_lo, 16, v151
	v_lshrrev_b32_e32 v161, 24, v161
	v_min_i32_e32 v162, 15, v151
	v_dual_cndmask_b32 v160, 7, v160 :: v_dual_and_b32 v161, 0x80, v161
	s_delay_alu instid0(VALU_DEP_1) | instskip(SKIP_1) | instid1(VALU_DEP_2)
	v_or_b32_e32 v151, v151, v160
	v_and_b32_e32 v163, 7, v160
	v_cmp_ne_u32_e32 vcc_lo, 0, v151
	v_lshlrev_b32_e32 v162, 3, v162
	s_delay_alu instid0(VALU_DEP_1) | instskip(NEXT) | instid1(VALU_DEP_1)
	v_or3_b32 v160, v162, v161, v163
	v_cndmask_b32_e32 v151, 0, v160, vcc_lo
.LBB2_1409:                             ;   in Loop: Header=BB2_1120 Depth=4
	s_or_b32 exec_lo, exec_lo, s39
.LBB2_1410:                             ;   in Loop: Header=BB2_1120 Depth=4
	s_delay_alu instid0(SALU_CYCLE_1)
	s_or_b32 exec_lo, exec_lo, s38
	v_lshrrev_b32_e32 v161, 16, v14
	v_lshrrev_b32_e32 v160, 16, v10
	s_and_b32 vcc_lo, exec_lo, s37
	s_cbranch_vccz .LBB2_1420
; %bb.1411:                             ;   in Loop: Header=BB2_1120 Depth=4
	s_delay_alu instid0(VALU_DEP_2) | instskip(SKIP_2) | instid1(VALU_DEP_1)
	v_and_b32_e32 v163, 0xff, v161
	s_mov_b32 s14, 0
	s_mov_b32 s39, exec_lo
                                        ; implicit-def: $sgpr38
	v_cmpx_lt_i16_e64 0x7f, v163
	s_xor_b32 s39, exec_lo, s39
	s_cbranch_execnz .LBB2_1742
; %bb.1412:                             ;   in Loop: Header=BB2_1120 Depth=4
	s_or_saveexec_b32 s39, s39
	v_mov_b32_e32 v162, s38
	s_xor_b32 exec_lo, exec_lo, s39
	s_cbranch_execnz .LBB2_1745
.LBB2_1413:                             ;   in Loop: Header=BB2_1120 Depth=4
	s_or_b32 exec_lo, exec_lo, s39
	s_and_saveexec_b32 s38, s14
	s_cbranch_execz .LBB2_1415
.LBB2_1414:                             ;   in Loop: Header=BB2_1120 Depth=4
	v_bfe_u32 v162, v14, 16, 3
	v_bfe_u32 v165, v14, 19, 4
	v_lshlrev_b32_e32 v166, 24, v161
	s_delay_alu instid0(VALU_DEP_3) | instskip(NEXT) | instid1(VALU_DEP_3)
	v_clz_i32_u32_e32 v163, v162
	v_cmp_eq_u32_e32 vcc_lo, 0, v165
	s_delay_alu instid0(VALU_DEP_2) | instskip(NEXT) | instid1(VALU_DEP_1)
	v_min_u32_e32 v163, 32, v163
	v_subrev_nc_u32_e32 v164, 28, v163
	v_sub_nc_u32_e32 v163, 29, v163
	s_delay_alu instid0(VALU_DEP_1) | instskip(NEXT) | instid1(VALU_DEP_1)
	v_dual_cndmask_b32 v163, v165, v163 :: v_dual_lshlrev_b32 v164, v164, v161
	v_and_b32_e32 v164, 7, v164
	s_delay_alu instid0(VALU_DEP_2) | instskip(NEXT) | instid1(VALU_DEP_2)
	v_lshl_add_u32 v163, v163, 23, 0x3b800000
	v_cndmask_b32_e32 v162, v162, v164, vcc_lo
	v_and_b32_e32 v164, 0x80000000, v166
	s_delay_alu instid0(VALU_DEP_2) | instskip(NEXT) | instid1(VALU_DEP_1)
	v_lshlrev_b32_e32 v162, 20, v162
	v_or3_b32 v162, v164, v163, v162
.LBB2_1415:                             ;   in Loop: Header=BB2_1120 Depth=4
	s_or_b32 exec_lo, exec_lo, s38
	v_and_b32_e32 v164, 0xff, v160
	s_mov_b32 s14, 0
	s_mov_b32 s39, exec_lo
                                        ; implicit-def: $sgpr38
	s_delay_alu instid0(VALU_DEP_1)
	v_cmpx_lt_i16_e64 0x7f, v164
	s_xor_b32 s39, exec_lo, s39
	s_cbranch_execnz .LBB2_1746
; %bb.1416:                             ;   in Loop: Header=BB2_1120 Depth=4
	s_or_saveexec_b32 s39, s39
	v_mov_b32_e32 v163, s38
	s_xor_b32 exec_lo, exec_lo, s39
	s_cbranch_execnz .LBB2_1749
.LBB2_1417:                             ;   in Loop: Header=BB2_1120 Depth=4
	s_or_b32 exec_lo, exec_lo, s39
	s_and_saveexec_b32 s38, s14
	s_cbranch_execz .LBB2_1419
.LBB2_1418:                             ;   in Loop: Header=BB2_1120 Depth=4
	v_bfe_u32 v163, v10, 16, 3
	v_bfe_u32 v166, v10, 19, 4
	v_lshlrev_b32_e32 v167, 24, v160
	s_delay_alu instid0(VALU_DEP_3) | instskip(NEXT) | instid1(VALU_DEP_3)
	v_clz_i32_u32_e32 v164, v163
	v_cmp_eq_u32_e32 vcc_lo, 0, v166
	s_delay_alu instid0(VALU_DEP_2) | instskip(NEXT) | instid1(VALU_DEP_1)
	v_min_u32_e32 v164, 32, v164
	v_subrev_nc_u32_e32 v165, 28, v164
	v_sub_nc_u32_e32 v164, 29, v164
	s_delay_alu instid0(VALU_DEP_2) | instskip(NEXT) | instid1(VALU_DEP_1)
	v_lshlrev_b32_e32 v165, v165, v160
	v_dual_cndmask_b32 v164, v166, v164 :: v_dual_and_b32 v165, 7, v165
	s_delay_alu instid0(VALU_DEP_1) | instskip(NEXT) | instid1(VALU_DEP_2)
	v_lshl_add_u32 v164, v164, 23, 0x3b800000
	v_cndmask_b32_e32 v163, v163, v165, vcc_lo
	v_and_b32_e32 v165, 0x80000000, v167
	s_delay_alu instid0(VALU_DEP_2) | instskip(NEXT) | instid1(VALU_DEP_1)
	v_lshlrev_b32_e32 v163, 20, v163
	v_or3_b32 v163, v165, v164, v163
.LBB2_1419:                             ;   in Loop: Header=BB2_1120 Depth=4
	s_or_b32 exec_lo, exec_lo, s38
	s_delay_alu instid0(VALU_DEP_1) | instskip(SKIP_1) | instid1(VALU_DEP_1)
	v_dual_max_f32 v163, v163, v163 :: v_dual_max_f32 v162, v162, v162
	s_mov_b32 s14, 0
	v_max_f32_e32 v162, v162, v163
	s_branch .LBB2_1421
.LBB2_1420:                             ;   in Loop: Header=BB2_1120 Depth=4
	s_mov_b32 s14, -1
                                        ; implicit-def: $vgpr162
.LBB2_1421:                             ;   in Loop: Header=BB2_1120 Depth=4
	s_delay_alu instid0(SALU_CYCLE_1)
	s_and_b32 vcc_lo, exec_lo, s14
	s_cbranch_vccz .LBB2_1431
; %bb.1422:                             ;   in Loop: Header=BB2_1120 Depth=4
	v_and_b32_e32 v163, 0xff, v161
	s_mov_b32 s14, 0
	s_mov_b32 s39, exec_lo
                                        ; implicit-def: $sgpr38
	s_delay_alu instid0(VALU_DEP_1)
	v_cmpx_lt_i16_e64 0x7f, v163
	s_xor_b32 s39, exec_lo, s39
	s_cbranch_execnz .LBB2_1750
; %bb.1423:                             ;   in Loop: Header=BB2_1120 Depth=4
	s_or_saveexec_b32 s39, s39
	v_mov_b32_e32 v162, s38
	s_xor_b32 exec_lo, exec_lo, s39
	s_cbranch_execnz .LBB2_1753
.LBB2_1424:                             ;   in Loop: Header=BB2_1120 Depth=4
	s_or_b32 exec_lo, exec_lo, s39
	s_and_saveexec_b32 s38, s14
	s_cbranch_execz .LBB2_1426
.LBB2_1425:                             ;   in Loop: Header=BB2_1120 Depth=4
	v_bfe_u32 v162, v14, 16, 3
	v_bfe_u32 v165, v14, 19, 4
	s_delay_alu instid0(VALU_DEP_2) | instskip(NEXT) | instid1(VALU_DEP_2)
	v_clz_i32_u32_e32 v163, v162
	v_cmp_eq_u32_e32 vcc_lo, 0, v165
	s_delay_alu instid0(VALU_DEP_2) | instskip(NEXT) | instid1(VALU_DEP_1)
	v_min_u32_e32 v163, 32, v163
	v_subrev_nc_u32_e32 v164, 28, v163
	v_sub_nc_u32_e32 v163, 29, v163
	s_delay_alu instid0(VALU_DEP_1) | instskip(NEXT) | instid1(VALU_DEP_1)
	v_dual_cndmask_b32 v163, v165, v163 :: v_dual_lshlrev_b32 v164, v164, v161
	v_and_b32_e32 v164, 7, v164
	v_lshlrev_b32_e32 v161, 24, v161
	s_delay_alu instid0(VALU_DEP_3) | instskip(NEXT) | instid1(VALU_DEP_2)
	v_lshl_add_u32 v163, v163, 23, 0x3b800000
	v_dual_cndmask_b32 v162, v162, v164 :: v_dual_and_b32 v161, 0x80000000, v161
	s_delay_alu instid0(VALU_DEP_1) | instskip(NEXT) | instid1(VALU_DEP_1)
	v_lshlrev_b32_e32 v162, 20, v162
	v_or3_b32 v162, v161, v163, v162
.LBB2_1426:                             ;   in Loop: Header=BB2_1120 Depth=4
	s_or_b32 exec_lo, exec_lo, s38
	v_and_b32_e32 v163, 0xff, v160
	s_mov_b32 s14, 0
	s_mov_b32 s39, exec_lo
                                        ; implicit-def: $sgpr38
	s_delay_alu instid0(VALU_DEP_1)
	v_cmpx_lt_i16_e64 0x7f, v163
	s_xor_b32 s39, exec_lo, s39
	s_cbranch_execnz .LBB2_1754
; %bb.1427:                             ;   in Loop: Header=BB2_1120 Depth=4
	s_or_saveexec_b32 s39, s39
	v_mov_b32_e32 v161, s38
	s_xor_b32 exec_lo, exec_lo, s39
	s_cbranch_execnz .LBB2_1757
.LBB2_1428:                             ;   in Loop: Header=BB2_1120 Depth=4
	s_or_b32 exec_lo, exec_lo, s39
	s_and_saveexec_b32 s38, s14
	s_cbranch_execz .LBB2_1430
.LBB2_1429:                             ;   in Loop: Header=BB2_1120 Depth=4
	v_bfe_u32 v161, v10, 16, 3
	v_bfe_u32 v165, v10, 19, 4
	s_delay_alu instid0(VALU_DEP_2) | instskip(NEXT) | instid1(VALU_DEP_2)
	v_clz_i32_u32_e32 v163, v161
	v_cmp_eq_u32_e32 vcc_lo, 0, v165
	s_delay_alu instid0(VALU_DEP_2) | instskip(NEXT) | instid1(VALU_DEP_1)
	v_min_u32_e32 v163, 32, v163
	v_subrev_nc_u32_e32 v164, 28, v163
	v_sub_nc_u32_e32 v163, 29, v163
	s_delay_alu instid0(VALU_DEP_1) | instskip(SKIP_1) | instid1(VALU_DEP_2)
	v_dual_cndmask_b32 v163, v165, v163 :: v_dual_lshlrev_b32 v164, v164, v160
	v_lshlrev_b32_e32 v160, 24, v160
	v_and_b32_e32 v164, 7, v164
	s_delay_alu instid0(VALU_DEP_3) | instskip(NEXT) | instid1(VALU_DEP_3)
	v_lshl_add_u32 v163, v163, 23, 0x3b800000
	v_and_b32_e32 v160, 0x80000000, v160
	s_delay_alu instid0(VALU_DEP_3) | instskip(NEXT) | instid1(VALU_DEP_1)
	v_cndmask_b32_e32 v161, v161, v164, vcc_lo
	v_lshlrev_b32_e32 v161, 20, v161
	s_delay_alu instid0(VALU_DEP_1)
	v_or3_b32 v161, v160, v163, v161
.LBB2_1430:                             ;   in Loop: Header=BB2_1120 Depth=4
	s_or_b32 exec_lo, exec_lo, s38
	s_delay_alu instid0(VALU_DEP_1) | instskip(NEXT) | instid1(VALU_DEP_1)
	v_dual_max_f32 v160, v161, v161 :: v_dual_max_f32 v161, v162, v162
	v_min_f32_e32 v162, v161, v160
.LBB2_1431:                             ;   in Loop: Header=BB2_1120 Depth=4
	s_delay_alu instid0(VALU_DEP_1) | instskip(NEXT) | instid1(VALU_DEP_1)
	v_and_b32_e32 v160, 0x7f800000, v162
	v_cmp_ne_u32_e32 vcc_lo, 0x7f800000, v160
	v_mov_b32_e32 v160, 0x80
	s_and_saveexec_b32 s38, vcc_lo
	s_cbranch_execz .LBB2_1439
; %bb.1432:                             ;   in Loop: Header=BB2_1120 Depth=4
	v_mov_b32_e32 v160, 0
	s_mov_b32 s39, exec_lo
	v_cmpx_ne_u32_e32 0, v162
	s_cbranch_execz .LBB2_1438
; %bb.1433:                             ;   in Loop: Header=BB2_1120 Depth=4
	v_bfe_u32 v160, v162, 23, 8
	v_and_b32_e32 v161, 0x7fffff, v162
	s_delay_alu instid0(VALU_DEP_2) | instskip(SKIP_1) | instid1(VALU_DEP_3)
	v_sub_nc_u32_e32 v163, 0x78, v160
	v_cmp_gt_u32_e32 vcc_lo, 0x79, v160
	v_or_b32_e32 v164, 0x800000, v161
	s_delay_alu instid0(VALU_DEP_3) | instskip(SKIP_2) | instid1(VALU_DEP_3)
	v_cndmask_b32_e32 v163, 0, v163, vcc_lo
	v_cmp_eq_u32_e32 vcc_lo, 0, v160
	v_add_nc_u32_e32 v160, 0xffffff89, v160
	v_cndmask_b32_e64 v163, v163, 0x77, vcc_lo
	v_cndmask_b32_e32 v161, v164, v161, vcc_lo
	s_delay_alu instid0(VALU_DEP_3) | instskip(NEXT) | instid1(VALU_DEP_3)
	v_cndmask_b32_e64 v160, v160, 0xffffff8a, vcc_lo
	v_lshl_add_u32 v164, 0x100000, v163, -1
	s_delay_alu instid0(VALU_DEP_3) | instskip(SKIP_1) | instid1(VALU_DEP_4)
	v_lshrrev_b32_e32 v165, v163, v161
	v_lshlrev_b32_e64 v167, v163, 0x80000
	v_add_nc_u32_e32 v163, v163, v160
	s_delay_alu instid0(VALU_DEP_4) | instskip(NEXT) | instid1(VALU_DEP_4)
	v_and_b32_e32 v161, v164, v161
	v_bfe_u32 v166, v165, 20, 1
	s_delay_alu instid0(VALU_DEP_2) | instskip(NEXT) | instid1(VALU_DEP_2)
	v_cmp_eq_u32_e64 s14, v161, v167
	v_add_nc_u32_e32 v164, -1, v166
	s_delay_alu instid0(VALU_DEP_1) | instskip(SKIP_2) | instid1(VALU_DEP_2)
	v_cndmask_b32_e64 v161, 0, v164, s14
	v_lshrrev_b32_e32 v164, 23, v165
	s_mov_b32 s14, exec_lo
	v_add_nc_u32_e32 v161, v161, v165
	s_delay_alu instid0(VALU_DEP_2) | instskip(NEXT) | instid1(VALU_DEP_2)
	v_xor_b32_e32 v164, 1, v164
	v_and_b32_e32 v160, 0xfffff, v161
	s_delay_alu instid0(VALU_DEP_1) | instskip(NEXT) | instid1(VALU_DEP_3)
	v_add_nc_u32_e32 v161, v160, v165
                                        ; implicit-def: $vgpr160
	v_cmpx_ne_u32_e64 v163, v164
	s_xor_b32 s14, exec_lo, s14
; %bb.1434:                             ;   in Loop: Header=BB2_1120 Depth=4
	s_delay_alu instid0(VALU_DEP_2) | instskip(SKIP_2) | instid1(VALU_DEP_2)
	v_cmp_lt_u32_e32 vcc_lo, 0xffffff, v161
	v_sub_nc_u32_e32 v160, v163, v164
	v_cndmask_b32_e64 v163, 0, 1, vcc_lo
	v_add_co_ci_u32_e32 v160, vcc_lo, 0, v160, vcc_lo
	s_delay_alu instid0(VALU_DEP_2)
	v_lshrrev_b32_e32 v161, v163, v161
; %bb.1435:                             ;   in Loop: Header=BB2_1120 Depth=4
	s_and_not1_saveexec_b32 s14, s14
; %bb.1436:                             ;   in Loop: Header=BB2_1120 Depth=4
	s_delay_alu instid0(VALU_DEP_1)
	v_bfe_u32 v160, v161, 23, 1
; %bb.1437:                             ;   in Loop: Header=BB2_1120 Depth=4
	s_or_b32 exec_lo, exec_lo, s14
	v_lshrrev_b32_e32 v161, 20, v161
	s_delay_alu instid0(VALU_DEP_2) | instskip(SKIP_2) | instid1(VALU_DEP_2)
	v_cmp_gt_i32_e32 vcc_lo, 16, v160
	v_lshrrev_b32_e32 v162, 24, v162
	v_min_i32_e32 v163, 15, v160
	v_dual_cndmask_b32 v161, 7, v161 :: v_dual_and_b32 v162, 0x80, v162
	s_delay_alu instid0(VALU_DEP_1) | instskip(SKIP_1) | instid1(VALU_DEP_2)
	v_or_b32_e32 v160, v160, v161
	v_and_b32_e32 v164, 7, v161
	v_cmp_ne_u32_e32 vcc_lo, 0, v160
	v_lshlrev_b32_e32 v163, 3, v163
	s_delay_alu instid0(VALU_DEP_1) | instskip(NEXT) | instid1(VALU_DEP_1)
	v_or3_b32 v161, v163, v162, v164
	v_cndmask_b32_e32 v160, 0, v161, vcc_lo
.LBB2_1438:                             ;   in Loop: Header=BB2_1120 Depth=4
	s_or_b32 exec_lo, exec_lo, s39
.LBB2_1439:                             ;   in Loop: Header=BB2_1120 Depth=4
	s_delay_alu instid0(SALU_CYCLE_1)
	s_or_b32 exec_lo, exec_lo, s38
	v_lshrrev_b32_e32 v162, 24, v14
	v_lshrrev_b32_e32 v161, 24, v10
	s_and_b32 vcc_lo, exec_lo, s37
	s_cbranch_vccz .LBB2_1449
; %bb.1440:                             ;   in Loop: Header=BB2_1120 Depth=4
	s_mov_b32 s14, 0
	s_mov_b32 s39, exec_lo
                                        ; implicit-def: $sgpr38
	v_cmpx_lt_i16_e64 0x7f, v162
	s_xor_b32 s39, exec_lo, s39
	s_cbranch_execnz .LBB2_1758
; %bb.1441:                             ;   in Loop: Header=BB2_1120 Depth=4
	s_or_saveexec_b32 s39, s39
	v_mov_b32_e32 v163, s38
	s_xor_b32 exec_lo, exec_lo, s39
	s_cbranch_execnz .LBB2_1761
.LBB2_1442:                             ;   in Loop: Header=BB2_1120 Depth=4
	s_or_b32 exec_lo, exec_lo, s39
	s_and_saveexec_b32 s38, s14
	s_cbranch_execz .LBB2_1444
.LBB2_1443:                             ;   in Loop: Header=BB2_1120 Depth=4
	v_bfe_u32 v163, v14, 24, 3
	v_bfe_u32 v166, v14, 27, 4
	s_delay_alu instid0(VALU_DEP_2) | instskip(NEXT) | instid1(VALU_DEP_2)
	v_clz_i32_u32_e32 v164, v163
	v_cmp_eq_u32_e32 vcc_lo, 0, v166
	s_delay_alu instid0(VALU_DEP_2) | instskip(NEXT) | instid1(VALU_DEP_1)
	v_min_u32_e32 v164, 32, v164
	v_subrev_nc_u32_e32 v165, 28, v164
	v_sub_nc_u32_e32 v164, 29, v164
	s_delay_alu instid0(VALU_DEP_1) | instskip(NEXT) | instid1(VALU_DEP_1)
	v_dual_cndmask_b32 v164, v166, v164 :: v_dual_lshlrev_b32 v165, v165, v162
	v_and_b32_e32 v165, 7, v165
	s_delay_alu instid0(VALU_DEP_2) | instskip(NEXT) | instid1(VALU_DEP_2)
	v_lshl_add_u32 v164, v164, 23, 0x3b800000
	v_cndmask_b32_e32 v163, v163, v165, vcc_lo
	v_and_b32_e32 v165, 0x80000000, v14
	s_delay_alu instid0(VALU_DEP_2) | instskip(NEXT) | instid1(VALU_DEP_1)
	v_lshlrev_b32_e32 v163, 20, v163
	v_or3_b32 v163, v165, v164, v163
.LBB2_1444:                             ;   in Loop: Header=BB2_1120 Depth=4
	s_or_b32 exec_lo, exec_lo, s38
	s_mov_b32 s14, 0
	s_mov_b32 s39, exec_lo
                                        ; implicit-def: $sgpr38
	v_cmpx_lt_i16_e64 0x7f, v161
	s_xor_b32 s39, exec_lo, s39
	s_cbranch_execnz .LBB2_1762
; %bb.1445:                             ;   in Loop: Header=BB2_1120 Depth=4
	s_or_saveexec_b32 s39, s39
	v_mov_b32_e32 v164, s38
	s_xor_b32 exec_lo, exec_lo, s39
	s_cbranch_execnz .LBB2_1765
.LBB2_1446:                             ;   in Loop: Header=BB2_1120 Depth=4
	s_or_b32 exec_lo, exec_lo, s39
	s_and_saveexec_b32 s38, s14
	s_cbranch_execz .LBB2_1448
.LBB2_1447:                             ;   in Loop: Header=BB2_1120 Depth=4
	v_bfe_u32 v164, v10, 24, 3
	v_bfe_u32 v167, v10, 27, 4
	s_delay_alu instid0(VALU_DEP_2) | instskip(NEXT) | instid1(VALU_DEP_2)
	v_clz_i32_u32_e32 v165, v164
	v_cmp_eq_u32_e32 vcc_lo, 0, v167
	s_delay_alu instid0(VALU_DEP_2) | instskip(NEXT) | instid1(VALU_DEP_1)
	v_min_u32_e32 v165, 32, v165
	v_subrev_nc_u32_e32 v166, 28, v165
	v_sub_nc_u32_e32 v165, 29, v165
	s_delay_alu instid0(VALU_DEP_2) | instskip(NEXT) | instid1(VALU_DEP_1)
	v_lshlrev_b32_e32 v166, v166, v161
	v_dual_cndmask_b32 v165, v167, v165 :: v_dual_and_b32 v166, 7, v166
	s_delay_alu instid0(VALU_DEP_1) | instskip(NEXT) | instid1(VALU_DEP_2)
	v_lshl_add_u32 v165, v165, 23, 0x3b800000
	v_cndmask_b32_e32 v164, v164, v166, vcc_lo
	v_and_b32_e32 v166, 0x80000000, v10
	s_delay_alu instid0(VALU_DEP_2) | instskip(NEXT) | instid1(VALU_DEP_1)
	v_lshlrev_b32_e32 v164, 20, v164
	v_or3_b32 v164, v166, v165, v164
.LBB2_1448:                             ;   in Loop: Header=BB2_1120 Depth=4
	s_or_b32 exec_lo, exec_lo, s38
	s_delay_alu instid0(VALU_DEP_1) | instskip(SKIP_1) | instid1(VALU_DEP_1)
	v_dual_max_f32 v164, v164, v164 :: v_dual_max_f32 v163, v163, v163
	s_mov_b32 s14, 0
	v_max_f32_e32 v163, v163, v164
	s_branch .LBB2_1450
.LBB2_1449:                             ;   in Loop: Header=BB2_1120 Depth=4
	s_mov_b32 s14, -1
                                        ; implicit-def: $vgpr163
.LBB2_1450:                             ;   in Loop: Header=BB2_1120 Depth=4
	s_delay_alu instid0(SALU_CYCLE_1)
	s_and_b32 vcc_lo, exec_lo, s14
	s_cbranch_vccz .LBB2_1460
; %bb.1451:                             ;   in Loop: Header=BB2_1120 Depth=4
	s_mov_b32 s14, 0
	s_mov_b32 s39, exec_lo
                                        ; implicit-def: $sgpr38
	v_cmpx_lt_i16_e64 0x7f, v162
	s_xor_b32 s39, exec_lo, s39
	s_cbranch_execnz .LBB2_1766
; %bb.1452:                             ;   in Loop: Header=BB2_1120 Depth=4
	s_or_saveexec_b32 s39, s39
	v_mov_b32_e32 v163, s38
	s_xor_b32 exec_lo, exec_lo, s39
	s_cbranch_execnz .LBB2_1769
.LBB2_1453:                             ;   in Loop: Header=BB2_1120 Depth=4
	s_or_b32 exec_lo, exec_lo, s39
	s_and_saveexec_b32 s38, s14
	s_cbranch_execz .LBB2_1455
.LBB2_1454:                             ;   in Loop: Header=BB2_1120 Depth=4
	v_bfe_u32 v163, v14, 24, 3
	s_delay_alu instid0(VALU_DEP_1) | instskip(NEXT) | instid1(VALU_DEP_1)
	v_clz_i32_u32_e32 v164, v163
	v_min_u32_e32 v164, 32, v164
	s_delay_alu instid0(VALU_DEP_1) | instskip(SKIP_1) | instid1(VALU_DEP_2)
	v_subrev_nc_u32_e32 v165, 28, v164
	v_sub_nc_u32_e32 v164, 29, v164
	v_lshlrev_b32_e32 v162, v165, v162
	v_bfe_u32 v165, v14, 27, 4
	v_and_b32_e32 v14, 0x80000000, v14
	s_delay_alu instid0(VALU_DEP_3) | instskip(NEXT) | instid1(VALU_DEP_3)
	v_and_b32_e32 v162, 7, v162
	v_cmp_eq_u32_e32 vcc_lo, 0, v165
	v_cndmask_b32_e32 v164, v165, v164, vcc_lo
	s_delay_alu instid0(VALU_DEP_3) | instskip(NEXT) | instid1(VALU_DEP_2)
	v_cndmask_b32_e32 v162, v163, v162, vcc_lo
	v_lshl_add_u32 v163, v164, 23, 0x3b800000
	s_delay_alu instid0(VALU_DEP_2) | instskip(NEXT) | instid1(VALU_DEP_1)
	v_lshlrev_b32_e32 v162, 20, v162
	v_or3_b32 v163, v14, v163, v162
.LBB2_1455:                             ;   in Loop: Header=BB2_1120 Depth=4
	s_or_b32 exec_lo, exec_lo, s38
	s_mov_b32 s14, 0
	s_mov_b32 s39, exec_lo
                                        ; implicit-def: $sgpr38
	v_cmpx_lt_i16_e64 0x7f, v161
	s_xor_b32 s39, exec_lo, s39
	s_cbranch_execnz .LBB2_1770
; %bb.1456:                             ;   in Loop: Header=BB2_1120 Depth=4
	s_or_saveexec_b32 s39, s39
	v_mov_b32_e32 v14, s38
	s_xor_b32 exec_lo, exec_lo, s39
	s_cbranch_execnz .LBB2_1773
.LBB2_1457:                             ;   in Loop: Header=BB2_1120 Depth=4
	s_or_b32 exec_lo, exec_lo, s39
	s_and_saveexec_b32 s38, s14
	s_cbranch_execz .LBB2_1459
.LBB2_1458:                             ;   in Loop: Header=BB2_1120 Depth=4
	v_bfe_u32 v14, v10, 24, 3
	s_delay_alu instid0(VALU_DEP_1) | instskip(NEXT) | instid1(VALU_DEP_1)
	v_clz_i32_u32_e32 v162, v14
	v_min_u32_e32 v162, 32, v162
	s_delay_alu instid0(VALU_DEP_1) | instskip(SKIP_1) | instid1(VALU_DEP_2)
	v_subrev_nc_u32_e32 v164, 28, v162
	v_sub_nc_u32_e32 v162, 29, v162
	v_lshlrev_b32_e32 v161, v164, v161
	v_bfe_u32 v164, v10, 27, 4
	v_and_b32_e32 v10, 0x80000000, v10
	s_delay_alu instid0(VALU_DEP_2) | instskip(NEXT) | instid1(VALU_DEP_4)
	v_cmp_eq_u32_e32 vcc_lo, 0, v164
	v_dual_cndmask_b32 v162, v164, v162 :: v_dual_and_b32 v161, 7, v161
	s_delay_alu instid0(VALU_DEP_1) | instskip(NEXT) | instid1(VALU_DEP_2)
	v_cndmask_b32_e32 v14, v14, v161, vcc_lo
	v_lshl_add_u32 v161, v162, 23, 0x3b800000
	s_delay_alu instid0(VALU_DEP_2) | instskip(NEXT) | instid1(VALU_DEP_1)
	v_lshlrev_b32_e32 v14, 20, v14
	v_or3_b32 v14, v10, v161, v14
.LBB2_1459:                             ;   in Loop: Header=BB2_1120 Depth=4
	s_or_b32 exec_lo, exec_lo, s38
	s_delay_alu instid0(VALU_DEP_1) | instskip(SKIP_1) | instid1(VALU_DEP_1)
	v_max_f32_e32 v10, v14, v14
	v_max_f32_e32 v14, v163, v163
	v_min_f32_e32 v163, v14, v10
.LBB2_1460:                             ;   in Loop: Header=BB2_1120 Depth=4
	s_delay_alu instid0(VALU_DEP_1) | instskip(NEXT) | instid1(VALU_DEP_1)
	v_and_b32_e32 v10, 0x7f800000, v163
	v_cmp_ne_u32_e32 vcc_lo, 0x7f800000, v10
	v_mov_b32_e32 v10, 0x80
	s_and_saveexec_b32 s38, vcc_lo
	s_cbranch_execz .LBB2_1468
; %bb.1461:                             ;   in Loop: Header=BB2_1120 Depth=4
	v_mov_b32_e32 v10, 0
	s_mov_b32 s39, exec_lo
	v_cmpx_ne_u32_e32 0, v163
	s_cbranch_execz .LBB2_1467
; %bb.1462:                             ;   in Loop: Header=BB2_1120 Depth=4
	v_bfe_u32 v10, v163, 23, 8
	s_delay_alu instid0(VALU_DEP_1) | instskip(SKIP_1) | instid1(VALU_DEP_2)
	v_sub_nc_u32_e32 v161, 0x78, v10
	v_cmp_gt_u32_e32 vcc_lo, 0x79, v10
	v_dual_cndmask_b32 v161, 0, v161 :: v_dual_and_b32 v14, 0x7fffff, v163
	s_delay_alu instid0(VALU_DEP_1) | instskip(SKIP_2) | instid1(VALU_DEP_4)
	v_or_b32_e32 v162, 0x800000, v14
	v_cmp_eq_u32_e32 vcc_lo, 0, v10
	v_add_nc_u32_e32 v10, 0xffffff89, v10
	v_cndmask_b32_e64 v161, v161, 0x77, vcc_lo
	s_delay_alu instid0(VALU_DEP_4) | instskip(NEXT) | instid1(VALU_DEP_3)
	v_cndmask_b32_e32 v14, v162, v14, vcc_lo
	v_cndmask_b32_e64 v10, v10, 0xffffff8a, vcc_lo
	s_delay_alu instid0(VALU_DEP_3) | instskip(NEXT) | instid1(VALU_DEP_3)
	v_lshl_add_u32 v162, 0x100000, v161, -1
	v_lshrrev_b32_e32 v164, v161, v14
	v_lshlrev_b32_e64 v166, v161, 0x80000
	s_delay_alu instid0(VALU_DEP_4) | instskip(NEXT) | instid1(VALU_DEP_4)
	v_add_nc_u32_e32 v161, v161, v10
	v_and_b32_e32 v14, v162, v14
	s_delay_alu instid0(VALU_DEP_4) | instskip(NEXT) | instid1(VALU_DEP_2)
	v_bfe_u32 v165, v164, 20, 1
	v_cmp_eq_u32_e64 s14, v14, v166
	s_delay_alu instid0(VALU_DEP_2) | instskip(NEXT) | instid1(VALU_DEP_1)
	v_add_nc_u32_e32 v162, -1, v165
	v_cndmask_b32_e64 v14, 0, v162, s14
	v_lshrrev_b32_e32 v162, 23, v164
	s_mov_b32 s14, exec_lo
	s_delay_alu instid0(VALU_DEP_2) | instskip(NEXT) | instid1(VALU_DEP_2)
	v_add_nc_u32_e32 v14, v14, v164
	v_xor_b32_e32 v162, 1, v162
	s_delay_alu instid0(VALU_DEP_2) | instskip(NEXT) | instid1(VALU_DEP_1)
	v_and_b32_e32 v10, 0xfffff, v14
	v_add_nc_u32_e32 v14, v10, v164
                                        ; implicit-def: $vgpr10
	s_delay_alu instid0(VALU_DEP_3)
	v_cmpx_ne_u32_e64 v161, v162
	s_xor_b32 s14, exec_lo, s14
; %bb.1463:                             ;   in Loop: Header=BB2_1120 Depth=4
	s_delay_alu instid0(VALU_DEP_2) | instskip(SKIP_2) | instid1(VALU_DEP_2)
	v_cmp_lt_u32_e32 vcc_lo, 0xffffff, v14
	v_sub_nc_u32_e32 v10, v161, v162
	v_cndmask_b32_e64 v161, 0, 1, vcc_lo
	v_add_co_ci_u32_e32 v10, vcc_lo, 0, v10, vcc_lo
	s_delay_alu instid0(VALU_DEP_2)
	v_lshrrev_b32_e32 v14, v161, v14
; %bb.1464:                             ;   in Loop: Header=BB2_1120 Depth=4
	s_and_not1_saveexec_b32 s14, s14
; %bb.1465:                             ;   in Loop: Header=BB2_1120 Depth=4
	s_delay_alu instid0(VALU_DEP_1)
	v_bfe_u32 v10, v14, 23, 1
; %bb.1466:                             ;   in Loop: Header=BB2_1120 Depth=4
	s_or_b32 exec_lo, exec_lo, s14
	v_lshrrev_b32_e32 v14, 20, v14
	s_delay_alu instid0(VALU_DEP_2) | instskip(SKIP_2) | instid1(VALU_DEP_2)
	v_cmp_gt_i32_e32 vcc_lo, 16, v10
	v_lshrrev_b32_e32 v161, 24, v163
	v_min_i32_e32 v162, 15, v10
	v_dual_cndmask_b32 v14, 7, v14 :: v_dual_and_b32 v161, 0x80, v161
	s_delay_alu instid0(VALU_DEP_2) | instskip(NEXT) | instid1(VALU_DEP_2)
	v_lshlrev_b32_e32 v162, 3, v162
	v_and_b32_e32 v163, 7, v14
	v_or_b32_e32 v10, v10, v14
	s_delay_alu instid0(VALU_DEP_2) | instskip(NEXT) | instid1(VALU_DEP_2)
	v_or3_b32 v14, v162, v161, v163
	v_cmp_ne_u32_e32 vcc_lo, 0, v10
	s_delay_alu instid0(VALU_DEP_2)
	v_cndmask_b32_e32 v10, 0, v14, vcc_lo
.LBB2_1467:                             ;   in Loop: Header=BB2_1120 Depth=4
	s_or_b32 exec_lo, exec_lo, s39
.LBB2_1468:                             ;   in Loop: Header=BB2_1120 Depth=4
	s_delay_alu instid0(SALU_CYCLE_1) | instskip(NEXT) | instid1(SALU_CYCLE_1)
	s_or_b32 exec_lo, exec_lo, s38
	s_and_b32 vcc_lo, exec_lo, s37
	s_cbranch_vccz .LBB2_1478
; %bb.1469:                             ;   in Loop: Header=BB2_1120 Depth=4
	v_and_b32_e32 v161, 0xff, v15
	s_mov_b32 s14, 0
	s_mov_b32 s39, exec_lo
                                        ; implicit-def: $sgpr38
	s_delay_alu instid0(VALU_DEP_1)
	v_cmpx_lt_i16_e64 0x7f, v161
	s_xor_b32 s39, exec_lo, s39
	s_cbranch_execnz .LBB2_1774
; %bb.1470:                             ;   in Loop: Header=BB2_1120 Depth=4
	s_or_saveexec_b32 s39, s39
	v_mov_b32_e32 v14, s38
	s_xor_b32 exec_lo, exec_lo, s39
	s_cbranch_execnz .LBB2_1777
.LBB2_1471:                             ;   in Loop: Header=BB2_1120 Depth=4
	s_or_b32 exec_lo, exec_lo, s39
	s_and_saveexec_b32 s38, s14
	s_cbranch_execz .LBB2_1473
.LBB2_1472:                             ;   in Loop: Header=BB2_1120 Depth=4
	v_bfe_u32 v163, v15, 3, 4
	v_lshlrev_b32_e32 v164, 24, v15
	s_delay_alu instid0(VALU_DEP_2) | instskip(SKIP_1) | instid1(VALU_DEP_1)
	v_cmp_eq_u32_e32 vcc_lo, 0, v163
	v_and_b32_e32 v14, 7, v15
	v_clz_i32_u32_e32 v161, v14
	s_delay_alu instid0(VALU_DEP_1) | instskip(NEXT) | instid1(VALU_DEP_1)
	v_min_u32_e32 v161, 32, v161
	v_subrev_nc_u32_e32 v162, 28, v161
	v_sub_nc_u32_e32 v161, 29, v161
	s_delay_alu instid0(VALU_DEP_1) | instskip(NEXT) | instid1(VALU_DEP_1)
	v_dual_cndmask_b32 v161, v163, v161 :: v_dual_lshlrev_b32 v162, v162, v15
	v_and_b32_e32 v162, 7, v162
	s_delay_alu instid0(VALU_DEP_2) | instskip(NEXT) | instid1(VALU_DEP_2)
	v_lshl_add_u32 v161, v161, 23, 0x3b800000
	v_cndmask_b32_e32 v14, v14, v162, vcc_lo
	v_and_b32_e32 v162, 0x80000000, v164
	s_delay_alu instid0(VALU_DEP_2) | instskip(NEXT) | instid1(VALU_DEP_1)
	v_lshlrev_b32_e32 v14, 20, v14
	v_or3_b32 v14, v162, v161, v14
.LBB2_1473:                             ;   in Loop: Header=BB2_1120 Depth=4
	s_or_b32 exec_lo, exec_lo, s38
	v_and_b32_e32 v162, 0xff, v11
	s_mov_b32 s14, 0
	s_mov_b32 s39, exec_lo
                                        ; implicit-def: $sgpr38
	s_delay_alu instid0(VALU_DEP_1)
	v_cmpx_lt_i16_e64 0x7f, v162
	s_xor_b32 s39, exec_lo, s39
	s_cbranch_execnz .LBB2_1778
; %bb.1474:                             ;   in Loop: Header=BB2_1120 Depth=4
	s_or_saveexec_b32 s39, s39
	v_mov_b32_e32 v161, s38
	s_xor_b32 exec_lo, exec_lo, s39
	s_cbranch_execnz .LBB2_1781
.LBB2_1475:                             ;   in Loop: Header=BB2_1120 Depth=4
	s_or_b32 exec_lo, exec_lo, s39
	s_and_saveexec_b32 s38, s14
	s_cbranch_execz .LBB2_1477
.LBB2_1476:                             ;   in Loop: Header=BB2_1120 Depth=4
	v_bfe_u32 v164, v11, 3, 4
	v_lshlrev_b32_e32 v165, 24, v11
	s_delay_alu instid0(VALU_DEP_2) | instskip(SKIP_1) | instid1(VALU_DEP_1)
	v_cmp_eq_u32_e32 vcc_lo, 0, v164
	v_and_b32_e32 v161, 7, v11
	v_clz_i32_u32_e32 v162, v161
	s_delay_alu instid0(VALU_DEP_1) | instskip(NEXT) | instid1(VALU_DEP_1)
	v_min_u32_e32 v162, 32, v162
	v_subrev_nc_u32_e32 v163, 28, v162
	v_sub_nc_u32_e32 v162, 29, v162
	s_delay_alu instid0(VALU_DEP_1) | instskip(NEXT) | instid1(VALU_DEP_1)
	v_dual_cndmask_b32 v162, v164, v162 :: v_dual_lshlrev_b32 v163, v163, v11
	v_and_b32_e32 v163, 7, v163
	s_delay_alu instid0(VALU_DEP_2) | instskip(NEXT) | instid1(VALU_DEP_2)
	v_lshl_add_u32 v162, v162, 23, 0x3b800000
	v_cndmask_b32_e32 v161, v161, v163, vcc_lo
	v_and_b32_e32 v163, 0x80000000, v165
	s_delay_alu instid0(VALU_DEP_2) | instskip(NEXT) | instid1(VALU_DEP_1)
	v_lshlrev_b32_e32 v161, 20, v161
	v_or3_b32 v161, v163, v162, v161
.LBB2_1477:                             ;   in Loop: Header=BB2_1120 Depth=4
	s_or_b32 exec_lo, exec_lo, s38
	s_delay_alu instid0(VALU_DEP_1) | instskip(SKIP_1) | instid1(VALU_DEP_1)
	v_dual_max_f32 v161, v161, v161 :: v_dual_max_f32 v14, v14, v14
	s_mov_b32 s14, 0
	v_max_f32_e32 v161, v14, v161
	s_branch .LBB2_1479
.LBB2_1478:                             ;   in Loop: Header=BB2_1120 Depth=4
	s_mov_b32 s14, -1
                                        ; implicit-def: $vgpr161
.LBB2_1479:                             ;   in Loop: Header=BB2_1120 Depth=4
	s_delay_alu instid0(SALU_CYCLE_1)
	s_and_b32 vcc_lo, exec_lo, s14
	s_cbranch_vccz .LBB2_1489
; %bb.1480:                             ;   in Loop: Header=BB2_1120 Depth=4
	v_and_b32_e32 v161, 0xff, v15
	s_mov_b32 s14, 0
	s_mov_b32 s39, exec_lo
                                        ; implicit-def: $sgpr38
	s_delay_alu instid0(VALU_DEP_1)
	v_cmpx_lt_i16_e64 0x7f, v161
	s_xor_b32 s39, exec_lo, s39
	s_cbranch_execnz .LBB2_1782
; %bb.1481:                             ;   in Loop: Header=BB2_1120 Depth=4
	s_or_saveexec_b32 s39, s39
	v_mov_b32_e32 v14, s38
	s_xor_b32 exec_lo, exec_lo, s39
	s_cbranch_execnz .LBB2_1785
.LBB2_1482:                             ;   in Loop: Header=BB2_1120 Depth=4
	s_or_b32 exec_lo, exec_lo, s39
	s_and_saveexec_b32 s38, s14
	s_cbranch_execz .LBB2_1484
.LBB2_1483:                             ;   in Loop: Header=BB2_1120 Depth=4
	v_bfe_u32 v163, v15, 3, 4
	v_lshlrev_b32_e32 v164, 24, v15
	s_delay_alu instid0(VALU_DEP_2) | instskip(SKIP_1) | instid1(VALU_DEP_1)
	v_cmp_eq_u32_e32 vcc_lo, 0, v163
	v_and_b32_e32 v14, 7, v15
	v_clz_i32_u32_e32 v161, v14
	s_delay_alu instid0(VALU_DEP_1) | instskip(NEXT) | instid1(VALU_DEP_1)
	v_min_u32_e32 v161, 32, v161
	v_subrev_nc_u32_e32 v162, 28, v161
	v_sub_nc_u32_e32 v161, 29, v161
	s_delay_alu instid0(VALU_DEP_1) | instskip(NEXT) | instid1(VALU_DEP_1)
	v_dual_cndmask_b32 v161, v163, v161 :: v_dual_lshlrev_b32 v162, v162, v15
	v_and_b32_e32 v162, 7, v162
	s_delay_alu instid0(VALU_DEP_2) | instskip(NEXT) | instid1(VALU_DEP_2)
	v_lshl_add_u32 v161, v161, 23, 0x3b800000
	v_cndmask_b32_e32 v14, v14, v162, vcc_lo
	v_and_b32_e32 v162, 0x80000000, v164
	s_delay_alu instid0(VALU_DEP_2) | instskip(NEXT) | instid1(VALU_DEP_1)
	v_lshlrev_b32_e32 v14, 20, v14
	v_or3_b32 v14, v162, v161, v14
.LBB2_1484:                             ;   in Loop: Header=BB2_1120 Depth=4
	s_or_b32 exec_lo, exec_lo, s38
	v_and_b32_e32 v162, 0xff, v11
	s_mov_b32 s14, 0
	s_mov_b32 s39, exec_lo
                                        ; implicit-def: $sgpr38
	s_delay_alu instid0(VALU_DEP_1)
	v_cmpx_lt_i16_e64 0x7f, v162
	s_xor_b32 s39, exec_lo, s39
	s_cbranch_execnz .LBB2_1786
; %bb.1485:                             ;   in Loop: Header=BB2_1120 Depth=4
	s_or_saveexec_b32 s39, s39
	v_mov_b32_e32 v161, s38
	s_xor_b32 exec_lo, exec_lo, s39
	s_cbranch_execnz .LBB2_1789
.LBB2_1486:                             ;   in Loop: Header=BB2_1120 Depth=4
	s_or_b32 exec_lo, exec_lo, s39
	s_and_saveexec_b32 s38, s14
	s_cbranch_execz .LBB2_1488
.LBB2_1487:                             ;   in Loop: Header=BB2_1120 Depth=4
	v_bfe_u32 v164, v11, 3, 4
	v_lshlrev_b32_e32 v165, 24, v11
	s_delay_alu instid0(VALU_DEP_2) | instskip(SKIP_1) | instid1(VALU_DEP_1)
	v_cmp_eq_u32_e32 vcc_lo, 0, v164
	v_and_b32_e32 v161, 7, v11
	v_clz_i32_u32_e32 v162, v161
	s_delay_alu instid0(VALU_DEP_1) | instskip(NEXT) | instid1(VALU_DEP_1)
	v_min_u32_e32 v162, 32, v162
	v_subrev_nc_u32_e32 v163, 28, v162
	v_sub_nc_u32_e32 v162, 29, v162
	s_delay_alu instid0(VALU_DEP_1) | instskip(NEXT) | instid1(VALU_DEP_1)
	v_dual_cndmask_b32 v162, v164, v162 :: v_dual_lshlrev_b32 v163, v163, v11
	v_and_b32_e32 v163, 7, v163
	s_delay_alu instid0(VALU_DEP_2) | instskip(NEXT) | instid1(VALU_DEP_2)
	v_lshl_add_u32 v162, v162, 23, 0x3b800000
	v_cndmask_b32_e32 v161, v161, v163, vcc_lo
	v_and_b32_e32 v163, 0x80000000, v165
	s_delay_alu instid0(VALU_DEP_2) | instskip(NEXT) | instid1(VALU_DEP_1)
	v_lshlrev_b32_e32 v161, 20, v161
	v_or3_b32 v161, v163, v162, v161
.LBB2_1488:                             ;   in Loop: Header=BB2_1120 Depth=4
	s_or_b32 exec_lo, exec_lo, s38
	s_delay_alu instid0(VALU_DEP_1) | instskip(NEXT) | instid1(VALU_DEP_1)
	v_dual_max_f32 v161, v161, v161 :: v_dual_max_f32 v14, v14, v14
	v_min_f32_e32 v161, v14, v161
.LBB2_1489:                             ;   in Loop: Header=BB2_1120 Depth=4
	s_delay_alu instid0(VALU_DEP_1) | instskip(NEXT) | instid1(VALU_DEP_1)
	v_and_b32_e32 v14, 0x7f800000, v161
	v_cmp_ne_u32_e32 vcc_lo, 0x7f800000, v14
	v_mov_b32_e32 v14, 0x80
	s_and_saveexec_b32 s38, vcc_lo
	s_cbranch_execz .LBB2_1497
; %bb.1490:                             ;   in Loop: Header=BB2_1120 Depth=4
	v_mov_b32_e32 v14, 0
	s_mov_b32 s39, exec_lo
	v_cmpx_ne_u32_e32 0, v161
	s_cbranch_execz .LBB2_1496
; %bb.1491:                             ;   in Loop: Header=BB2_1120 Depth=4
	v_bfe_u32 v14, v161, 23, 8
	s_delay_alu instid0(VALU_DEP_1) | instskip(SKIP_1) | instid1(VALU_DEP_2)
	v_sub_nc_u32_e32 v163, 0x78, v14
	v_cmp_gt_u32_e32 vcc_lo, 0x79, v14
	v_dual_cndmask_b32 v163, 0, v163 :: v_dual_and_b32 v162, 0x7fffff, v161
	s_delay_alu instid0(VALU_DEP_1) | instskip(SKIP_2) | instid1(VALU_DEP_4)
	v_or_b32_e32 v164, 0x800000, v162
	v_cmp_eq_u32_e32 vcc_lo, 0, v14
	v_add_nc_u32_e32 v14, 0xffffff89, v14
	v_cndmask_b32_e64 v163, v163, 0x77, vcc_lo
	s_delay_alu instid0(VALU_DEP_4) | instskip(NEXT) | instid1(VALU_DEP_3)
	v_cndmask_b32_e32 v162, v164, v162, vcc_lo
	v_cndmask_b32_e64 v14, v14, 0xffffff8a, vcc_lo
	s_delay_alu instid0(VALU_DEP_3) | instskip(NEXT) | instid1(VALU_DEP_3)
	v_lshl_add_u32 v164, 0x100000, v163, -1
	v_lshrrev_b32_e32 v165, v163, v162
	v_lshlrev_b32_e64 v167, v163, 0x80000
	s_delay_alu instid0(VALU_DEP_4) | instskip(NEXT) | instid1(VALU_DEP_4)
	v_add_nc_u32_e32 v163, v163, v14
	v_and_b32_e32 v162, v164, v162
	s_delay_alu instid0(VALU_DEP_4) | instskip(NEXT) | instid1(VALU_DEP_2)
	v_bfe_u32 v166, v165, 20, 1
	v_cmp_eq_u32_e64 s14, v162, v167
	s_delay_alu instid0(VALU_DEP_2) | instskip(NEXT) | instid1(VALU_DEP_1)
	v_add_nc_u32_e32 v164, -1, v166
	v_cndmask_b32_e64 v162, 0, v164, s14
	v_lshrrev_b32_e32 v164, 23, v165
	s_mov_b32 s14, exec_lo
	s_delay_alu instid0(VALU_DEP_2) | instskip(NEXT) | instid1(VALU_DEP_2)
	v_add_nc_u32_e32 v162, v162, v165
	v_xor_b32_e32 v164, 1, v164
	s_delay_alu instid0(VALU_DEP_2) | instskip(NEXT) | instid1(VALU_DEP_1)
	v_and_b32_e32 v14, 0xfffff, v162
	v_add_nc_u32_e32 v162, v14, v165
                                        ; implicit-def: $vgpr14
	s_delay_alu instid0(VALU_DEP_3)
	v_cmpx_ne_u32_e64 v163, v164
	s_xor_b32 s14, exec_lo, s14
; %bb.1492:                             ;   in Loop: Header=BB2_1120 Depth=4
	s_delay_alu instid0(VALU_DEP_2) | instskip(SKIP_2) | instid1(VALU_DEP_2)
	v_cmp_lt_u32_e32 vcc_lo, 0xffffff, v162
	v_sub_nc_u32_e32 v14, v163, v164
	v_cndmask_b32_e64 v163, 0, 1, vcc_lo
	v_add_co_ci_u32_e32 v14, vcc_lo, 0, v14, vcc_lo
	s_delay_alu instid0(VALU_DEP_2)
	v_lshrrev_b32_e32 v162, v163, v162
; %bb.1493:                             ;   in Loop: Header=BB2_1120 Depth=4
	s_and_not1_saveexec_b32 s14, s14
; %bb.1494:                             ;   in Loop: Header=BB2_1120 Depth=4
	s_delay_alu instid0(VALU_DEP_1)
	v_bfe_u32 v14, v162, 23, 1
; %bb.1495:                             ;   in Loop: Header=BB2_1120 Depth=4
	s_or_b32 exec_lo, exec_lo, s14
	v_lshrrev_b32_e32 v162, 20, v162
	s_delay_alu instid0(VALU_DEP_2) | instskip(SKIP_2) | instid1(VALU_DEP_2)
	v_cmp_gt_i32_e32 vcc_lo, 16, v14
	v_lshrrev_b32_e32 v161, 24, v161
	v_min_i32_e32 v163, 15, v14
	v_dual_cndmask_b32 v162, 7, v162 :: v_dual_and_b32 v161, 0x80, v161
	s_delay_alu instid0(VALU_DEP_1) | instskip(SKIP_1) | instid1(VALU_DEP_2)
	v_or_b32_e32 v14, v14, v162
	v_and_b32_e32 v164, 7, v162
	v_cmp_ne_u32_e32 vcc_lo, 0, v14
	v_lshlrev_b32_e32 v163, 3, v163
	s_delay_alu instid0(VALU_DEP_1) | instskip(NEXT) | instid1(VALU_DEP_1)
	v_or3_b32 v161, v163, v161, v164
	v_cndmask_b32_e32 v14, 0, v161, vcc_lo
.LBB2_1496:                             ;   in Loop: Header=BB2_1120 Depth=4
	s_or_b32 exec_lo, exec_lo, s39
.LBB2_1497:                             ;   in Loop: Header=BB2_1120 Depth=4
	s_delay_alu instid0(SALU_CYCLE_1)
	s_or_b32 exec_lo, exec_lo, s38
	v_lshrrev_b16 v162, 8, v15
	v_lshrrev_b16 v161, 8, v11
	s_and_b32 vcc_lo, exec_lo, s37
	s_cbranch_vccz .LBB2_1507
; %bb.1498:                             ;   in Loop: Header=BB2_1120 Depth=4
	s_mov_b32 s14, 0
	s_mov_b32 s39, exec_lo
                                        ; implicit-def: $sgpr38
	v_cmpx_lt_i16_e64 0x7f, v162
	s_xor_b32 s39, exec_lo, s39
	s_cbranch_execnz .LBB2_1790
; %bb.1499:                             ;   in Loop: Header=BB2_1120 Depth=4
	s_or_saveexec_b32 s39, s39
	v_mov_b32_e32 v163, s38
	s_xor_b32 exec_lo, exec_lo, s39
	s_cbranch_execnz .LBB2_1793
.LBB2_1500:                             ;   in Loop: Header=BB2_1120 Depth=4
	s_or_b32 exec_lo, exec_lo, s39
	s_and_saveexec_b32 s38, s14
	s_cbranch_execz .LBB2_1502
.LBB2_1501:                             ;   in Loop: Header=BB2_1120 Depth=4
	v_and_b32_e32 v163, 0xffff, v162
	s_delay_alu instid0(VALU_DEP_1) | instskip(NEXT) | instid1(VALU_DEP_1)
	v_and_b32_e32 v164, 7, v163
	v_clz_i32_u32_e32 v165, v164
	s_delay_alu instid0(VALU_DEP_1) | instskip(NEXT) | instid1(VALU_DEP_1)
	v_min_u32_e32 v165, 32, v165
	v_subrev_nc_u32_e32 v166, 28, v165
	v_sub_nc_u32_e32 v165, 29, v165
	s_delay_alu instid0(VALU_DEP_2) | instskip(SKIP_1) | instid1(VALU_DEP_2)
	v_lshlrev_b32_e32 v166, v166, v163
	v_bfe_u32 v163, v163, 3, 4
	v_and_b32_e32 v166, 7, v166
	s_delay_alu instid0(VALU_DEP_2) | instskip(SKIP_1) | instid1(VALU_DEP_3)
	v_cmp_eq_u32_e32 vcc_lo, 0, v163
	v_cndmask_b32_e32 v163, v163, v165, vcc_lo
	v_dual_cndmask_b32 v164, v164, v166 :: v_dual_lshlrev_b32 v167, 16, v15
	s_delay_alu instid0(VALU_DEP_2) | instskip(NEXT) | instid1(VALU_DEP_2)
	v_lshl_add_u32 v163, v163, 23, 0x3b800000
	v_and_b32_e32 v165, 0x80000000, v167
	s_delay_alu instid0(VALU_DEP_3) | instskip(NEXT) | instid1(VALU_DEP_1)
	v_lshlrev_b32_e32 v164, 20, v164
	v_or3_b32 v163, v165, v163, v164
.LBB2_1502:                             ;   in Loop: Header=BB2_1120 Depth=4
	s_or_b32 exec_lo, exec_lo, s38
	s_mov_b32 s14, 0
	s_mov_b32 s39, exec_lo
                                        ; implicit-def: $sgpr38
	v_cmpx_lt_i16_e64 0x7f, v161
	s_xor_b32 s39, exec_lo, s39
	s_cbranch_execnz .LBB2_1794
; %bb.1503:                             ;   in Loop: Header=BB2_1120 Depth=4
	s_or_saveexec_b32 s39, s39
	v_mov_b32_e32 v164, s38
	s_xor_b32 exec_lo, exec_lo, s39
	s_cbranch_execnz .LBB2_1797
.LBB2_1504:                             ;   in Loop: Header=BB2_1120 Depth=4
	s_or_b32 exec_lo, exec_lo, s39
	s_and_saveexec_b32 s38, s14
	s_cbranch_execz .LBB2_1506
.LBB2_1505:                             ;   in Loop: Header=BB2_1120 Depth=4
	v_and_b32_e32 v164, 0xffff, v161
	v_lshlrev_b32_e32 v176, 16, v11
	s_delay_alu instid0(VALU_DEP_2) | instskip(NEXT) | instid1(VALU_DEP_1)
	v_and_b32_e32 v165, 7, v164
	v_clz_i32_u32_e32 v166, v165
	s_delay_alu instid0(VALU_DEP_1) | instskip(NEXT) | instid1(VALU_DEP_1)
	v_min_u32_e32 v166, 32, v166
	v_subrev_nc_u32_e32 v167, 28, v166
	v_sub_nc_u32_e32 v166, 29, v166
	s_delay_alu instid0(VALU_DEP_2) | instskip(SKIP_1) | instid1(VALU_DEP_2)
	v_lshlrev_b32_e32 v167, v167, v164
	v_bfe_u32 v164, v164, 3, 4
	v_and_b32_e32 v167, 7, v167
	s_delay_alu instid0(VALU_DEP_2) | instskip(NEXT) | instid1(VALU_DEP_2)
	v_cmp_eq_u32_e32 vcc_lo, 0, v164
	v_dual_cndmask_b32 v164, v164, v166 :: v_dual_cndmask_b32 v165, v165, v167
	v_and_b32_e32 v166, 0x80000000, v176
	s_delay_alu instid0(VALU_DEP_2) | instskip(NEXT) | instid1(VALU_DEP_3)
	v_lshl_add_u32 v164, v164, 23, 0x3b800000
	v_lshlrev_b32_e32 v165, 20, v165
	s_delay_alu instid0(VALU_DEP_1)
	v_or3_b32 v164, v166, v164, v165
.LBB2_1506:                             ;   in Loop: Header=BB2_1120 Depth=4
	s_or_b32 exec_lo, exec_lo, s38
	s_delay_alu instid0(VALU_DEP_1) | instskip(SKIP_1) | instid1(VALU_DEP_1)
	v_dual_max_f32 v164, v164, v164 :: v_dual_max_f32 v163, v163, v163
	s_mov_b32 s14, 0
	v_max_f32_e32 v163, v163, v164
	s_branch .LBB2_1508
.LBB2_1507:                             ;   in Loop: Header=BB2_1120 Depth=4
	s_mov_b32 s14, -1
                                        ; implicit-def: $vgpr163
.LBB2_1508:                             ;   in Loop: Header=BB2_1120 Depth=4
	s_delay_alu instid0(SALU_CYCLE_1)
	s_and_b32 vcc_lo, exec_lo, s14
	s_cbranch_vccz .LBB2_1518
; %bb.1509:                             ;   in Loop: Header=BB2_1120 Depth=4
	s_mov_b32 s14, 0
	s_mov_b32 s39, exec_lo
                                        ; implicit-def: $sgpr38
	v_cmpx_lt_i16_e64 0x7f, v162
	s_xor_b32 s39, exec_lo, s39
	s_cbranch_execnz .LBB2_1798
; %bb.1510:                             ;   in Loop: Header=BB2_1120 Depth=4
	s_or_saveexec_b32 s39, s39
	v_mov_b32_e32 v163, s38
	s_xor_b32 exec_lo, exec_lo, s39
	s_cbranch_execnz .LBB2_1801
.LBB2_1511:                             ;   in Loop: Header=BB2_1120 Depth=4
	s_or_b32 exec_lo, exec_lo, s39
	s_and_saveexec_b32 s38, s14
	s_cbranch_execz .LBB2_1513
.LBB2_1512:                             ;   in Loop: Header=BB2_1120 Depth=4
	v_and_b32_e32 v162, 0xffff, v162
	v_lshlrev_b32_e32 v166, 16, v15
	s_delay_alu instid0(VALU_DEP_2) | instskip(NEXT) | instid1(VALU_DEP_1)
	v_and_b32_e32 v163, 7, v162
	v_clz_i32_u32_e32 v164, v163
	s_delay_alu instid0(VALU_DEP_1) | instskip(NEXT) | instid1(VALU_DEP_1)
	v_min_u32_e32 v164, 32, v164
	v_subrev_nc_u32_e32 v165, 28, v164
	v_sub_nc_u32_e32 v164, 29, v164
	s_delay_alu instid0(VALU_DEP_2) | instskip(SKIP_1) | instid1(VALU_DEP_2)
	v_lshlrev_b32_e32 v165, v165, v162
	v_bfe_u32 v162, v162, 3, 4
	v_and_b32_e32 v165, 7, v165
	s_delay_alu instid0(VALU_DEP_2) | instskip(NEXT) | instid1(VALU_DEP_2)
	v_cmp_eq_u32_e32 vcc_lo, 0, v162
	v_dual_cndmask_b32 v162, v162, v164 :: v_dual_cndmask_b32 v163, v163, v165
	v_and_b32_e32 v164, 0x80000000, v166
	s_delay_alu instid0(VALU_DEP_2) | instskip(NEXT) | instid1(VALU_DEP_3)
	v_lshl_add_u32 v162, v162, 23, 0x3b800000
	v_lshlrev_b32_e32 v163, 20, v163
	s_delay_alu instid0(VALU_DEP_1)
	v_or3_b32 v163, v164, v162, v163
.LBB2_1513:                             ;   in Loop: Header=BB2_1120 Depth=4
	s_or_b32 exec_lo, exec_lo, s38
	s_mov_b32 s14, 0
	s_mov_b32 s39, exec_lo
                                        ; implicit-def: $sgpr38
	v_cmpx_lt_i16_e64 0x7f, v161
	s_xor_b32 s39, exec_lo, s39
	s_cbranch_execnz .LBB2_1802
; %bb.1514:                             ;   in Loop: Header=BB2_1120 Depth=4
	s_or_saveexec_b32 s39, s39
	v_mov_b32_e32 v162, s38
	s_xor_b32 exec_lo, exec_lo, s39
	s_cbranch_execnz .LBB2_1805
.LBB2_1515:                             ;   in Loop: Header=BB2_1120 Depth=4
	s_or_b32 exec_lo, exec_lo, s39
	s_and_saveexec_b32 s38, s14
	s_cbranch_execz .LBB2_1517
.LBB2_1516:                             ;   in Loop: Header=BB2_1120 Depth=4
	v_and_b32_e32 v161, 0xffff, v161
	v_lshlrev_b32_e32 v166, 16, v11
	s_delay_alu instid0(VALU_DEP_2) | instskip(NEXT) | instid1(VALU_DEP_1)
	v_and_b32_e32 v162, 7, v161
	v_clz_i32_u32_e32 v164, v162
	s_delay_alu instid0(VALU_DEP_1) | instskip(NEXT) | instid1(VALU_DEP_1)
	v_min_u32_e32 v164, 32, v164
	v_subrev_nc_u32_e32 v165, 28, v164
	v_sub_nc_u32_e32 v164, 29, v164
	s_delay_alu instid0(VALU_DEP_2) | instskip(SKIP_1) | instid1(VALU_DEP_2)
	v_lshlrev_b32_e32 v165, v165, v161
	v_bfe_u32 v161, v161, 3, 4
	v_and_b32_e32 v165, 7, v165
	s_delay_alu instid0(VALU_DEP_2) | instskip(NEXT) | instid1(VALU_DEP_2)
	v_cmp_eq_u32_e32 vcc_lo, 0, v161
	v_dual_cndmask_b32 v161, v161, v164 :: v_dual_cndmask_b32 v162, v162, v165
	v_and_b32_e32 v164, 0x80000000, v166
	s_delay_alu instid0(VALU_DEP_2) | instskip(NEXT) | instid1(VALU_DEP_3)
	v_lshl_add_u32 v161, v161, 23, 0x3b800000
	v_lshlrev_b32_e32 v162, 20, v162
	s_delay_alu instid0(VALU_DEP_1)
	v_or3_b32 v162, v164, v161, v162
.LBB2_1517:                             ;   in Loop: Header=BB2_1120 Depth=4
	s_or_b32 exec_lo, exec_lo, s38
	s_delay_alu instid0(VALU_DEP_1) | instskip(NEXT) | instid1(VALU_DEP_1)
	v_dual_max_f32 v161, v162, v162 :: v_dual_max_f32 v162, v163, v163
	v_min_f32_e32 v163, v162, v161
.LBB2_1518:                             ;   in Loop: Header=BB2_1120 Depth=4
	s_delay_alu instid0(VALU_DEP_1) | instskip(NEXT) | instid1(VALU_DEP_1)
	v_and_b32_e32 v161, 0x7f800000, v163
	v_cmp_ne_u32_e32 vcc_lo, 0x7f800000, v161
	v_mov_b32_e32 v161, 0x80
	s_and_saveexec_b32 s38, vcc_lo
	s_cbranch_execz .LBB2_1526
; %bb.1519:                             ;   in Loop: Header=BB2_1120 Depth=4
	v_mov_b32_e32 v161, 0
	s_mov_b32 s39, exec_lo
	v_cmpx_ne_u32_e32 0, v163
	s_cbranch_execz .LBB2_1525
; %bb.1520:                             ;   in Loop: Header=BB2_1120 Depth=4
	v_bfe_u32 v161, v163, 23, 8
	v_and_b32_e32 v162, 0x7fffff, v163
	s_delay_alu instid0(VALU_DEP_2) | instskip(SKIP_1) | instid1(VALU_DEP_3)
	v_sub_nc_u32_e32 v164, 0x78, v161
	v_cmp_gt_u32_e32 vcc_lo, 0x79, v161
	v_or_b32_e32 v165, 0x800000, v162
	s_delay_alu instid0(VALU_DEP_3) | instskip(SKIP_2) | instid1(VALU_DEP_3)
	v_cndmask_b32_e32 v164, 0, v164, vcc_lo
	v_cmp_eq_u32_e32 vcc_lo, 0, v161
	v_add_nc_u32_e32 v161, 0xffffff89, v161
	v_cndmask_b32_e64 v164, v164, 0x77, vcc_lo
	v_cndmask_b32_e32 v162, v165, v162, vcc_lo
	s_delay_alu instid0(VALU_DEP_3) | instskip(NEXT) | instid1(VALU_DEP_3)
	v_cndmask_b32_e64 v161, v161, 0xffffff8a, vcc_lo
	v_lshl_add_u32 v165, 0x100000, v164, -1
	s_delay_alu instid0(VALU_DEP_3) | instskip(SKIP_1) | instid1(VALU_DEP_4)
	v_lshrrev_b32_e32 v166, v164, v162
	v_lshlrev_b32_e64 v176, v164, 0x80000
	v_add_nc_u32_e32 v164, v164, v161
	s_delay_alu instid0(VALU_DEP_4) | instskip(NEXT) | instid1(VALU_DEP_4)
	v_and_b32_e32 v162, v165, v162
	v_bfe_u32 v167, v166, 20, 1
	s_delay_alu instid0(VALU_DEP_2) | instskip(NEXT) | instid1(VALU_DEP_2)
	v_cmp_eq_u32_e64 s14, v162, v176
	v_add_nc_u32_e32 v165, -1, v167
	s_delay_alu instid0(VALU_DEP_1) | instskip(SKIP_2) | instid1(VALU_DEP_2)
	v_cndmask_b32_e64 v162, 0, v165, s14
	v_lshrrev_b32_e32 v165, 23, v166
	s_mov_b32 s14, exec_lo
	v_add_nc_u32_e32 v162, v162, v166
	s_delay_alu instid0(VALU_DEP_2) | instskip(NEXT) | instid1(VALU_DEP_2)
	v_xor_b32_e32 v165, 1, v165
	v_and_b32_e32 v161, 0xfffff, v162
	s_delay_alu instid0(VALU_DEP_1) | instskip(NEXT) | instid1(VALU_DEP_3)
	v_add_nc_u32_e32 v162, v161, v166
                                        ; implicit-def: $vgpr161
	v_cmpx_ne_u32_e64 v164, v165
	s_xor_b32 s14, exec_lo, s14
; %bb.1521:                             ;   in Loop: Header=BB2_1120 Depth=4
	s_delay_alu instid0(VALU_DEP_2) | instskip(SKIP_2) | instid1(VALU_DEP_2)
	v_cmp_lt_u32_e32 vcc_lo, 0xffffff, v162
	v_sub_nc_u32_e32 v161, v164, v165
	v_cndmask_b32_e64 v164, 0, 1, vcc_lo
	v_add_co_ci_u32_e32 v161, vcc_lo, 0, v161, vcc_lo
	s_delay_alu instid0(VALU_DEP_2)
	v_lshrrev_b32_e32 v162, v164, v162
; %bb.1522:                             ;   in Loop: Header=BB2_1120 Depth=4
	s_and_not1_saveexec_b32 s14, s14
; %bb.1523:                             ;   in Loop: Header=BB2_1120 Depth=4
	s_delay_alu instid0(VALU_DEP_1)
	v_bfe_u32 v161, v162, 23, 1
; %bb.1524:                             ;   in Loop: Header=BB2_1120 Depth=4
	s_or_b32 exec_lo, exec_lo, s14
	v_lshrrev_b32_e32 v162, 20, v162
	s_delay_alu instid0(VALU_DEP_2) | instskip(SKIP_2) | instid1(VALU_DEP_2)
	v_cmp_gt_i32_e32 vcc_lo, 16, v161
	v_lshrrev_b32_e32 v163, 24, v163
	v_min_i32_e32 v164, 15, v161
	v_dual_cndmask_b32 v162, 7, v162 :: v_dual_and_b32 v163, 0x80, v163
	s_delay_alu instid0(VALU_DEP_1) | instskip(SKIP_1) | instid1(VALU_DEP_2)
	v_or_b32_e32 v161, v161, v162
	v_and_b32_e32 v165, 7, v162
	v_cmp_ne_u32_e32 vcc_lo, 0, v161
	v_lshlrev_b32_e32 v164, 3, v164
	s_delay_alu instid0(VALU_DEP_1) | instskip(NEXT) | instid1(VALU_DEP_1)
	v_or3_b32 v162, v164, v163, v165
	v_cndmask_b32_e32 v161, 0, v162, vcc_lo
.LBB2_1525:                             ;   in Loop: Header=BB2_1120 Depth=4
	s_or_b32 exec_lo, exec_lo, s39
.LBB2_1526:                             ;   in Loop: Header=BB2_1120 Depth=4
	s_delay_alu instid0(SALU_CYCLE_1)
	s_or_b32 exec_lo, exec_lo, s38
	v_lshrrev_b32_e32 v163, 16, v15
	v_lshrrev_b32_e32 v162, 16, v11
	s_and_b32 vcc_lo, exec_lo, s37
	s_cbranch_vccz .LBB2_1536
; %bb.1527:                             ;   in Loop: Header=BB2_1120 Depth=4
	s_delay_alu instid0(VALU_DEP_2) | instskip(SKIP_2) | instid1(VALU_DEP_1)
	v_and_b32_e32 v165, 0xff, v163
	s_mov_b32 s14, 0
	s_mov_b32 s39, exec_lo
                                        ; implicit-def: $sgpr38
	v_cmpx_lt_i16_e64 0x7f, v165
	s_xor_b32 s39, exec_lo, s39
	s_cbranch_execnz .LBB2_1806
; %bb.1528:                             ;   in Loop: Header=BB2_1120 Depth=4
	s_or_saveexec_b32 s39, s39
	v_mov_b32_e32 v164, s38
	s_xor_b32 exec_lo, exec_lo, s39
	s_cbranch_execnz .LBB2_1809
.LBB2_1529:                             ;   in Loop: Header=BB2_1120 Depth=4
	s_or_b32 exec_lo, exec_lo, s39
	s_and_saveexec_b32 s38, s14
	s_cbranch_execz .LBB2_1531
.LBB2_1530:                             ;   in Loop: Header=BB2_1120 Depth=4
	v_bfe_u32 v164, v15, 16, 3
	v_bfe_u32 v167, v15, 19, 4
	v_lshlrev_b32_e32 v176, 24, v163
	s_delay_alu instid0(VALU_DEP_3) | instskip(NEXT) | instid1(VALU_DEP_3)
	v_clz_i32_u32_e32 v165, v164
	v_cmp_eq_u32_e32 vcc_lo, 0, v167
	s_delay_alu instid0(VALU_DEP_2) | instskip(NEXT) | instid1(VALU_DEP_1)
	v_min_u32_e32 v165, 32, v165
	v_subrev_nc_u32_e32 v166, 28, v165
	v_sub_nc_u32_e32 v165, 29, v165
	s_delay_alu instid0(VALU_DEP_1) | instskip(NEXT) | instid1(VALU_DEP_1)
	v_dual_cndmask_b32 v165, v167, v165 :: v_dual_lshlrev_b32 v166, v166, v163
	v_and_b32_e32 v166, 7, v166
	s_delay_alu instid0(VALU_DEP_2) | instskip(NEXT) | instid1(VALU_DEP_2)
	v_lshl_add_u32 v165, v165, 23, 0x3b800000
	v_cndmask_b32_e32 v164, v164, v166, vcc_lo
	v_and_b32_e32 v166, 0x80000000, v176
	s_delay_alu instid0(VALU_DEP_2) | instskip(NEXT) | instid1(VALU_DEP_1)
	v_lshlrev_b32_e32 v164, 20, v164
	v_or3_b32 v164, v166, v165, v164
.LBB2_1531:                             ;   in Loop: Header=BB2_1120 Depth=4
	s_or_b32 exec_lo, exec_lo, s38
	v_and_b32_e32 v166, 0xff, v162
	s_mov_b32 s14, 0
	s_mov_b32 s39, exec_lo
                                        ; implicit-def: $sgpr38
	s_delay_alu instid0(VALU_DEP_1)
	v_cmpx_lt_i16_e64 0x7f, v166
	s_xor_b32 s39, exec_lo, s39
	s_cbranch_execnz .LBB2_1810
; %bb.1532:                             ;   in Loop: Header=BB2_1120 Depth=4
	s_or_saveexec_b32 s39, s39
	v_mov_b32_e32 v165, s38
	s_xor_b32 exec_lo, exec_lo, s39
	s_cbranch_execnz .LBB2_1813
.LBB2_1533:                             ;   in Loop: Header=BB2_1120 Depth=4
	s_or_b32 exec_lo, exec_lo, s39
	s_and_saveexec_b32 s38, s14
	s_cbranch_execz .LBB2_1535
.LBB2_1534:                             ;   in Loop: Header=BB2_1120 Depth=4
	v_bfe_u32 v165, v11, 16, 3
	v_bfe_u32 v176, v11, 19, 4
	v_lshlrev_b32_e32 v177, 24, v162
	s_delay_alu instid0(VALU_DEP_3) | instskip(NEXT) | instid1(VALU_DEP_3)
	v_clz_i32_u32_e32 v166, v165
	v_cmp_eq_u32_e32 vcc_lo, 0, v176
	s_delay_alu instid0(VALU_DEP_2) | instskip(NEXT) | instid1(VALU_DEP_1)
	v_min_u32_e32 v166, 32, v166
	v_subrev_nc_u32_e32 v167, 28, v166
	v_sub_nc_u32_e32 v166, 29, v166
	s_delay_alu instid0(VALU_DEP_2) | instskip(NEXT) | instid1(VALU_DEP_1)
	v_lshlrev_b32_e32 v167, v167, v162
	v_dual_cndmask_b32 v166, v176, v166 :: v_dual_and_b32 v167, 7, v167
	s_delay_alu instid0(VALU_DEP_1) | instskip(NEXT) | instid1(VALU_DEP_2)
	v_lshl_add_u32 v166, v166, 23, 0x3b800000
	v_cndmask_b32_e32 v165, v165, v167, vcc_lo
	v_and_b32_e32 v167, 0x80000000, v177
	s_delay_alu instid0(VALU_DEP_2) | instskip(NEXT) | instid1(VALU_DEP_1)
	v_lshlrev_b32_e32 v165, 20, v165
	v_or3_b32 v165, v167, v166, v165
.LBB2_1535:                             ;   in Loop: Header=BB2_1120 Depth=4
	s_or_b32 exec_lo, exec_lo, s38
	s_delay_alu instid0(VALU_DEP_1) | instskip(SKIP_1) | instid1(VALU_DEP_1)
	v_dual_max_f32 v165, v165, v165 :: v_dual_max_f32 v164, v164, v164
	s_mov_b32 s14, 0
	v_max_f32_e32 v164, v164, v165
	s_branch .LBB2_1537
.LBB2_1536:                             ;   in Loop: Header=BB2_1120 Depth=4
	s_mov_b32 s14, -1
                                        ; implicit-def: $vgpr164
.LBB2_1537:                             ;   in Loop: Header=BB2_1120 Depth=4
	s_delay_alu instid0(SALU_CYCLE_1)
	s_and_b32 vcc_lo, exec_lo, s14
	s_cbranch_vccz .LBB2_1547
; %bb.1538:                             ;   in Loop: Header=BB2_1120 Depth=4
	v_and_b32_e32 v165, 0xff, v163
	s_mov_b32 s14, 0
	s_mov_b32 s39, exec_lo
                                        ; implicit-def: $sgpr38
	s_delay_alu instid0(VALU_DEP_1)
	v_cmpx_lt_i16_e64 0x7f, v165
	s_xor_b32 s39, exec_lo, s39
	s_cbranch_execnz .LBB2_1814
; %bb.1539:                             ;   in Loop: Header=BB2_1120 Depth=4
	s_or_saveexec_b32 s39, s39
	v_mov_b32_e32 v164, s38
	s_xor_b32 exec_lo, exec_lo, s39
	s_cbranch_execnz .LBB2_1817
.LBB2_1540:                             ;   in Loop: Header=BB2_1120 Depth=4
	s_or_b32 exec_lo, exec_lo, s39
	s_and_saveexec_b32 s38, s14
	s_cbranch_execz .LBB2_1542
.LBB2_1541:                             ;   in Loop: Header=BB2_1120 Depth=4
	v_bfe_u32 v164, v15, 16, 3
	v_bfe_u32 v167, v15, 19, 4
	s_delay_alu instid0(VALU_DEP_2) | instskip(NEXT) | instid1(VALU_DEP_2)
	v_clz_i32_u32_e32 v165, v164
	v_cmp_eq_u32_e32 vcc_lo, 0, v167
	s_delay_alu instid0(VALU_DEP_2) | instskip(NEXT) | instid1(VALU_DEP_1)
	v_min_u32_e32 v165, 32, v165
	v_subrev_nc_u32_e32 v166, 28, v165
	v_sub_nc_u32_e32 v165, 29, v165
	s_delay_alu instid0(VALU_DEP_1) | instskip(NEXT) | instid1(VALU_DEP_1)
	v_dual_cndmask_b32 v165, v167, v165 :: v_dual_lshlrev_b32 v166, v166, v163
	v_and_b32_e32 v166, 7, v166
	v_lshlrev_b32_e32 v163, 24, v163
	s_delay_alu instid0(VALU_DEP_3) | instskip(NEXT) | instid1(VALU_DEP_2)
	v_lshl_add_u32 v165, v165, 23, 0x3b800000
	v_dual_cndmask_b32 v164, v164, v166 :: v_dual_and_b32 v163, 0x80000000, v163
	s_delay_alu instid0(VALU_DEP_1) | instskip(NEXT) | instid1(VALU_DEP_1)
	v_lshlrev_b32_e32 v164, 20, v164
	v_or3_b32 v164, v163, v165, v164
.LBB2_1542:                             ;   in Loop: Header=BB2_1120 Depth=4
	s_or_b32 exec_lo, exec_lo, s38
	v_and_b32_e32 v165, 0xff, v162
	s_mov_b32 s14, 0
	s_mov_b32 s39, exec_lo
                                        ; implicit-def: $sgpr38
	s_delay_alu instid0(VALU_DEP_1)
	v_cmpx_lt_i16_e64 0x7f, v165
	s_xor_b32 s39, exec_lo, s39
	s_cbranch_execnz .LBB2_1818
; %bb.1543:                             ;   in Loop: Header=BB2_1120 Depth=4
	s_or_saveexec_b32 s39, s39
	v_mov_b32_e32 v163, s38
	s_xor_b32 exec_lo, exec_lo, s39
	s_cbranch_execnz .LBB2_1821
.LBB2_1544:                             ;   in Loop: Header=BB2_1120 Depth=4
	s_or_b32 exec_lo, exec_lo, s39
	s_and_saveexec_b32 s38, s14
	s_cbranch_execz .LBB2_1546
.LBB2_1545:                             ;   in Loop: Header=BB2_1120 Depth=4
	v_bfe_u32 v163, v11, 16, 3
	v_bfe_u32 v167, v11, 19, 4
	s_delay_alu instid0(VALU_DEP_2) | instskip(NEXT) | instid1(VALU_DEP_2)
	v_clz_i32_u32_e32 v165, v163
	v_cmp_eq_u32_e32 vcc_lo, 0, v167
	s_delay_alu instid0(VALU_DEP_2) | instskip(NEXT) | instid1(VALU_DEP_1)
	v_min_u32_e32 v165, 32, v165
	v_subrev_nc_u32_e32 v166, 28, v165
	v_sub_nc_u32_e32 v165, 29, v165
	s_delay_alu instid0(VALU_DEP_1) | instskip(SKIP_1) | instid1(VALU_DEP_2)
	v_dual_cndmask_b32 v165, v167, v165 :: v_dual_lshlrev_b32 v166, v166, v162
	v_lshlrev_b32_e32 v162, 24, v162
	v_and_b32_e32 v166, 7, v166
	s_delay_alu instid0(VALU_DEP_3) | instskip(NEXT) | instid1(VALU_DEP_3)
	v_lshl_add_u32 v165, v165, 23, 0x3b800000
	v_and_b32_e32 v162, 0x80000000, v162
	s_delay_alu instid0(VALU_DEP_3) | instskip(NEXT) | instid1(VALU_DEP_1)
	v_cndmask_b32_e32 v163, v163, v166, vcc_lo
	v_lshlrev_b32_e32 v163, 20, v163
	s_delay_alu instid0(VALU_DEP_1)
	v_or3_b32 v163, v162, v165, v163
.LBB2_1546:                             ;   in Loop: Header=BB2_1120 Depth=4
	s_or_b32 exec_lo, exec_lo, s38
	s_delay_alu instid0(VALU_DEP_1) | instskip(NEXT) | instid1(VALU_DEP_1)
	v_dual_max_f32 v162, v163, v163 :: v_dual_max_f32 v163, v164, v164
	v_min_f32_e32 v164, v163, v162
.LBB2_1547:                             ;   in Loop: Header=BB2_1120 Depth=4
	s_delay_alu instid0(VALU_DEP_1) | instskip(NEXT) | instid1(VALU_DEP_1)
	v_and_b32_e32 v162, 0x7f800000, v164
	v_cmp_ne_u32_e32 vcc_lo, 0x7f800000, v162
	v_mov_b32_e32 v162, 0x80
	s_and_saveexec_b32 s38, vcc_lo
	s_cbranch_execz .LBB2_1555
; %bb.1548:                             ;   in Loop: Header=BB2_1120 Depth=4
	v_mov_b32_e32 v162, 0
	s_mov_b32 s39, exec_lo
	v_cmpx_ne_u32_e32 0, v164
	s_cbranch_execz .LBB2_1554
; %bb.1549:                             ;   in Loop: Header=BB2_1120 Depth=4
	v_bfe_u32 v162, v164, 23, 8
	v_and_b32_e32 v163, 0x7fffff, v164
	s_delay_alu instid0(VALU_DEP_2) | instskip(SKIP_1) | instid1(VALU_DEP_3)
	v_sub_nc_u32_e32 v165, 0x78, v162
	v_cmp_gt_u32_e32 vcc_lo, 0x79, v162
	v_or_b32_e32 v166, 0x800000, v163
	s_delay_alu instid0(VALU_DEP_3) | instskip(SKIP_2) | instid1(VALU_DEP_3)
	v_cndmask_b32_e32 v165, 0, v165, vcc_lo
	v_cmp_eq_u32_e32 vcc_lo, 0, v162
	v_add_nc_u32_e32 v162, 0xffffff89, v162
	v_cndmask_b32_e64 v165, v165, 0x77, vcc_lo
	v_cndmask_b32_e32 v163, v166, v163, vcc_lo
	s_delay_alu instid0(VALU_DEP_3) | instskip(NEXT) | instid1(VALU_DEP_3)
	v_cndmask_b32_e64 v162, v162, 0xffffff8a, vcc_lo
	v_lshl_add_u32 v166, 0x100000, v165, -1
	s_delay_alu instid0(VALU_DEP_3) | instskip(SKIP_1) | instid1(VALU_DEP_4)
	v_lshrrev_b32_e32 v167, v165, v163
	v_lshlrev_b32_e64 v177, v165, 0x80000
	v_add_nc_u32_e32 v165, v165, v162
	s_delay_alu instid0(VALU_DEP_4) | instskip(NEXT) | instid1(VALU_DEP_4)
	v_and_b32_e32 v163, v166, v163
	v_bfe_u32 v176, v167, 20, 1
	s_delay_alu instid0(VALU_DEP_2) | instskip(NEXT) | instid1(VALU_DEP_2)
	v_cmp_eq_u32_e64 s14, v163, v177
	v_add_nc_u32_e32 v166, -1, v176
	s_delay_alu instid0(VALU_DEP_1) | instskip(SKIP_2) | instid1(VALU_DEP_2)
	v_cndmask_b32_e64 v163, 0, v166, s14
	v_lshrrev_b32_e32 v166, 23, v167
	s_mov_b32 s14, exec_lo
	v_add_nc_u32_e32 v163, v163, v167
	s_delay_alu instid0(VALU_DEP_2) | instskip(NEXT) | instid1(VALU_DEP_2)
	v_xor_b32_e32 v166, 1, v166
	v_and_b32_e32 v162, 0xfffff, v163
	s_delay_alu instid0(VALU_DEP_1) | instskip(NEXT) | instid1(VALU_DEP_3)
	v_add_nc_u32_e32 v163, v162, v167
                                        ; implicit-def: $vgpr162
	v_cmpx_ne_u32_e64 v165, v166
	s_xor_b32 s14, exec_lo, s14
; %bb.1550:                             ;   in Loop: Header=BB2_1120 Depth=4
	s_delay_alu instid0(VALU_DEP_2) | instskip(SKIP_2) | instid1(VALU_DEP_2)
	v_cmp_lt_u32_e32 vcc_lo, 0xffffff, v163
	v_sub_nc_u32_e32 v162, v165, v166
	v_cndmask_b32_e64 v165, 0, 1, vcc_lo
	v_add_co_ci_u32_e32 v162, vcc_lo, 0, v162, vcc_lo
	s_delay_alu instid0(VALU_DEP_2)
	v_lshrrev_b32_e32 v163, v165, v163
; %bb.1551:                             ;   in Loop: Header=BB2_1120 Depth=4
	s_and_not1_saveexec_b32 s14, s14
; %bb.1552:                             ;   in Loop: Header=BB2_1120 Depth=4
	s_delay_alu instid0(VALU_DEP_1)
	v_bfe_u32 v162, v163, 23, 1
; %bb.1553:                             ;   in Loop: Header=BB2_1120 Depth=4
	s_or_b32 exec_lo, exec_lo, s14
	v_lshrrev_b32_e32 v163, 20, v163
	s_delay_alu instid0(VALU_DEP_2) | instskip(SKIP_2) | instid1(VALU_DEP_2)
	v_cmp_gt_i32_e32 vcc_lo, 16, v162
	v_lshrrev_b32_e32 v164, 24, v164
	v_min_i32_e32 v165, 15, v162
	v_dual_cndmask_b32 v163, 7, v163 :: v_dual_and_b32 v164, 0x80, v164
	s_delay_alu instid0(VALU_DEP_1) | instskip(SKIP_1) | instid1(VALU_DEP_2)
	v_or_b32_e32 v162, v162, v163
	v_and_b32_e32 v166, 7, v163
	v_cmp_ne_u32_e32 vcc_lo, 0, v162
	v_lshlrev_b32_e32 v165, 3, v165
	s_delay_alu instid0(VALU_DEP_1) | instskip(NEXT) | instid1(VALU_DEP_1)
	v_and_b32_e32 v165, 0xf8, v165
	v_or3_b32 v163, v165, v164, v166
	s_delay_alu instid0(VALU_DEP_1)
	v_cndmask_b32_e32 v162, 0, v163, vcc_lo
.LBB2_1554:                             ;   in Loop: Header=BB2_1120 Depth=4
	s_or_b32 exec_lo, exec_lo, s39
.LBB2_1555:                             ;   in Loop: Header=BB2_1120 Depth=4
	s_delay_alu instid0(SALU_CYCLE_1)
	s_or_b32 exec_lo, exec_lo, s38
	v_lshrrev_b32_e32 v164, 24, v15
	v_lshrrev_b32_e32 v163, 24, v11
	s_and_b32 vcc_lo, exec_lo, s37
	s_cbranch_vccz .LBB2_1565
; %bb.1556:                             ;   in Loop: Header=BB2_1120 Depth=4
	s_mov_b32 s14, 0
	s_mov_b32 s39, exec_lo
                                        ; implicit-def: $sgpr38
	v_cmpx_lt_i16_e64 0x7f, v164
	s_xor_b32 s39, exec_lo, s39
	s_cbranch_execnz .LBB2_1822
; %bb.1557:                             ;   in Loop: Header=BB2_1120 Depth=4
	s_or_saveexec_b32 s39, s39
	v_mov_b32_e32 v165, s38
	s_xor_b32 exec_lo, exec_lo, s39
	s_cbranch_execnz .LBB2_1825
.LBB2_1558:                             ;   in Loop: Header=BB2_1120 Depth=4
	s_or_b32 exec_lo, exec_lo, s39
	s_and_saveexec_b32 s38, s14
	s_cbranch_execz .LBB2_1560
.LBB2_1559:                             ;   in Loop: Header=BB2_1120 Depth=4
	v_bfe_u32 v165, v15, 24, 3
	v_bfe_u32 v176, v15, 27, 4
	s_delay_alu instid0(VALU_DEP_2) | instskip(NEXT) | instid1(VALU_DEP_2)
	v_clz_i32_u32_e32 v166, v165
	v_cmp_eq_u32_e32 vcc_lo, 0, v176
	s_delay_alu instid0(VALU_DEP_2) | instskip(NEXT) | instid1(VALU_DEP_1)
	v_min_u32_e32 v166, 32, v166
	v_subrev_nc_u32_e32 v167, 28, v166
	v_sub_nc_u32_e32 v166, 29, v166
	s_delay_alu instid0(VALU_DEP_1) | instskip(NEXT) | instid1(VALU_DEP_1)
	v_dual_cndmask_b32 v166, v176, v166 :: v_dual_lshlrev_b32 v167, v167, v164
	v_and_b32_e32 v167, 7, v167
	s_delay_alu instid0(VALU_DEP_2) | instskip(NEXT) | instid1(VALU_DEP_2)
	v_lshl_add_u32 v166, v166, 23, 0x3b800000
	v_cndmask_b32_e32 v165, v165, v167, vcc_lo
	v_and_b32_e32 v167, 0x80000000, v15
	s_delay_alu instid0(VALU_DEP_2) | instskip(NEXT) | instid1(VALU_DEP_1)
	v_lshlrev_b32_e32 v165, 20, v165
	v_or3_b32 v165, v167, v166, v165
.LBB2_1560:                             ;   in Loop: Header=BB2_1120 Depth=4
	s_or_b32 exec_lo, exec_lo, s38
	s_mov_b32 s14, 0
	s_mov_b32 s39, exec_lo
                                        ; implicit-def: $sgpr38
	v_cmpx_lt_i16_e64 0x7f, v163
	s_xor_b32 s39, exec_lo, s39
	s_cbranch_execnz .LBB2_1826
; %bb.1561:                             ;   in Loop: Header=BB2_1120 Depth=4
	s_or_saveexec_b32 s39, s39
	v_mov_b32_e32 v166, s38
	s_xor_b32 exec_lo, exec_lo, s39
	s_cbranch_execnz .LBB2_1829
.LBB2_1562:                             ;   in Loop: Header=BB2_1120 Depth=4
	s_or_b32 exec_lo, exec_lo, s39
	s_and_saveexec_b32 s38, s14
	s_cbranch_execz .LBB2_1564
.LBB2_1563:                             ;   in Loop: Header=BB2_1120 Depth=4
	v_bfe_u32 v166, v11, 24, 3
	v_bfe_u32 v177, v11, 27, 4
	s_delay_alu instid0(VALU_DEP_2) | instskip(NEXT) | instid1(VALU_DEP_2)
	v_clz_i32_u32_e32 v167, v166
	v_cmp_eq_u32_e32 vcc_lo, 0, v177
	s_delay_alu instid0(VALU_DEP_2) | instskip(NEXT) | instid1(VALU_DEP_1)
	v_min_u32_e32 v167, 32, v167
	v_subrev_nc_u32_e32 v176, 28, v167
	v_sub_nc_u32_e32 v167, 29, v167
	s_delay_alu instid0(VALU_DEP_2) | instskip(NEXT) | instid1(VALU_DEP_1)
	v_lshlrev_b32_e32 v176, v176, v163
	v_dual_cndmask_b32 v167, v177, v167 :: v_dual_and_b32 v176, 7, v176
	s_delay_alu instid0(VALU_DEP_1) | instskip(NEXT) | instid1(VALU_DEP_2)
	v_lshl_add_u32 v167, v167, 23, 0x3b800000
	v_cndmask_b32_e32 v166, v166, v176, vcc_lo
	v_and_b32_e32 v176, 0x80000000, v11
	s_delay_alu instid0(VALU_DEP_2) | instskip(NEXT) | instid1(VALU_DEP_1)
	v_lshlrev_b32_e32 v166, 20, v166
	v_or3_b32 v166, v176, v167, v166
.LBB2_1564:                             ;   in Loop: Header=BB2_1120 Depth=4
	s_or_b32 exec_lo, exec_lo, s38
	s_delay_alu instid0(VALU_DEP_1) | instskip(SKIP_1) | instid1(VALU_DEP_1)
	v_dual_max_f32 v166, v166, v166 :: v_dual_max_f32 v165, v165, v165
	s_mov_b32 s14, 0
	v_max_f32_e32 v165, v165, v166
	s_branch .LBB2_1566
.LBB2_1565:                             ;   in Loop: Header=BB2_1120 Depth=4
	s_mov_b32 s14, -1
                                        ; implicit-def: $vgpr165
.LBB2_1566:                             ;   in Loop: Header=BB2_1120 Depth=4
	s_delay_alu instid0(SALU_CYCLE_1)
	s_and_b32 vcc_lo, exec_lo, s14
	s_cbranch_vccz .LBB2_1576
; %bb.1567:                             ;   in Loop: Header=BB2_1120 Depth=4
	s_mov_b32 s14, 0
	s_mov_b32 s39, exec_lo
                                        ; implicit-def: $sgpr38
	v_cmpx_lt_i16_e64 0x7f, v164
	s_xor_b32 s39, exec_lo, s39
	s_cbranch_execnz .LBB2_1830
; %bb.1568:                             ;   in Loop: Header=BB2_1120 Depth=4
	s_or_saveexec_b32 s39, s39
	v_mov_b32_e32 v165, s38
	s_xor_b32 exec_lo, exec_lo, s39
	s_cbranch_execnz .LBB2_1833
.LBB2_1569:                             ;   in Loop: Header=BB2_1120 Depth=4
	s_or_b32 exec_lo, exec_lo, s39
	s_and_saveexec_b32 s38, s14
	s_cbranch_execz .LBB2_1571
.LBB2_1570:                             ;   in Loop: Header=BB2_1120 Depth=4
	v_bfe_u32 v165, v15, 24, 3
	s_delay_alu instid0(VALU_DEP_1) | instskip(NEXT) | instid1(VALU_DEP_1)
	v_clz_i32_u32_e32 v166, v165
	v_min_u32_e32 v166, 32, v166
	s_delay_alu instid0(VALU_DEP_1) | instskip(SKIP_1) | instid1(VALU_DEP_2)
	v_subrev_nc_u32_e32 v167, 28, v166
	v_sub_nc_u32_e32 v166, 29, v166
	v_lshlrev_b32_e32 v164, v167, v164
	v_bfe_u32 v167, v15, 27, 4
	v_and_b32_e32 v15, 0x80000000, v15
	s_delay_alu instid0(VALU_DEP_3) | instskip(NEXT) | instid1(VALU_DEP_3)
	v_and_b32_e32 v164, 7, v164
	v_cmp_eq_u32_e32 vcc_lo, 0, v167
	v_cndmask_b32_e32 v166, v167, v166, vcc_lo
	s_delay_alu instid0(VALU_DEP_3) | instskip(NEXT) | instid1(VALU_DEP_2)
	v_cndmask_b32_e32 v164, v165, v164, vcc_lo
	v_lshl_add_u32 v165, v166, 23, 0x3b800000
	s_delay_alu instid0(VALU_DEP_2) | instskip(NEXT) | instid1(VALU_DEP_1)
	v_lshlrev_b32_e32 v164, 20, v164
	v_or3_b32 v165, v15, v165, v164
.LBB2_1571:                             ;   in Loop: Header=BB2_1120 Depth=4
	s_or_b32 exec_lo, exec_lo, s38
	s_mov_b32 s14, 0
	s_mov_b32 s39, exec_lo
                                        ; implicit-def: $sgpr38
	v_cmpx_lt_i16_e64 0x7f, v163
	s_xor_b32 s39, exec_lo, s39
	s_cbranch_execnz .LBB2_1834
; %bb.1572:                             ;   in Loop: Header=BB2_1120 Depth=4
	s_or_saveexec_b32 s39, s39
	v_mov_b32_e32 v15, s38
	s_xor_b32 exec_lo, exec_lo, s39
	s_cbranch_execnz .LBB2_1837
.LBB2_1573:                             ;   in Loop: Header=BB2_1120 Depth=4
	s_or_b32 exec_lo, exec_lo, s39
	s_and_saveexec_b32 s38, s14
	s_cbranch_execz .LBB2_1575
.LBB2_1574:                             ;   in Loop: Header=BB2_1120 Depth=4
	v_bfe_u32 v15, v11, 24, 3
	s_delay_alu instid0(VALU_DEP_1) | instskip(NEXT) | instid1(VALU_DEP_1)
	v_clz_i32_u32_e32 v164, v15
	v_min_u32_e32 v164, 32, v164
	s_delay_alu instid0(VALU_DEP_1) | instskip(SKIP_1) | instid1(VALU_DEP_2)
	v_subrev_nc_u32_e32 v166, 28, v164
	v_sub_nc_u32_e32 v164, 29, v164
	v_lshlrev_b32_e32 v163, v166, v163
	v_bfe_u32 v166, v11, 27, 4
	v_and_b32_e32 v11, 0x80000000, v11
	s_delay_alu instid0(VALU_DEP_2) | instskip(NEXT) | instid1(VALU_DEP_4)
	v_cmp_eq_u32_e32 vcc_lo, 0, v166
	v_dual_cndmask_b32 v164, v166, v164 :: v_dual_and_b32 v163, 7, v163
	s_delay_alu instid0(VALU_DEP_1) | instskip(NEXT) | instid1(VALU_DEP_2)
	v_cndmask_b32_e32 v15, v15, v163, vcc_lo
	v_lshl_add_u32 v163, v164, 23, 0x3b800000
	s_delay_alu instid0(VALU_DEP_2) | instskip(NEXT) | instid1(VALU_DEP_1)
	v_lshlrev_b32_e32 v15, 20, v15
	v_or3_b32 v15, v11, v163, v15
.LBB2_1575:                             ;   in Loop: Header=BB2_1120 Depth=4
	s_or_b32 exec_lo, exec_lo, s38
	s_delay_alu instid0(VALU_DEP_1) | instskip(SKIP_1) | instid1(VALU_DEP_1)
	v_max_f32_e32 v11, v15, v15
	v_max_f32_e32 v15, v165, v165
	v_min_f32_e32 v165, v15, v11
.LBB2_1576:                             ;   in Loop: Header=BB2_1120 Depth=4
	s_delay_alu instid0(VALU_DEP_1) | instskip(NEXT) | instid1(VALU_DEP_1)
	v_and_b32_e32 v11, 0x7f800000, v165
	v_cmp_ne_u32_e32 vcc_lo, 0x7f800000, v11
	v_mov_b32_e32 v11, 0x8000
	s_and_saveexec_b32 s38, vcc_lo
	s_cbranch_execz .LBB2_1119
; %bb.1577:                             ;   in Loop: Header=BB2_1120 Depth=4
	v_mov_b32_e32 v11, 0
	s_mov_b32 s39, exec_lo
	v_cmpx_ne_u32_e32 0, v165
	s_cbranch_execz .LBB2_1118
; %bb.1578:                             ;   in Loop: Header=BB2_1120 Depth=4
	v_bfe_u32 v11, v165, 23, 8
	v_and_b32_e32 v15, 0x7fffff, v165
	s_delay_alu instid0(VALU_DEP_2) | instskip(SKIP_1) | instid1(VALU_DEP_3)
	v_sub_nc_u32_e32 v163, 0x78, v11
	v_cmp_gt_u32_e32 vcc_lo, 0x79, v11
	v_or_b32_e32 v164, 0x800000, v15
	s_delay_alu instid0(VALU_DEP_3) | instskip(SKIP_2) | instid1(VALU_DEP_3)
	v_cndmask_b32_e32 v163, 0, v163, vcc_lo
	v_cmp_eq_u32_e32 vcc_lo, 0, v11
	v_add_nc_u32_e32 v11, 0xffffff89, v11
	v_cndmask_b32_e64 v163, v163, 0x77, vcc_lo
	v_cndmask_b32_e32 v15, v164, v15, vcc_lo
	s_delay_alu instid0(VALU_DEP_3) | instskip(NEXT) | instid1(VALU_DEP_3)
	v_cndmask_b32_e64 v11, v11, 0xffffff8a, vcc_lo
	v_lshl_add_u32 v164, 0x100000, v163, -1
	s_delay_alu instid0(VALU_DEP_3) | instskip(SKIP_1) | instid1(VALU_DEP_4)
	v_lshrrev_b32_e32 v166, v163, v15
	v_lshlrev_b32_e64 v176, v163, 0x80000
	v_add_nc_u32_e32 v163, v163, v11
	s_delay_alu instid0(VALU_DEP_4) | instskip(NEXT) | instid1(VALU_DEP_4)
	v_and_b32_e32 v15, v164, v15
	v_bfe_u32 v167, v166, 20, 1
	s_delay_alu instid0(VALU_DEP_2) | instskip(NEXT) | instid1(VALU_DEP_2)
	v_cmp_eq_u32_e64 s14, v15, v176
	v_add_nc_u32_e32 v164, -1, v167
	s_delay_alu instid0(VALU_DEP_1) | instskip(SKIP_2) | instid1(VALU_DEP_2)
	v_cndmask_b32_e64 v15, 0, v164, s14
	v_lshrrev_b32_e32 v164, 23, v166
	s_mov_b32 s14, exec_lo
	v_add_nc_u32_e32 v15, v15, v166
	s_delay_alu instid0(VALU_DEP_2) | instskip(NEXT) | instid1(VALU_DEP_2)
	v_xor_b32_e32 v164, 1, v164
	v_and_b32_e32 v11, 0xfffff, v15
	s_delay_alu instid0(VALU_DEP_1) | instskip(NEXT) | instid1(VALU_DEP_3)
	v_add_nc_u32_e32 v15, v11, v166
                                        ; implicit-def: $vgpr11
	v_cmpx_ne_u32_e64 v163, v164
	s_xor_b32 s14, exec_lo, s14
; %bb.1579:                             ;   in Loop: Header=BB2_1120 Depth=4
	s_delay_alu instid0(VALU_DEP_2) | instskip(SKIP_2) | instid1(VALU_DEP_2)
	v_cmp_lt_u32_e32 vcc_lo, 0xffffff, v15
	v_sub_nc_u32_e32 v11, v163, v164
	v_cndmask_b32_e64 v163, 0, 1, vcc_lo
	v_add_co_ci_u32_e32 v11, vcc_lo, 0, v11, vcc_lo
	s_delay_alu instid0(VALU_DEP_2)
	v_lshrrev_b32_e32 v15, v163, v15
; %bb.1580:                             ;   in Loop: Header=BB2_1120 Depth=4
	s_and_not1_saveexec_b32 s14, s14
	s_cbranch_execz .LBB2_1117
; %bb.1581:                             ;   in Loop: Header=BB2_1120 Depth=4
	s_delay_alu instid0(VALU_DEP_1)
	v_bfe_u32 v11, v15, 23, 1
	s_branch .LBB2_1117
.LBB2_1582:                             ;   in Loop: Header=BB2_1120 Depth=4
	s_mov_b32 s14, -1
	s_mov_b32 s40, exec_lo
                                        ; implicit-def: $sgpr38
	v_cmpx_eq_u16_e64 0x80, v147
; %bb.1583:                             ;   in Loop: Header=BB2_1120 Depth=4
	s_mov_b32 s38, 0x7f800001
	s_xor_b32 s14, exec_lo, -1
; %bb.1584:                             ;   in Loop: Header=BB2_1120 Depth=4
	s_or_b32 exec_lo, exec_lo, s40
	s_delay_alu instid0(SALU_CYCLE_1)
	s_and_b32 s14, s14, exec_lo
                                        ; implicit-def: $vgpr147
	s_or_saveexec_b32 s39, s39
	v_mov_b32_e32 v146, s38
	s_xor_b32 exec_lo, exec_lo, s39
	s_cbranch_execz .LBB2_1123
.LBB2_1585:                             ;   in Loop: Header=BB2_1120 Depth=4
	v_cmp_ne_u16_e64 vcc_lo, 0, v147
	v_mov_b32_e32 v146, 0
	s_and_not1_b32 s14, s14, exec_lo
	s_delay_alu instid0(VALU_DEP_2) | instskip(NEXT) | instid1(SALU_CYCLE_1)
	s_and_b32 vcc_lo, vcc_lo, exec_lo
	s_or_b32 s14, s14, vcc_lo
	s_or_b32 exec_lo, exec_lo, s39
	s_and_saveexec_b32 s38, s14
	s_cbranch_execnz .LBB2_1124
	s_branch .LBB2_1125
.LBB2_1586:                             ;   in Loop: Header=BB2_1120 Depth=4
	s_mov_b32 s14, -1
	s_mov_b32 s40, exec_lo
                                        ; implicit-def: $sgpr38
	v_cmpx_eq_u16_e64 0x80, v148
; %bb.1587:                             ;   in Loop: Header=BB2_1120 Depth=4
	s_mov_b32 s38, 0x7f800001
	s_xor_b32 s14, exec_lo, -1
; %bb.1588:                             ;   in Loop: Header=BB2_1120 Depth=4
	s_or_b32 exec_lo, exec_lo, s40
	s_delay_alu instid0(SALU_CYCLE_1)
	s_and_b32 s14, s14, exec_lo
                                        ; implicit-def: $vgpr148
	s_or_saveexec_b32 s39, s39
	v_mov_b32_e32 v147, s38
	s_xor_b32 exec_lo, exec_lo, s39
	s_cbranch_execz .LBB2_1127
.LBB2_1589:                             ;   in Loop: Header=BB2_1120 Depth=4
	v_cmp_ne_u16_e64 vcc_lo, 0, v148
	v_mov_b32_e32 v147, 0
	s_and_not1_b32 s14, s14, exec_lo
	s_delay_alu instid0(VALU_DEP_2) | instskip(NEXT) | instid1(SALU_CYCLE_1)
	s_and_b32 vcc_lo, vcc_lo, exec_lo
	s_or_b32 s14, s14, vcc_lo
	s_or_b32 exec_lo, exec_lo, s39
	s_and_saveexec_b32 s38, s14
	s_cbranch_execnz .LBB2_1128
	s_branch .LBB2_1129
.LBB2_1590:                             ;   in Loop: Header=BB2_1120 Depth=4
	s_mov_b32 s14, -1
	s_mov_b32 s40, exec_lo
                                        ; implicit-def: $sgpr38
	v_cmpx_eq_u16_e64 0x80, v147
; %bb.1591:                             ;   in Loop: Header=BB2_1120 Depth=4
	s_mov_b32 s38, 0x7f800001
	s_xor_b32 s14, exec_lo, -1
; %bb.1592:                             ;   in Loop: Header=BB2_1120 Depth=4
	s_or_b32 exec_lo, exec_lo, s40
	s_delay_alu instid0(SALU_CYCLE_1)
	s_and_b32 s14, s14, exec_lo
                                        ; implicit-def: $vgpr147
	s_or_saveexec_b32 s39, s39
	v_mov_b32_e32 v146, s38
	s_xor_b32 exec_lo, exec_lo, s39
	s_cbranch_execz .LBB2_1134
.LBB2_1593:                             ;   in Loop: Header=BB2_1120 Depth=4
	v_cmp_ne_u16_e64 vcc_lo, 0, v147
	v_mov_b32_e32 v146, 0
	s_and_not1_b32 s14, s14, exec_lo
	s_delay_alu instid0(VALU_DEP_2) | instskip(NEXT) | instid1(SALU_CYCLE_1)
	s_and_b32 vcc_lo, vcc_lo, exec_lo
	s_or_b32 s14, s14, vcc_lo
	s_or_b32 exec_lo, exec_lo, s39
	s_and_saveexec_b32 s38, s14
	s_cbranch_execnz .LBB2_1135
	s_branch .LBB2_1136
.LBB2_1594:                             ;   in Loop: Header=BB2_1120 Depth=4
	s_mov_b32 s14, -1
	s_mov_b32 s40, exec_lo
                                        ; implicit-def: $sgpr38
	v_cmpx_eq_u16_e64 0x80, v148
; %bb.1595:                             ;   in Loop: Header=BB2_1120 Depth=4
	s_mov_b32 s38, 0x7f800001
	s_xor_b32 s14, exec_lo, -1
; %bb.1596:                             ;   in Loop: Header=BB2_1120 Depth=4
	s_or_b32 exec_lo, exec_lo, s40
	s_delay_alu instid0(SALU_CYCLE_1)
	s_and_b32 s14, s14, exec_lo
                                        ; implicit-def: $vgpr148
	s_or_saveexec_b32 s39, s39
	v_mov_b32_e32 v147, s38
	s_xor_b32 exec_lo, exec_lo, s39
	s_cbranch_execz .LBB2_1138
.LBB2_1597:                             ;   in Loop: Header=BB2_1120 Depth=4
	v_cmp_ne_u16_e64 vcc_lo, 0, v148
	v_mov_b32_e32 v147, 0
	s_and_not1_b32 s14, s14, exec_lo
	s_delay_alu instid0(VALU_DEP_2) | instskip(NEXT) | instid1(SALU_CYCLE_1)
	s_and_b32 vcc_lo, vcc_lo, exec_lo
	s_or_b32 s14, s14, vcc_lo
	s_or_b32 exec_lo, exec_lo, s39
	s_and_saveexec_b32 s38, s14
	s_cbranch_execnz .LBB2_1139
	s_branch .LBB2_1140
.LBB2_1598:                             ;   in Loop: Header=BB2_1120 Depth=4
	s_mov_b32 s14, -1
	s_mov_b32 s40, exec_lo
                                        ; implicit-def: $sgpr38
	v_cmpx_eq_u16_e64 0x80, v148
; %bb.1599:                             ;   in Loop: Header=BB2_1120 Depth=4
	s_mov_b32 s38, 0x7f800001
	s_xor_b32 s14, exec_lo, -1
; %bb.1600:                             ;   in Loop: Header=BB2_1120 Depth=4
	s_or_b32 exec_lo, exec_lo, s40
	s_delay_alu instid0(SALU_CYCLE_1)
	s_and_b32 s14, s14, exec_lo
	s_or_saveexec_b32 s39, s39
	v_mov_b32_e32 v149, s38
	s_xor_b32 exec_lo, exec_lo, s39
	s_cbranch_execz .LBB2_1152
.LBB2_1601:                             ;   in Loop: Header=BB2_1120 Depth=4
	v_cmp_ne_u16_e64 vcc_lo, 0, v148
	v_mov_b32_e32 v149, 0
	s_and_not1_b32 s14, s14, exec_lo
	s_delay_alu instid0(VALU_DEP_2) | instskip(NEXT) | instid1(SALU_CYCLE_1)
	s_and_b32 vcc_lo, vcc_lo, exec_lo
	s_or_b32 s14, s14, vcc_lo
	s_or_b32 exec_lo, exec_lo, s39
	s_and_saveexec_b32 s38, s14
	s_cbranch_execnz .LBB2_1153
	s_branch .LBB2_1154
.LBB2_1602:                             ;   in Loop: Header=BB2_1120 Depth=4
	s_mov_b32 s14, -1
	s_mov_b32 s40, exec_lo
                                        ; implicit-def: $sgpr38
	v_cmpx_eq_u16_e64 0x80, v147
; %bb.1603:                             ;   in Loop: Header=BB2_1120 Depth=4
	s_mov_b32 s38, 0x7f800001
	s_xor_b32 s14, exec_lo, -1
; %bb.1604:                             ;   in Loop: Header=BB2_1120 Depth=4
	s_or_b32 exec_lo, exec_lo, s40
	s_delay_alu instid0(SALU_CYCLE_1)
	s_and_b32 s14, s14, exec_lo
	s_or_saveexec_b32 s39, s39
	v_mov_b32_e32 v150, s38
	s_xor_b32 exec_lo, exec_lo, s39
	s_cbranch_execz .LBB2_1156
.LBB2_1605:                             ;   in Loop: Header=BB2_1120 Depth=4
	v_cmp_ne_u16_e64 vcc_lo, 0, v147
	v_mov_b32_e32 v150, 0
	s_and_not1_b32 s14, s14, exec_lo
	s_delay_alu instid0(VALU_DEP_2) | instskip(NEXT) | instid1(SALU_CYCLE_1)
	s_and_b32 vcc_lo, vcc_lo, exec_lo
	s_or_b32 s14, s14, vcc_lo
	s_or_b32 exec_lo, exec_lo, s39
	s_and_saveexec_b32 s38, s14
	s_cbranch_execnz .LBB2_1157
	s_branch .LBB2_1158
.LBB2_1606:                             ;   in Loop: Header=BB2_1120 Depth=4
	s_mov_b32 s14, -1
	s_mov_b32 s40, exec_lo
                                        ; implicit-def: $sgpr38
	v_cmpx_eq_u16_e64 0x80, v148
; %bb.1607:                             ;   in Loop: Header=BB2_1120 Depth=4
	s_mov_b32 s38, 0x7f800001
	s_xor_b32 s14, exec_lo, -1
; %bb.1608:                             ;   in Loop: Header=BB2_1120 Depth=4
	s_or_b32 exec_lo, exec_lo, s40
	s_delay_alu instid0(SALU_CYCLE_1)
	s_and_b32 s14, s14, exec_lo
	s_or_saveexec_b32 s39, s39
	v_mov_b32_e32 v149, s38
	s_xor_b32 exec_lo, exec_lo, s39
	s_cbranch_execz .LBB2_1163
.LBB2_1609:                             ;   in Loop: Header=BB2_1120 Depth=4
	v_cmp_ne_u16_e64 vcc_lo, 0, v148
	v_mov_b32_e32 v149, 0
	s_and_not1_b32 s14, s14, exec_lo
	s_delay_alu instid0(VALU_DEP_2) | instskip(NEXT) | instid1(SALU_CYCLE_1)
	s_and_b32 vcc_lo, vcc_lo, exec_lo
	s_or_b32 s14, s14, vcc_lo
	s_or_b32 exec_lo, exec_lo, s39
	s_and_saveexec_b32 s38, s14
	s_cbranch_execnz .LBB2_1164
	s_branch .LBB2_1165
.LBB2_1610:                             ;   in Loop: Header=BB2_1120 Depth=4
	s_mov_b32 s14, -1
	s_mov_b32 s40, exec_lo
                                        ; implicit-def: $sgpr38
	v_cmpx_eq_u16_e64 0x80, v147
; %bb.1611:                             ;   in Loop: Header=BB2_1120 Depth=4
	s_mov_b32 s38, 0x7f800001
	s_xor_b32 s14, exec_lo, -1
; %bb.1612:                             ;   in Loop: Header=BB2_1120 Depth=4
	s_or_b32 exec_lo, exec_lo, s40
	s_delay_alu instid0(SALU_CYCLE_1)
	s_and_b32 s14, s14, exec_lo
	s_or_saveexec_b32 s39, s39
	v_mov_b32_e32 v148, s38
	s_xor_b32 exec_lo, exec_lo, s39
	s_cbranch_execz .LBB2_1167
.LBB2_1613:                             ;   in Loop: Header=BB2_1120 Depth=4
	v_cmp_ne_u16_e64 vcc_lo, 0, v147
	v_mov_b32_e32 v148, 0
	s_and_not1_b32 s14, s14, exec_lo
	s_delay_alu instid0(VALU_DEP_2) | instskip(NEXT) | instid1(SALU_CYCLE_1)
	s_and_b32 vcc_lo, vcc_lo, exec_lo
	s_or_b32 s14, s14, vcc_lo
	s_or_b32 exec_lo, exec_lo, s39
	s_and_saveexec_b32 s38, s14
	s_cbranch_execnz .LBB2_1168
	s_branch .LBB2_1169
.LBB2_1614:                             ;   in Loop: Header=BB2_1120 Depth=4
	s_mov_b32 s14, -1
	s_mov_b32 s40, exec_lo
                                        ; implicit-def: $sgpr38
	v_cmpx_eq_u16_e64 0x80, v151
; %bb.1615:                             ;   in Loop: Header=BB2_1120 Depth=4
	s_mov_b32 s38, 0x7f800001
	s_xor_b32 s14, exec_lo, -1
; %bb.1616:                             ;   in Loop: Header=BB2_1120 Depth=4
	s_or_b32 exec_lo, exec_lo, s40
	s_delay_alu instid0(SALU_CYCLE_1)
	s_and_b32 s14, s14, exec_lo
                                        ; implicit-def: $vgpr151
	s_or_saveexec_b32 s39, s39
	v_mov_b32_e32 v150, s38
	s_xor_b32 exec_lo, exec_lo, s39
	s_cbranch_execz .LBB2_1181
.LBB2_1617:                             ;   in Loop: Header=BB2_1120 Depth=4
	v_cmp_ne_u16_e64 vcc_lo, 0, v151
	v_mov_b32_e32 v150, 0
	s_and_not1_b32 s14, s14, exec_lo
	s_delay_alu instid0(VALU_DEP_2) | instskip(NEXT) | instid1(SALU_CYCLE_1)
	s_and_b32 vcc_lo, vcc_lo, exec_lo
	s_or_b32 s14, s14, vcc_lo
	s_or_b32 exec_lo, exec_lo, s39
	s_and_saveexec_b32 s38, s14
	s_cbranch_execnz .LBB2_1182
	s_branch .LBB2_1183
.LBB2_1618:                             ;   in Loop: Header=BB2_1120 Depth=4
	s_mov_b32 s14, -1
	s_mov_b32 s40, exec_lo
                                        ; implicit-def: $sgpr38
	v_cmpx_eq_u16_e64 0x80, v160
; %bb.1619:                             ;   in Loop: Header=BB2_1120 Depth=4
	s_mov_b32 s38, 0x7f800001
	s_xor_b32 s14, exec_lo, -1
; %bb.1620:                             ;   in Loop: Header=BB2_1120 Depth=4
	s_or_b32 exec_lo, exec_lo, s40
	s_delay_alu instid0(SALU_CYCLE_1)
	s_and_b32 s14, s14, exec_lo
                                        ; implicit-def: $vgpr160
	s_or_saveexec_b32 s39, s39
	v_mov_b32_e32 v151, s38
	s_xor_b32 exec_lo, exec_lo, s39
	s_cbranch_execz .LBB2_1185
.LBB2_1621:                             ;   in Loop: Header=BB2_1120 Depth=4
	v_cmp_ne_u16_e64 vcc_lo, 0, v160
	v_mov_b32_e32 v151, 0
	s_and_not1_b32 s14, s14, exec_lo
	s_delay_alu instid0(VALU_DEP_2) | instskip(NEXT) | instid1(SALU_CYCLE_1)
	s_and_b32 vcc_lo, vcc_lo, exec_lo
	s_or_b32 s14, s14, vcc_lo
	s_or_b32 exec_lo, exec_lo, s39
	s_and_saveexec_b32 s38, s14
	s_cbranch_execnz .LBB2_1186
	s_branch .LBB2_1187
.LBB2_1622:                             ;   in Loop: Header=BB2_1120 Depth=4
	s_mov_b32 s14, -1
	s_mov_b32 s40, exec_lo
                                        ; implicit-def: $sgpr38
	v_cmpx_eq_u16_e64 0x80, v151
; %bb.1623:                             ;   in Loop: Header=BB2_1120 Depth=4
	s_mov_b32 s38, 0x7f800001
	s_xor_b32 s14, exec_lo, -1
; %bb.1624:                             ;   in Loop: Header=BB2_1120 Depth=4
	s_or_b32 exec_lo, exec_lo, s40
	s_delay_alu instid0(SALU_CYCLE_1)
	s_and_b32 s14, s14, exec_lo
                                        ; implicit-def: $vgpr151
	s_or_saveexec_b32 s39, s39
	v_mov_b32_e32 v150, s38
	s_xor_b32 exec_lo, exec_lo, s39
	s_cbranch_execz .LBB2_1192
.LBB2_1625:                             ;   in Loop: Header=BB2_1120 Depth=4
	v_cmp_ne_u16_e64 vcc_lo, 0, v151
	v_mov_b32_e32 v150, 0
	s_and_not1_b32 s14, s14, exec_lo
	s_delay_alu instid0(VALU_DEP_2) | instskip(NEXT) | instid1(SALU_CYCLE_1)
	s_and_b32 vcc_lo, vcc_lo, exec_lo
	s_or_b32 s14, s14, vcc_lo
	s_or_b32 exec_lo, exec_lo, s39
	s_and_saveexec_b32 s38, s14
	s_cbranch_execnz .LBB2_1193
	s_branch .LBB2_1194
.LBB2_1626:                             ;   in Loop: Header=BB2_1120 Depth=4
	s_mov_b32 s14, -1
	s_mov_b32 s40, exec_lo
                                        ; implicit-def: $sgpr38
	v_cmpx_eq_u16_e64 0x80, v151
; %bb.1627:                             ;   in Loop: Header=BB2_1120 Depth=4
	s_mov_b32 s38, 0x7f800001
	s_xor_b32 s14, exec_lo, -1
; %bb.1628:                             ;   in Loop: Header=BB2_1120 Depth=4
	s_or_b32 exec_lo, exec_lo, s40
	s_delay_alu instid0(SALU_CYCLE_1)
	s_and_b32 s14, s14, exec_lo
                                        ; implicit-def: $vgpr151
	s_or_saveexec_b32 s39, s39
	v_mov_b32_e32 v149, s38
	s_xor_b32 exec_lo, exec_lo, s39
	s_cbranch_execz .LBB2_1196
.LBB2_1629:                             ;   in Loop: Header=BB2_1120 Depth=4
	v_cmp_ne_u16_e64 vcc_lo, 0, v151
	v_mov_b32_e32 v149, 0
	s_and_not1_b32 s14, s14, exec_lo
	s_delay_alu instid0(VALU_DEP_2) | instskip(NEXT) | instid1(SALU_CYCLE_1)
	s_and_b32 vcc_lo, vcc_lo, exec_lo
	s_or_b32 s14, s14, vcc_lo
	s_or_b32 exec_lo, exec_lo, s39
	s_and_saveexec_b32 s38, s14
	s_cbranch_execnz .LBB2_1197
	s_branch .LBB2_1198
.LBB2_1630:                             ;   in Loop: Header=BB2_1120 Depth=4
	s_mov_b32 s14, -1
	s_mov_b32 s40, exec_lo
                                        ; implicit-def: $sgpr38
	v_cmpx_eq_u16_e64 0x80, v150
; %bb.1631:                             ;   in Loop: Header=BB2_1120 Depth=4
	s_mov_b32 s38, 0x7f800001
	s_xor_b32 s14, exec_lo, -1
; %bb.1632:                             ;   in Loop: Header=BB2_1120 Depth=4
	s_or_b32 exec_lo, exec_lo, s40
	s_delay_alu instid0(SALU_CYCLE_1)
	s_and_b32 s14, s14, exec_lo
	s_or_saveexec_b32 s39, s39
	v_mov_b32_e32 v151, s38
	s_xor_b32 exec_lo, exec_lo, s39
	s_cbranch_execz .LBB2_1210
.LBB2_1633:                             ;   in Loop: Header=BB2_1120 Depth=4
	v_cmp_ne_u16_e64 vcc_lo, 0, v150
	v_mov_b32_e32 v151, 0
	s_and_not1_b32 s14, s14, exec_lo
	s_delay_alu instid0(VALU_DEP_2) | instskip(NEXT) | instid1(SALU_CYCLE_1)
	s_and_b32 vcc_lo, vcc_lo, exec_lo
	s_or_b32 s14, s14, vcc_lo
	s_or_b32 exec_lo, exec_lo, s39
	s_and_saveexec_b32 s38, s14
	s_cbranch_execnz .LBB2_1211
	s_branch .LBB2_1212
.LBB2_1634:                             ;   in Loop: Header=BB2_1120 Depth=4
	s_mov_b32 s14, -1
	s_mov_b32 s40, exec_lo
                                        ; implicit-def: $sgpr38
	v_cmpx_eq_u16_e64 0x80, v149
; %bb.1635:                             ;   in Loop: Header=BB2_1120 Depth=4
	s_mov_b32 s38, 0x7f800001
	s_xor_b32 s14, exec_lo, -1
; %bb.1636:                             ;   in Loop: Header=BB2_1120 Depth=4
	s_or_b32 exec_lo, exec_lo, s40
	s_delay_alu instid0(SALU_CYCLE_1)
	s_and_b32 s14, s14, exec_lo
	s_or_saveexec_b32 s39, s39
	v_mov_b32_e32 v160, s38
	s_xor_b32 exec_lo, exec_lo, s39
	s_cbranch_execz .LBB2_1214
.LBB2_1637:                             ;   in Loop: Header=BB2_1120 Depth=4
	v_cmp_ne_u16_e64 vcc_lo, 0, v149
	v_mov_b32_e32 v160, 0
	s_and_not1_b32 s14, s14, exec_lo
	s_delay_alu instid0(VALU_DEP_2) | instskip(NEXT) | instid1(SALU_CYCLE_1)
	s_and_b32 vcc_lo, vcc_lo, exec_lo
	s_or_b32 s14, s14, vcc_lo
	s_or_b32 exec_lo, exec_lo, s39
	s_and_saveexec_b32 s38, s14
	s_cbranch_execnz .LBB2_1215
	s_branch .LBB2_1216
.LBB2_1638:                             ;   in Loop: Header=BB2_1120 Depth=4
	s_mov_b32 s14, -1
	s_mov_b32 s40, exec_lo
                                        ; implicit-def: $sgpr38
	v_cmpx_eq_u16_e64 0x80, v150
; %bb.1639:                             ;   in Loop: Header=BB2_1120 Depth=4
	s_mov_b32 s38, 0x7f800001
	s_xor_b32 s14, exec_lo, -1
; %bb.1640:                             ;   in Loop: Header=BB2_1120 Depth=4
	s_or_b32 exec_lo, exec_lo, s40
	s_delay_alu instid0(SALU_CYCLE_1)
	s_and_b32 s14, s14, exec_lo
	s_or_saveexec_b32 s39, s39
	v_mov_b32_e32 v151, s38
	s_xor_b32 exec_lo, exec_lo, s39
	s_cbranch_execz .LBB2_1221
.LBB2_1641:                             ;   in Loop: Header=BB2_1120 Depth=4
	v_cmp_ne_u16_e64 vcc_lo, 0, v150
	v_mov_b32_e32 v151, 0
	s_and_not1_b32 s14, s14, exec_lo
	s_delay_alu instid0(VALU_DEP_2) | instskip(NEXT) | instid1(SALU_CYCLE_1)
	s_and_b32 vcc_lo, vcc_lo, exec_lo
	s_or_b32 s14, s14, vcc_lo
	s_or_b32 exec_lo, exec_lo, s39
	s_and_saveexec_b32 s38, s14
	s_cbranch_execnz .LBB2_1222
	s_branch .LBB2_1223
.LBB2_1642:                             ;   in Loop: Header=BB2_1120 Depth=4
	s_mov_b32 s14, -1
	s_mov_b32 s40, exec_lo
                                        ; implicit-def: $sgpr38
	v_cmpx_eq_u16_e64 0x80, v149
; %bb.1643:                             ;   in Loop: Header=BB2_1120 Depth=4
	s_mov_b32 s38, 0x7f800001
	s_xor_b32 s14, exec_lo, -1
; %bb.1644:                             ;   in Loop: Header=BB2_1120 Depth=4
	s_or_b32 exec_lo, exec_lo, s40
	s_delay_alu instid0(SALU_CYCLE_1)
	s_and_b32 s14, s14, exec_lo
	s_or_saveexec_b32 s39, s39
	v_mov_b32_e32 v12, s38
	s_xor_b32 exec_lo, exec_lo, s39
	s_cbranch_execz .LBB2_1225
.LBB2_1645:                             ;   in Loop: Header=BB2_1120 Depth=4
	v_cmp_ne_u16_e64 vcc_lo, 0, v149
	v_mov_b32_e32 v12, 0
	s_and_not1_b32 s14, s14, exec_lo
	s_delay_alu instid0(VALU_DEP_2) | instskip(NEXT) | instid1(SALU_CYCLE_1)
	s_and_b32 vcc_lo, vcc_lo, exec_lo
	s_or_b32 s14, s14, vcc_lo
	s_or_b32 exec_lo, exec_lo, s39
	s_and_saveexec_b32 s38, s14
	s_cbranch_execnz .LBB2_1226
	s_branch .LBB2_1227
.LBB2_1646:                             ;   in Loop: Header=BB2_1120 Depth=4
	s_mov_b32 s14, -1
	s_mov_b32 s40, exec_lo
                                        ; implicit-def: $sgpr38
	v_cmpx_eq_u16_e64 0x80, v149
; %bb.1647:                             ;   in Loop: Header=BB2_1120 Depth=4
	s_mov_b32 s38, 0x7f800001
	s_xor_b32 s14, exec_lo, -1
; %bb.1648:                             ;   in Loop: Header=BB2_1120 Depth=4
	s_or_b32 exec_lo, exec_lo, s40
	s_delay_alu instid0(SALU_CYCLE_1)
	s_and_b32 s14, s14, exec_lo
                                        ; implicit-def: $vgpr149
	s_or_saveexec_b32 s39, s39
	v_mov_b32_e32 v12, s38
	s_xor_b32 exec_lo, exec_lo, s39
	s_cbranch_execz .LBB2_1239
.LBB2_1649:                             ;   in Loop: Header=BB2_1120 Depth=4
	v_cmp_ne_u16_e64 vcc_lo, 0, v149
	v_mov_b32_e32 v12, 0
	s_and_not1_b32 s14, s14, exec_lo
	s_delay_alu instid0(VALU_DEP_2) | instskip(NEXT) | instid1(SALU_CYCLE_1)
	s_and_b32 vcc_lo, vcc_lo, exec_lo
	s_or_b32 s14, s14, vcc_lo
	s_or_b32 exec_lo, exec_lo, s39
	s_and_saveexec_b32 s38, s14
	s_cbranch_execnz .LBB2_1240
	s_branch .LBB2_1241
.LBB2_1650:                             ;   in Loop: Header=BB2_1120 Depth=4
	s_mov_b32 s14, -1
	s_mov_b32 s40, exec_lo
                                        ; implicit-def: $sgpr38
	v_cmpx_eq_u16_e64 0x80, v150
; %bb.1651:                             ;   in Loop: Header=BB2_1120 Depth=4
	s_mov_b32 s38, 0x7f800001
	s_xor_b32 s14, exec_lo, -1
; %bb.1652:                             ;   in Loop: Header=BB2_1120 Depth=4
	s_or_b32 exec_lo, exec_lo, s40
	s_delay_alu instid0(SALU_CYCLE_1)
	s_and_b32 s14, s14, exec_lo
                                        ; implicit-def: $vgpr150
	s_or_saveexec_b32 s39, s39
	v_mov_b32_e32 v149, s38
	s_xor_b32 exec_lo, exec_lo, s39
	s_cbranch_execz .LBB2_1243
.LBB2_1653:                             ;   in Loop: Header=BB2_1120 Depth=4
	v_cmp_ne_u16_e64 vcc_lo, 0, v150
	v_mov_b32_e32 v149, 0
	s_and_not1_b32 s14, s14, exec_lo
	s_delay_alu instid0(VALU_DEP_2) | instskip(NEXT) | instid1(SALU_CYCLE_1)
	s_and_b32 vcc_lo, vcc_lo, exec_lo
	s_or_b32 s14, s14, vcc_lo
	s_or_b32 exec_lo, exec_lo, s39
	s_and_saveexec_b32 s38, s14
	s_cbranch_execnz .LBB2_1244
	s_branch .LBB2_1245
.LBB2_1654:                             ;   in Loop: Header=BB2_1120 Depth=4
	s_mov_b32 s14, -1
	s_mov_b32 s40, exec_lo
                                        ; implicit-def: $sgpr38
	v_cmpx_eq_u16_e64 0x80, v149
; %bb.1655:                             ;   in Loop: Header=BB2_1120 Depth=4
	s_mov_b32 s38, 0x7f800001
	s_xor_b32 s14, exec_lo, -1
; %bb.1656:                             ;   in Loop: Header=BB2_1120 Depth=4
	s_or_b32 exec_lo, exec_lo, s40
	s_delay_alu instid0(SALU_CYCLE_1)
	s_and_b32 s14, s14, exec_lo
                                        ; implicit-def: $vgpr149
	s_or_saveexec_b32 s39, s39
	v_mov_b32_e32 v12, s38
	s_xor_b32 exec_lo, exec_lo, s39
	s_cbranch_execz .LBB2_1250
.LBB2_1657:                             ;   in Loop: Header=BB2_1120 Depth=4
	v_cmp_ne_u16_e64 vcc_lo, 0, v149
	v_mov_b32_e32 v12, 0
	s_and_not1_b32 s14, s14, exec_lo
	s_delay_alu instid0(VALU_DEP_2) | instskip(NEXT) | instid1(SALU_CYCLE_1)
	s_and_b32 vcc_lo, vcc_lo, exec_lo
	s_or_b32 s14, s14, vcc_lo
	s_or_b32 exec_lo, exec_lo, s39
	s_and_saveexec_b32 s38, s14
	s_cbranch_execnz .LBB2_1251
	s_branch .LBB2_1252
.LBB2_1658:                             ;   in Loop: Header=BB2_1120 Depth=4
	s_mov_b32 s14, -1
	s_mov_b32 s40, exec_lo
                                        ; implicit-def: $sgpr38
	v_cmpx_eq_u16_e64 0x80, v150
; %bb.1659:                             ;   in Loop: Header=BB2_1120 Depth=4
	s_mov_b32 s38, 0x7f800001
	s_xor_b32 s14, exec_lo, -1
; %bb.1660:                             ;   in Loop: Header=BB2_1120 Depth=4
	s_or_b32 exec_lo, exec_lo, s40
	s_delay_alu instid0(SALU_CYCLE_1)
	s_and_b32 s14, s14, exec_lo
                                        ; implicit-def: $vgpr150
	s_or_saveexec_b32 s39, s39
	v_mov_b32_e32 v149, s38
	s_xor_b32 exec_lo, exec_lo, s39
	s_cbranch_execz .LBB2_1254
.LBB2_1661:                             ;   in Loop: Header=BB2_1120 Depth=4
	v_cmp_ne_u16_e64 vcc_lo, 0, v150
	v_mov_b32_e32 v149, 0
	s_and_not1_b32 s14, s14, exec_lo
	s_delay_alu instid0(VALU_DEP_2) | instskip(NEXT) | instid1(SALU_CYCLE_1)
	s_and_b32 vcc_lo, vcc_lo, exec_lo
	s_or_b32 s14, s14, vcc_lo
	s_or_b32 exec_lo, exec_lo, s39
	s_and_saveexec_b32 s38, s14
	s_cbranch_execnz .LBB2_1255
	s_branch .LBB2_1256
.LBB2_1662:                             ;   in Loop: Header=BB2_1120 Depth=4
	s_mov_b32 s14, -1
	s_mov_b32 s40, exec_lo
                                        ; implicit-def: $sgpr38
	v_cmpx_eq_u16_e64 0x80, v150
; %bb.1663:                             ;   in Loop: Header=BB2_1120 Depth=4
	s_mov_b32 s38, 0x7f800001
	s_xor_b32 s14, exec_lo, -1
; %bb.1664:                             ;   in Loop: Header=BB2_1120 Depth=4
	s_or_b32 exec_lo, exec_lo, s40
	s_delay_alu instid0(SALU_CYCLE_1)
	s_and_b32 s14, s14, exec_lo
	s_or_saveexec_b32 s39, s39
	v_mov_b32_e32 v151, s38
	s_xor_b32 exec_lo, exec_lo, s39
	s_cbranch_execz .LBB2_1268
.LBB2_1665:                             ;   in Loop: Header=BB2_1120 Depth=4
	v_cmp_ne_u16_e64 vcc_lo, 0, v150
	v_mov_b32_e32 v151, 0
	s_and_not1_b32 s14, s14, exec_lo
	s_delay_alu instid0(VALU_DEP_2) | instskip(NEXT) | instid1(SALU_CYCLE_1)
	s_and_b32 vcc_lo, vcc_lo, exec_lo
	s_or_b32 s14, s14, vcc_lo
	s_or_b32 exec_lo, exec_lo, s39
	s_and_saveexec_b32 s38, s14
	s_cbranch_execnz .LBB2_1269
	s_branch .LBB2_1270
.LBB2_1666:                             ;   in Loop: Header=BB2_1120 Depth=4
	s_mov_b32 s14, -1
	s_mov_b32 s40, exec_lo
                                        ; implicit-def: $sgpr38
	v_cmpx_eq_u16_e64 0x80, v149
; %bb.1667:                             ;   in Loop: Header=BB2_1120 Depth=4
	s_mov_b32 s38, 0x7f800001
	s_xor_b32 s14, exec_lo, -1
; %bb.1668:                             ;   in Loop: Header=BB2_1120 Depth=4
	s_or_b32 exec_lo, exec_lo, s40
	s_delay_alu instid0(SALU_CYCLE_1)
	s_and_b32 s14, s14, exec_lo
	s_or_saveexec_b32 s39, s39
	v_mov_b32_e32 v160, s38
	s_xor_b32 exec_lo, exec_lo, s39
	s_cbranch_execz .LBB2_1272
.LBB2_1669:                             ;   in Loop: Header=BB2_1120 Depth=4
	v_cmp_ne_u16_e64 vcc_lo, 0, v149
	v_mov_b32_e32 v160, 0
	s_and_not1_b32 s14, s14, exec_lo
	s_delay_alu instid0(VALU_DEP_2) | instskip(NEXT) | instid1(SALU_CYCLE_1)
	s_and_b32 vcc_lo, vcc_lo, exec_lo
	s_or_b32 s14, s14, vcc_lo
	s_or_b32 exec_lo, exec_lo, s39
	s_and_saveexec_b32 s38, s14
	s_cbranch_execnz .LBB2_1273
	s_branch .LBB2_1274
.LBB2_1670:                             ;   in Loop: Header=BB2_1120 Depth=4
	s_mov_b32 s14, -1
	s_mov_b32 s40, exec_lo
                                        ; implicit-def: $sgpr38
	v_cmpx_eq_u16_e64 0x80, v150
; %bb.1671:                             ;   in Loop: Header=BB2_1120 Depth=4
	s_mov_b32 s38, 0x7f800001
	s_xor_b32 s14, exec_lo, -1
; %bb.1672:                             ;   in Loop: Header=BB2_1120 Depth=4
	s_or_b32 exec_lo, exec_lo, s40
	s_delay_alu instid0(SALU_CYCLE_1)
	s_and_b32 s14, s14, exec_lo
	s_or_saveexec_b32 s39, s39
	v_mov_b32_e32 v151, s38
	s_xor_b32 exec_lo, exec_lo, s39
	s_cbranch_execz .LBB2_1279
.LBB2_1673:                             ;   in Loop: Header=BB2_1120 Depth=4
	v_cmp_ne_u16_e64 vcc_lo, 0, v150
	v_mov_b32_e32 v151, 0
	s_and_not1_b32 s14, s14, exec_lo
	s_delay_alu instid0(VALU_DEP_2) | instskip(NEXT) | instid1(SALU_CYCLE_1)
	s_and_b32 vcc_lo, vcc_lo, exec_lo
	s_or_b32 s14, s14, vcc_lo
	s_or_b32 exec_lo, exec_lo, s39
	s_and_saveexec_b32 s38, s14
	s_cbranch_execnz .LBB2_1280
	s_branch .LBB2_1281
.LBB2_1674:                             ;   in Loop: Header=BB2_1120 Depth=4
	s_mov_b32 s14, -1
	s_mov_b32 s40, exec_lo
                                        ; implicit-def: $sgpr38
	v_cmpx_eq_u16_e64 0x80, v149
; %bb.1675:                             ;   in Loop: Header=BB2_1120 Depth=4
	s_mov_b32 s38, 0x7f800001
	s_xor_b32 s14, exec_lo, -1
; %bb.1676:                             ;   in Loop: Header=BB2_1120 Depth=4
	s_or_b32 exec_lo, exec_lo, s40
	s_delay_alu instid0(SALU_CYCLE_1)
	s_and_b32 s14, s14, exec_lo
	s_or_saveexec_b32 s39, s39
	v_mov_b32_e32 v150, s38
	s_xor_b32 exec_lo, exec_lo, s39
	s_cbranch_execz .LBB2_1283
.LBB2_1677:                             ;   in Loop: Header=BB2_1120 Depth=4
	v_cmp_ne_u16_e64 vcc_lo, 0, v149
	v_mov_b32_e32 v150, 0
	s_and_not1_b32 s14, s14, exec_lo
	s_delay_alu instid0(VALU_DEP_2) | instskip(NEXT) | instid1(SALU_CYCLE_1)
	s_and_b32 vcc_lo, vcc_lo, exec_lo
	s_or_b32 s14, s14, vcc_lo
	s_or_b32 exec_lo, exec_lo, s39
	s_and_saveexec_b32 s38, s14
	s_cbranch_execnz .LBB2_1284
	s_branch .LBB2_1285
.LBB2_1678:                             ;   in Loop: Header=BB2_1120 Depth=4
	s_mov_b32 s14, -1
	s_mov_b32 s40, exec_lo
                                        ; implicit-def: $sgpr38
	v_cmpx_eq_u16_e64 0x80, v161
; %bb.1679:                             ;   in Loop: Header=BB2_1120 Depth=4
	s_mov_b32 s38, 0x7f800001
	s_xor_b32 s14, exec_lo, -1
; %bb.1680:                             ;   in Loop: Header=BB2_1120 Depth=4
	s_or_b32 exec_lo, exec_lo, s40
	s_delay_alu instid0(SALU_CYCLE_1)
	s_and_b32 s14, s14, exec_lo
                                        ; implicit-def: $vgpr161
	s_or_saveexec_b32 s39, s39
	v_mov_b32_e32 v160, s38
	s_xor_b32 exec_lo, exec_lo, s39
	s_cbranch_execz .LBB2_1297
.LBB2_1681:                             ;   in Loop: Header=BB2_1120 Depth=4
	v_cmp_ne_u16_e64 vcc_lo, 0, v161
	v_mov_b32_e32 v160, 0
	s_and_not1_b32 s14, s14, exec_lo
	s_delay_alu instid0(VALU_DEP_2) | instskip(NEXT) | instid1(SALU_CYCLE_1)
	s_and_b32 vcc_lo, vcc_lo, exec_lo
	s_or_b32 s14, s14, vcc_lo
	s_or_b32 exec_lo, exec_lo, s39
	s_and_saveexec_b32 s38, s14
	s_cbranch_execnz .LBB2_1298
	s_branch .LBB2_1299
.LBB2_1682:                             ;   in Loop: Header=BB2_1120 Depth=4
	s_mov_b32 s14, -1
	s_mov_b32 s40, exec_lo
                                        ; implicit-def: $sgpr38
	v_cmpx_eq_u16_e64 0x80, v162
; %bb.1683:                             ;   in Loop: Header=BB2_1120 Depth=4
	s_mov_b32 s38, 0x7f800001
	s_xor_b32 s14, exec_lo, -1
; %bb.1684:                             ;   in Loop: Header=BB2_1120 Depth=4
	s_or_b32 exec_lo, exec_lo, s40
	s_delay_alu instid0(SALU_CYCLE_1)
	s_and_b32 s14, s14, exec_lo
                                        ; implicit-def: $vgpr162
	s_or_saveexec_b32 s39, s39
	v_mov_b32_e32 v161, s38
	s_xor_b32 exec_lo, exec_lo, s39
	s_cbranch_execz .LBB2_1301
.LBB2_1685:                             ;   in Loop: Header=BB2_1120 Depth=4
	v_cmp_ne_u16_e64 vcc_lo, 0, v162
	v_mov_b32_e32 v161, 0
	s_and_not1_b32 s14, s14, exec_lo
	s_delay_alu instid0(VALU_DEP_2) | instskip(NEXT) | instid1(SALU_CYCLE_1)
	s_and_b32 vcc_lo, vcc_lo, exec_lo
	s_or_b32 s14, s14, vcc_lo
	s_or_b32 exec_lo, exec_lo, s39
	s_and_saveexec_b32 s38, s14
	s_cbranch_execnz .LBB2_1302
	s_branch .LBB2_1303
.LBB2_1686:                             ;   in Loop: Header=BB2_1120 Depth=4
	s_mov_b32 s14, -1
	s_mov_b32 s40, exec_lo
                                        ; implicit-def: $sgpr38
	v_cmpx_eq_u16_e64 0x80, v161
; %bb.1687:                             ;   in Loop: Header=BB2_1120 Depth=4
	s_mov_b32 s38, 0x7f800001
	s_xor_b32 s14, exec_lo, -1
; %bb.1688:                             ;   in Loop: Header=BB2_1120 Depth=4
	s_or_b32 exec_lo, exec_lo, s40
	s_delay_alu instid0(SALU_CYCLE_1)
	s_and_b32 s14, s14, exec_lo
                                        ; implicit-def: $vgpr161
	s_or_saveexec_b32 s39, s39
	v_mov_b32_e32 v160, s38
	s_xor_b32 exec_lo, exec_lo, s39
	s_cbranch_execz .LBB2_1308
.LBB2_1689:                             ;   in Loop: Header=BB2_1120 Depth=4
	v_cmp_ne_u16_e64 vcc_lo, 0, v161
	v_mov_b32_e32 v160, 0
	s_and_not1_b32 s14, s14, exec_lo
	s_delay_alu instid0(VALU_DEP_2) | instskip(NEXT) | instid1(SALU_CYCLE_1)
	s_and_b32 vcc_lo, vcc_lo, exec_lo
	s_or_b32 s14, s14, vcc_lo
	s_or_b32 exec_lo, exec_lo, s39
	s_and_saveexec_b32 s38, s14
	s_cbranch_execnz .LBB2_1309
	s_branch .LBB2_1310
.LBB2_1690:                             ;   in Loop: Header=BB2_1120 Depth=4
	s_mov_b32 s14, -1
	s_mov_b32 s40, exec_lo
                                        ; implicit-def: $sgpr38
	v_cmpx_eq_u16_e64 0x80, v161
; %bb.1691:                             ;   in Loop: Header=BB2_1120 Depth=4
	s_mov_b32 s38, 0x7f800001
	s_xor_b32 s14, exec_lo, -1
; %bb.1692:                             ;   in Loop: Header=BB2_1120 Depth=4
	s_or_b32 exec_lo, exec_lo, s40
	s_delay_alu instid0(SALU_CYCLE_1)
	s_and_b32 s14, s14, exec_lo
                                        ; implicit-def: $vgpr161
	s_or_saveexec_b32 s39, s39
	v_mov_b32_e32 v151, s38
	s_xor_b32 exec_lo, exec_lo, s39
	s_cbranch_execz .LBB2_1312
.LBB2_1693:                             ;   in Loop: Header=BB2_1120 Depth=4
	v_cmp_ne_u16_e64 vcc_lo, 0, v161
	v_mov_b32_e32 v151, 0
	s_and_not1_b32 s14, s14, exec_lo
	s_delay_alu instid0(VALU_DEP_2) | instskip(NEXT) | instid1(SALU_CYCLE_1)
	s_and_b32 vcc_lo, vcc_lo, exec_lo
	s_or_b32 s14, s14, vcc_lo
	s_or_b32 exec_lo, exec_lo, s39
	s_and_saveexec_b32 s38, s14
	s_cbranch_execnz .LBB2_1313
	s_branch .LBB2_1314
.LBB2_1694:                             ;   in Loop: Header=BB2_1120 Depth=4
	s_mov_b32 s14, -1
	s_mov_b32 s40, exec_lo
                                        ; implicit-def: $sgpr38
	v_cmpx_eq_u16_e64 0x80, v160
; %bb.1695:                             ;   in Loop: Header=BB2_1120 Depth=4
	s_mov_b32 s38, 0x7f800001
	s_xor_b32 s14, exec_lo, -1
; %bb.1696:                             ;   in Loop: Header=BB2_1120 Depth=4
	s_or_b32 exec_lo, exec_lo, s40
	s_delay_alu instid0(SALU_CYCLE_1)
	s_and_b32 s14, s14, exec_lo
	s_or_saveexec_b32 s39, s39
	v_mov_b32_e32 v161, s38
	s_xor_b32 exec_lo, exec_lo, s39
	s_cbranch_execz .LBB2_1326
.LBB2_1697:                             ;   in Loop: Header=BB2_1120 Depth=4
	v_cmp_ne_u16_e64 vcc_lo, 0, v160
	v_mov_b32_e32 v161, 0
	s_and_not1_b32 s14, s14, exec_lo
	s_delay_alu instid0(VALU_DEP_2) | instskip(NEXT) | instid1(SALU_CYCLE_1)
	s_and_b32 vcc_lo, vcc_lo, exec_lo
	s_or_b32 s14, s14, vcc_lo
	s_or_b32 exec_lo, exec_lo, s39
	s_and_saveexec_b32 s38, s14
	s_cbranch_execnz .LBB2_1327
	s_branch .LBB2_1328
.LBB2_1698:                             ;   in Loop: Header=BB2_1120 Depth=4
	s_mov_b32 s14, -1
	s_mov_b32 s40, exec_lo
                                        ; implicit-def: $sgpr38
	v_cmpx_eq_u16_e64 0x80, v151
; %bb.1699:                             ;   in Loop: Header=BB2_1120 Depth=4
	s_mov_b32 s38, 0x7f800001
	s_xor_b32 s14, exec_lo, -1
; %bb.1700:                             ;   in Loop: Header=BB2_1120 Depth=4
	s_or_b32 exec_lo, exec_lo, s40
	s_delay_alu instid0(SALU_CYCLE_1)
	s_and_b32 s14, s14, exec_lo
	s_or_saveexec_b32 s39, s39
	v_mov_b32_e32 v162, s38
	s_xor_b32 exec_lo, exec_lo, s39
	s_cbranch_execz .LBB2_1330
.LBB2_1701:                             ;   in Loop: Header=BB2_1120 Depth=4
	v_cmp_ne_u16_e64 vcc_lo, 0, v151
	v_mov_b32_e32 v162, 0
	s_and_not1_b32 s14, s14, exec_lo
	s_delay_alu instid0(VALU_DEP_2) | instskip(NEXT) | instid1(SALU_CYCLE_1)
	s_and_b32 vcc_lo, vcc_lo, exec_lo
	s_or_b32 s14, s14, vcc_lo
	s_or_b32 exec_lo, exec_lo, s39
	s_and_saveexec_b32 s38, s14
	s_cbranch_execnz .LBB2_1331
	s_branch .LBB2_1332
.LBB2_1702:                             ;   in Loop: Header=BB2_1120 Depth=4
	s_mov_b32 s14, -1
	s_mov_b32 s40, exec_lo
                                        ; implicit-def: $sgpr38
	v_cmpx_eq_u16_e64 0x80, v160
; %bb.1703:                             ;   in Loop: Header=BB2_1120 Depth=4
	s_mov_b32 s38, 0x7f800001
	s_xor_b32 s14, exec_lo, -1
; %bb.1704:                             ;   in Loop: Header=BB2_1120 Depth=4
	s_or_b32 exec_lo, exec_lo, s40
	s_delay_alu instid0(SALU_CYCLE_1)
	s_and_b32 s14, s14, exec_lo
	s_or_saveexec_b32 s39, s39
	v_mov_b32_e32 v161, s38
	s_xor_b32 exec_lo, exec_lo, s39
	s_cbranch_execz .LBB2_1337
.LBB2_1705:                             ;   in Loop: Header=BB2_1120 Depth=4
	v_cmp_ne_u16_e64 vcc_lo, 0, v160
	v_mov_b32_e32 v161, 0
	s_and_not1_b32 s14, s14, exec_lo
	s_delay_alu instid0(VALU_DEP_2) | instskip(NEXT) | instid1(SALU_CYCLE_1)
	s_and_b32 vcc_lo, vcc_lo, exec_lo
	s_or_b32 s14, s14, vcc_lo
	s_or_b32 exec_lo, exec_lo, s39
	s_and_saveexec_b32 s38, s14
	s_cbranch_execnz .LBB2_1338
	s_branch .LBB2_1339
.LBB2_1706:                             ;   in Loop: Header=BB2_1120 Depth=4
	s_mov_b32 s14, -1
	s_mov_b32 s40, exec_lo
                                        ; implicit-def: $sgpr38
	v_cmpx_eq_u16_e64 0x80, v151
; %bb.1707:                             ;   in Loop: Header=BB2_1120 Depth=4
	s_mov_b32 s38, 0x7f800001
	s_xor_b32 s14, exec_lo, -1
; %bb.1708:                             ;   in Loop: Header=BB2_1120 Depth=4
	s_or_b32 exec_lo, exec_lo, s40
	s_delay_alu instid0(SALU_CYCLE_1)
	s_and_b32 s14, s14, exec_lo
	s_or_saveexec_b32 s39, s39
	v_mov_b32_e32 v13, s38
	s_xor_b32 exec_lo, exec_lo, s39
	s_cbranch_execz .LBB2_1341
.LBB2_1709:                             ;   in Loop: Header=BB2_1120 Depth=4
	v_cmp_ne_u16_e64 vcc_lo, 0, v151
	v_mov_b32_e32 v13, 0
	s_and_not1_b32 s14, s14, exec_lo
	s_delay_alu instid0(VALU_DEP_2) | instskip(NEXT) | instid1(SALU_CYCLE_1)
	s_and_b32 vcc_lo, vcc_lo, exec_lo
	s_or_b32 s14, s14, vcc_lo
	s_or_b32 exec_lo, exec_lo, s39
	s_and_saveexec_b32 s38, s14
	s_cbranch_execnz .LBB2_1342
	s_branch .LBB2_1343
.LBB2_1710:                             ;   in Loop: Header=BB2_1120 Depth=4
	s_mov_b32 s14, -1
	s_mov_b32 s40, exec_lo
                                        ; implicit-def: $sgpr38
	v_cmpx_eq_u16_e64 0x80, v151
; %bb.1711:                             ;   in Loop: Header=BB2_1120 Depth=4
	s_mov_b32 s38, 0x7f800001
	s_xor_b32 s14, exec_lo, -1
; %bb.1712:                             ;   in Loop: Header=BB2_1120 Depth=4
	s_or_b32 exec_lo, exec_lo, s40
	s_delay_alu instid0(SALU_CYCLE_1)
	s_and_b32 s14, s14, exec_lo
                                        ; implicit-def: $vgpr151
	s_or_saveexec_b32 s39, s39
	v_mov_b32_e32 v13, s38
	s_xor_b32 exec_lo, exec_lo, s39
	s_cbranch_execz .LBB2_1355
.LBB2_1713:                             ;   in Loop: Header=BB2_1120 Depth=4
	v_cmp_ne_u16_e64 vcc_lo, 0, v151
	v_mov_b32_e32 v13, 0
	s_and_not1_b32 s14, s14, exec_lo
	s_delay_alu instid0(VALU_DEP_2) | instskip(NEXT) | instid1(SALU_CYCLE_1)
	s_and_b32 vcc_lo, vcc_lo, exec_lo
	s_or_b32 s14, s14, vcc_lo
	s_or_b32 exec_lo, exec_lo, s39
	s_and_saveexec_b32 s38, s14
	s_cbranch_execnz .LBB2_1356
	s_branch .LBB2_1357
.LBB2_1714:                             ;   in Loop: Header=BB2_1120 Depth=4
	s_mov_b32 s14, -1
	s_mov_b32 s40, exec_lo
                                        ; implicit-def: $sgpr38
	v_cmpx_eq_u16_e64 0x80, v160
; %bb.1715:                             ;   in Loop: Header=BB2_1120 Depth=4
	s_mov_b32 s38, 0x7f800001
	s_xor_b32 s14, exec_lo, -1
; %bb.1716:                             ;   in Loop: Header=BB2_1120 Depth=4
	s_or_b32 exec_lo, exec_lo, s40
	s_delay_alu instid0(SALU_CYCLE_1)
	s_and_b32 s14, s14, exec_lo
                                        ; implicit-def: $vgpr160
	s_or_saveexec_b32 s39, s39
	v_mov_b32_e32 v151, s38
	s_xor_b32 exec_lo, exec_lo, s39
	s_cbranch_execz .LBB2_1359
.LBB2_1717:                             ;   in Loop: Header=BB2_1120 Depth=4
	v_cmp_ne_u16_e64 vcc_lo, 0, v160
	v_mov_b32_e32 v151, 0
	s_and_not1_b32 s14, s14, exec_lo
	s_delay_alu instid0(VALU_DEP_2) | instskip(NEXT) | instid1(SALU_CYCLE_1)
	s_and_b32 vcc_lo, vcc_lo, exec_lo
	s_or_b32 s14, s14, vcc_lo
	s_or_b32 exec_lo, exec_lo, s39
	s_and_saveexec_b32 s38, s14
	s_cbranch_execnz .LBB2_1360
	s_branch .LBB2_1361
.LBB2_1718:                             ;   in Loop: Header=BB2_1120 Depth=4
	s_mov_b32 s14, -1
	s_mov_b32 s40, exec_lo
                                        ; implicit-def: $sgpr38
	v_cmpx_eq_u16_e64 0x80, v151
; %bb.1719:                             ;   in Loop: Header=BB2_1120 Depth=4
	s_mov_b32 s38, 0x7f800001
	s_xor_b32 s14, exec_lo, -1
; %bb.1720:                             ;   in Loop: Header=BB2_1120 Depth=4
	s_or_b32 exec_lo, exec_lo, s40
	s_delay_alu instid0(SALU_CYCLE_1)
	s_and_b32 s14, s14, exec_lo
                                        ; implicit-def: $vgpr151
	s_or_saveexec_b32 s39, s39
	v_mov_b32_e32 v13, s38
	s_xor_b32 exec_lo, exec_lo, s39
	s_cbranch_execz .LBB2_1366
.LBB2_1721:                             ;   in Loop: Header=BB2_1120 Depth=4
	v_cmp_ne_u16_e64 vcc_lo, 0, v151
	v_mov_b32_e32 v13, 0
	s_and_not1_b32 s14, s14, exec_lo
	s_delay_alu instid0(VALU_DEP_2) | instskip(NEXT) | instid1(SALU_CYCLE_1)
	s_and_b32 vcc_lo, vcc_lo, exec_lo
	s_or_b32 s14, s14, vcc_lo
	s_or_b32 exec_lo, exec_lo, s39
	s_and_saveexec_b32 s38, s14
	s_cbranch_execnz .LBB2_1367
	s_branch .LBB2_1368
.LBB2_1722:                             ;   in Loop: Header=BB2_1120 Depth=4
	s_mov_b32 s14, -1
	s_mov_b32 s40, exec_lo
                                        ; implicit-def: $sgpr38
	v_cmpx_eq_u16_e64 0x80, v160
; %bb.1723:                             ;   in Loop: Header=BB2_1120 Depth=4
	s_mov_b32 s38, 0x7f800001
	s_xor_b32 s14, exec_lo, -1
; %bb.1724:                             ;   in Loop: Header=BB2_1120 Depth=4
	s_or_b32 exec_lo, exec_lo, s40
	s_delay_alu instid0(SALU_CYCLE_1)
	s_and_b32 s14, s14, exec_lo
                                        ; implicit-def: $vgpr160
	s_or_saveexec_b32 s39, s39
	v_mov_b32_e32 v151, s38
	s_xor_b32 exec_lo, exec_lo, s39
	s_cbranch_execz .LBB2_1370
.LBB2_1725:                             ;   in Loop: Header=BB2_1120 Depth=4
	v_cmp_ne_u16_e64 vcc_lo, 0, v160
	v_mov_b32_e32 v151, 0
	s_and_not1_b32 s14, s14, exec_lo
	s_delay_alu instid0(VALU_DEP_2) | instskip(NEXT) | instid1(SALU_CYCLE_1)
	s_and_b32 vcc_lo, vcc_lo, exec_lo
	s_or_b32 s14, s14, vcc_lo
	s_or_b32 exec_lo, exec_lo, s39
	s_and_saveexec_b32 s38, s14
	s_cbranch_execnz .LBB2_1371
	s_branch .LBB2_1372
.LBB2_1726:                             ;   in Loop: Header=BB2_1120 Depth=4
	s_mov_b32 s14, -1
	s_mov_b32 s40, exec_lo
                                        ; implicit-def: $sgpr38
	v_cmpx_eq_u16_e64 0x80, v160
; %bb.1727:                             ;   in Loop: Header=BB2_1120 Depth=4
	s_mov_b32 s38, 0x7f800001
	s_xor_b32 s14, exec_lo, -1
; %bb.1728:                             ;   in Loop: Header=BB2_1120 Depth=4
	s_or_b32 exec_lo, exec_lo, s40
	s_delay_alu instid0(SALU_CYCLE_1)
	s_and_b32 s14, s14, exec_lo
	s_or_saveexec_b32 s39, s39
	v_mov_b32_e32 v161, s38
	s_xor_b32 exec_lo, exec_lo, s39
	s_cbranch_execz .LBB2_1384
.LBB2_1729:                             ;   in Loop: Header=BB2_1120 Depth=4
	v_cmp_ne_u16_e64 vcc_lo, 0, v160
	v_mov_b32_e32 v161, 0
	s_and_not1_b32 s14, s14, exec_lo
	s_delay_alu instid0(VALU_DEP_2) | instskip(NEXT) | instid1(SALU_CYCLE_1)
	s_and_b32 vcc_lo, vcc_lo, exec_lo
	s_or_b32 s14, s14, vcc_lo
	s_or_b32 exec_lo, exec_lo, s39
	s_and_saveexec_b32 s38, s14
	s_cbranch_execnz .LBB2_1385
	s_branch .LBB2_1386
.LBB2_1730:                             ;   in Loop: Header=BB2_1120 Depth=4
	s_mov_b32 s14, -1
	s_mov_b32 s40, exec_lo
                                        ; implicit-def: $sgpr38
	v_cmpx_eq_u16_e64 0x80, v151
; %bb.1731:                             ;   in Loop: Header=BB2_1120 Depth=4
	s_mov_b32 s38, 0x7f800001
	s_xor_b32 s14, exec_lo, -1
; %bb.1732:                             ;   in Loop: Header=BB2_1120 Depth=4
	s_or_b32 exec_lo, exec_lo, s40
	s_delay_alu instid0(SALU_CYCLE_1)
	s_and_b32 s14, s14, exec_lo
	s_or_saveexec_b32 s39, s39
	v_mov_b32_e32 v162, s38
	s_xor_b32 exec_lo, exec_lo, s39
	s_cbranch_execz .LBB2_1388
.LBB2_1733:                             ;   in Loop: Header=BB2_1120 Depth=4
	v_cmp_ne_u16_e64 vcc_lo, 0, v151
	v_mov_b32_e32 v162, 0
	s_and_not1_b32 s14, s14, exec_lo
	s_delay_alu instid0(VALU_DEP_2) | instskip(NEXT) | instid1(SALU_CYCLE_1)
	s_and_b32 vcc_lo, vcc_lo, exec_lo
	s_or_b32 s14, s14, vcc_lo
	s_or_b32 exec_lo, exec_lo, s39
	s_and_saveexec_b32 s38, s14
	s_cbranch_execnz .LBB2_1389
	s_branch .LBB2_1390
.LBB2_1734:                             ;   in Loop: Header=BB2_1120 Depth=4
	s_mov_b32 s14, -1
	s_mov_b32 s40, exec_lo
                                        ; implicit-def: $sgpr38
	v_cmpx_eq_u16_e64 0x80, v160
; %bb.1735:                             ;   in Loop: Header=BB2_1120 Depth=4
	s_mov_b32 s38, 0x7f800001
	s_xor_b32 s14, exec_lo, -1
; %bb.1736:                             ;   in Loop: Header=BB2_1120 Depth=4
	s_or_b32 exec_lo, exec_lo, s40
	s_delay_alu instid0(SALU_CYCLE_1)
	s_and_b32 s14, s14, exec_lo
	s_or_saveexec_b32 s39, s39
	v_mov_b32_e32 v161, s38
	s_xor_b32 exec_lo, exec_lo, s39
	s_cbranch_execz .LBB2_1395
.LBB2_1737:                             ;   in Loop: Header=BB2_1120 Depth=4
	v_cmp_ne_u16_e64 vcc_lo, 0, v160
	v_mov_b32_e32 v161, 0
	s_and_not1_b32 s14, s14, exec_lo
	s_delay_alu instid0(VALU_DEP_2) | instskip(NEXT) | instid1(SALU_CYCLE_1)
	s_and_b32 vcc_lo, vcc_lo, exec_lo
	s_or_b32 s14, s14, vcc_lo
	s_or_b32 exec_lo, exec_lo, s39
	s_and_saveexec_b32 s38, s14
	s_cbranch_execnz .LBB2_1396
	s_branch .LBB2_1397
.LBB2_1738:                             ;   in Loop: Header=BB2_1120 Depth=4
	s_mov_b32 s14, -1
	s_mov_b32 s40, exec_lo
                                        ; implicit-def: $sgpr38
	v_cmpx_eq_u16_e64 0x80, v151
; %bb.1739:                             ;   in Loop: Header=BB2_1120 Depth=4
	s_mov_b32 s38, 0x7f800001
	s_xor_b32 s14, exec_lo, -1
; %bb.1740:                             ;   in Loop: Header=BB2_1120 Depth=4
	s_or_b32 exec_lo, exec_lo, s40
	s_delay_alu instid0(SALU_CYCLE_1)
	s_and_b32 s14, s14, exec_lo
	s_or_saveexec_b32 s39, s39
	v_mov_b32_e32 v160, s38
	s_xor_b32 exec_lo, exec_lo, s39
	s_cbranch_execz .LBB2_1399
.LBB2_1741:                             ;   in Loop: Header=BB2_1120 Depth=4
	v_cmp_ne_u16_e64 vcc_lo, 0, v151
	v_mov_b32_e32 v160, 0
	s_and_not1_b32 s14, s14, exec_lo
	s_delay_alu instid0(VALU_DEP_2) | instskip(NEXT) | instid1(SALU_CYCLE_1)
	s_and_b32 vcc_lo, vcc_lo, exec_lo
	s_or_b32 s14, s14, vcc_lo
	s_or_b32 exec_lo, exec_lo, s39
	s_and_saveexec_b32 s38, s14
	s_cbranch_execnz .LBB2_1400
	s_branch .LBB2_1401
.LBB2_1742:                             ;   in Loop: Header=BB2_1120 Depth=4
	s_mov_b32 s14, -1
	s_mov_b32 s40, exec_lo
                                        ; implicit-def: $sgpr38
	v_cmpx_eq_u16_e64 0x80, v163
; %bb.1743:                             ;   in Loop: Header=BB2_1120 Depth=4
	s_mov_b32 s38, 0x7f800001
	s_xor_b32 s14, exec_lo, -1
; %bb.1744:                             ;   in Loop: Header=BB2_1120 Depth=4
	s_or_b32 exec_lo, exec_lo, s40
	s_delay_alu instid0(SALU_CYCLE_1)
	s_and_b32 s14, s14, exec_lo
                                        ; implicit-def: $vgpr163
	s_or_saveexec_b32 s39, s39
	v_mov_b32_e32 v162, s38
	s_xor_b32 exec_lo, exec_lo, s39
	s_cbranch_execz .LBB2_1413
.LBB2_1745:                             ;   in Loop: Header=BB2_1120 Depth=4
	v_cmp_ne_u16_e64 vcc_lo, 0, v163
	v_mov_b32_e32 v162, 0
	s_and_not1_b32 s14, s14, exec_lo
	s_delay_alu instid0(VALU_DEP_2) | instskip(NEXT) | instid1(SALU_CYCLE_1)
	s_and_b32 vcc_lo, vcc_lo, exec_lo
	s_or_b32 s14, s14, vcc_lo
	s_or_b32 exec_lo, exec_lo, s39
	s_and_saveexec_b32 s38, s14
	s_cbranch_execnz .LBB2_1414
	s_branch .LBB2_1415
.LBB2_1746:                             ;   in Loop: Header=BB2_1120 Depth=4
	s_mov_b32 s14, -1
	s_mov_b32 s40, exec_lo
                                        ; implicit-def: $sgpr38
	v_cmpx_eq_u16_e64 0x80, v164
; %bb.1747:                             ;   in Loop: Header=BB2_1120 Depth=4
	s_mov_b32 s38, 0x7f800001
	s_xor_b32 s14, exec_lo, -1
; %bb.1748:                             ;   in Loop: Header=BB2_1120 Depth=4
	s_or_b32 exec_lo, exec_lo, s40
	s_delay_alu instid0(SALU_CYCLE_1)
	s_and_b32 s14, s14, exec_lo
                                        ; implicit-def: $vgpr164
	s_or_saveexec_b32 s39, s39
	v_mov_b32_e32 v163, s38
	s_xor_b32 exec_lo, exec_lo, s39
	s_cbranch_execz .LBB2_1417
.LBB2_1749:                             ;   in Loop: Header=BB2_1120 Depth=4
	v_cmp_ne_u16_e64 vcc_lo, 0, v164
	v_mov_b32_e32 v163, 0
	s_and_not1_b32 s14, s14, exec_lo
	s_delay_alu instid0(VALU_DEP_2) | instskip(NEXT) | instid1(SALU_CYCLE_1)
	s_and_b32 vcc_lo, vcc_lo, exec_lo
	s_or_b32 s14, s14, vcc_lo
	s_or_b32 exec_lo, exec_lo, s39
	s_and_saveexec_b32 s38, s14
	s_cbranch_execnz .LBB2_1418
	s_branch .LBB2_1419
.LBB2_1750:                             ;   in Loop: Header=BB2_1120 Depth=4
	s_mov_b32 s14, -1
	s_mov_b32 s40, exec_lo
                                        ; implicit-def: $sgpr38
	v_cmpx_eq_u16_e64 0x80, v163
; %bb.1751:                             ;   in Loop: Header=BB2_1120 Depth=4
	s_mov_b32 s38, 0x7f800001
	s_xor_b32 s14, exec_lo, -1
; %bb.1752:                             ;   in Loop: Header=BB2_1120 Depth=4
	s_or_b32 exec_lo, exec_lo, s40
	s_delay_alu instid0(SALU_CYCLE_1)
	s_and_b32 s14, s14, exec_lo
                                        ; implicit-def: $vgpr163
	s_or_saveexec_b32 s39, s39
	v_mov_b32_e32 v162, s38
	s_xor_b32 exec_lo, exec_lo, s39
	s_cbranch_execz .LBB2_1424
.LBB2_1753:                             ;   in Loop: Header=BB2_1120 Depth=4
	v_cmp_ne_u16_e64 vcc_lo, 0, v163
	v_mov_b32_e32 v162, 0
	s_and_not1_b32 s14, s14, exec_lo
	s_delay_alu instid0(VALU_DEP_2) | instskip(NEXT) | instid1(SALU_CYCLE_1)
	s_and_b32 vcc_lo, vcc_lo, exec_lo
	s_or_b32 s14, s14, vcc_lo
	s_or_b32 exec_lo, exec_lo, s39
	s_and_saveexec_b32 s38, s14
	s_cbranch_execnz .LBB2_1425
	s_branch .LBB2_1426
.LBB2_1754:                             ;   in Loop: Header=BB2_1120 Depth=4
	s_mov_b32 s14, -1
	s_mov_b32 s40, exec_lo
                                        ; implicit-def: $sgpr38
	v_cmpx_eq_u16_e64 0x80, v163
; %bb.1755:                             ;   in Loop: Header=BB2_1120 Depth=4
	s_mov_b32 s38, 0x7f800001
	s_xor_b32 s14, exec_lo, -1
; %bb.1756:                             ;   in Loop: Header=BB2_1120 Depth=4
	s_or_b32 exec_lo, exec_lo, s40
	s_delay_alu instid0(SALU_CYCLE_1)
	s_and_b32 s14, s14, exec_lo
                                        ; implicit-def: $vgpr163
	s_or_saveexec_b32 s39, s39
	v_mov_b32_e32 v161, s38
	s_xor_b32 exec_lo, exec_lo, s39
	s_cbranch_execz .LBB2_1428
.LBB2_1757:                             ;   in Loop: Header=BB2_1120 Depth=4
	v_cmp_ne_u16_e64 vcc_lo, 0, v163
	v_mov_b32_e32 v161, 0
	s_and_not1_b32 s14, s14, exec_lo
	s_delay_alu instid0(VALU_DEP_2) | instskip(NEXT) | instid1(SALU_CYCLE_1)
	s_and_b32 vcc_lo, vcc_lo, exec_lo
	s_or_b32 s14, s14, vcc_lo
	s_or_b32 exec_lo, exec_lo, s39
	s_and_saveexec_b32 s38, s14
	s_cbranch_execnz .LBB2_1429
	s_branch .LBB2_1430
.LBB2_1758:                             ;   in Loop: Header=BB2_1120 Depth=4
	s_mov_b32 s14, -1
	s_mov_b32 s40, exec_lo
                                        ; implicit-def: $sgpr38
	v_cmpx_eq_u16_e64 0x80, v162
; %bb.1759:                             ;   in Loop: Header=BB2_1120 Depth=4
	s_mov_b32 s38, 0x7f800001
	s_xor_b32 s14, exec_lo, -1
; %bb.1760:                             ;   in Loop: Header=BB2_1120 Depth=4
	s_or_b32 exec_lo, exec_lo, s40
	s_delay_alu instid0(SALU_CYCLE_1)
	s_and_b32 s14, s14, exec_lo
	s_or_saveexec_b32 s39, s39
	v_mov_b32_e32 v163, s38
	s_xor_b32 exec_lo, exec_lo, s39
	s_cbranch_execz .LBB2_1442
.LBB2_1761:                             ;   in Loop: Header=BB2_1120 Depth=4
	v_cmp_ne_u16_e64 vcc_lo, 0, v162
	v_mov_b32_e32 v163, 0
	s_and_not1_b32 s14, s14, exec_lo
	s_delay_alu instid0(VALU_DEP_2) | instskip(NEXT) | instid1(SALU_CYCLE_1)
	s_and_b32 vcc_lo, vcc_lo, exec_lo
	s_or_b32 s14, s14, vcc_lo
	s_or_b32 exec_lo, exec_lo, s39
	s_and_saveexec_b32 s38, s14
	s_cbranch_execnz .LBB2_1443
	s_branch .LBB2_1444
.LBB2_1762:                             ;   in Loop: Header=BB2_1120 Depth=4
	s_mov_b32 s14, -1
	s_mov_b32 s40, exec_lo
                                        ; implicit-def: $sgpr38
	v_cmpx_eq_u16_e64 0x80, v161
; %bb.1763:                             ;   in Loop: Header=BB2_1120 Depth=4
	s_mov_b32 s38, 0x7f800001
	s_xor_b32 s14, exec_lo, -1
; %bb.1764:                             ;   in Loop: Header=BB2_1120 Depth=4
	s_or_b32 exec_lo, exec_lo, s40
	s_delay_alu instid0(SALU_CYCLE_1)
	s_and_b32 s14, s14, exec_lo
	s_or_saveexec_b32 s39, s39
	v_mov_b32_e32 v164, s38
	s_xor_b32 exec_lo, exec_lo, s39
	s_cbranch_execz .LBB2_1446
.LBB2_1765:                             ;   in Loop: Header=BB2_1120 Depth=4
	v_cmp_ne_u16_e64 vcc_lo, 0, v161
	v_mov_b32_e32 v164, 0
	s_and_not1_b32 s14, s14, exec_lo
	s_delay_alu instid0(VALU_DEP_2) | instskip(NEXT) | instid1(SALU_CYCLE_1)
	s_and_b32 vcc_lo, vcc_lo, exec_lo
	s_or_b32 s14, s14, vcc_lo
	s_or_b32 exec_lo, exec_lo, s39
	s_and_saveexec_b32 s38, s14
	s_cbranch_execnz .LBB2_1447
	s_branch .LBB2_1448
.LBB2_1766:                             ;   in Loop: Header=BB2_1120 Depth=4
	s_mov_b32 s14, -1
	s_mov_b32 s40, exec_lo
                                        ; implicit-def: $sgpr38
	v_cmpx_eq_u16_e64 0x80, v162
; %bb.1767:                             ;   in Loop: Header=BB2_1120 Depth=4
	s_mov_b32 s38, 0x7f800001
	s_xor_b32 s14, exec_lo, -1
; %bb.1768:                             ;   in Loop: Header=BB2_1120 Depth=4
	s_or_b32 exec_lo, exec_lo, s40
	s_delay_alu instid0(SALU_CYCLE_1)
	s_and_b32 s14, s14, exec_lo
	s_or_saveexec_b32 s39, s39
	v_mov_b32_e32 v163, s38
	s_xor_b32 exec_lo, exec_lo, s39
	s_cbranch_execz .LBB2_1453
.LBB2_1769:                             ;   in Loop: Header=BB2_1120 Depth=4
	v_cmp_ne_u16_e64 vcc_lo, 0, v162
	v_mov_b32_e32 v163, 0
	s_and_not1_b32 s14, s14, exec_lo
	s_delay_alu instid0(VALU_DEP_2) | instskip(NEXT) | instid1(SALU_CYCLE_1)
	s_and_b32 vcc_lo, vcc_lo, exec_lo
	s_or_b32 s14, s14, vcc_lo
	s_or_b32 exec_lo, exec_lo, s39
	s_and_saveexec_b32 s38, s14
	s_cbranch_execnz .LBB2_1454
	s_branch .LBB2_1455
.LBB2_1770:                             ;   in Loop: Header=BB2_1120 Depth=4
	s_mov_b32 s14, -1
	s_mov_b32 s40, exec_lo
                                        ; implicit-def: $sgpr38
	v_cmpx_eq_u16_e64 0x80, v161
; %bb.1771:                             ;   in Loop: Header=BB2_1120 Depth=4
	s_mov_b32 s38, 0x7f800001
	s_xor_b32 s14, exec_lo, -1
; %bb.1772:                             ;   in Loop: Header=BB2_1120 Depth=4
	s_or_b32 exec_lo, exec_lo, s40
	s_delay_alu instid0(SALU_CYCLE_1)
	s_and_b32 s14, s14, exec_lo
	s_or_saveexec_b32 s39, s39
	v_mov_b32_e32 v14, s38
	s_xor_b32 exec_lo, exec_lo, s39
	s_cbranch_execz .LBB2_1457
.LBB2_1773:                             ;   in Loop: Header=BB2_1120 Depth=4
	v_cmp_ne_u16_e64 vcc_lo, 0, v161
	v_mov_b32_e32 v14, 0
	s_and_not1_b32 s14, s14, exec_lo
	s_delay_alu instid0(VALU_DEP_2) | instskip(NEXT) | instid1(SALU_CYCLE_1)
	s_and_b32 vcc_lo, vcc_lo, exec_lo
	s_or_b32 s14, s14, vcc_lo
	s_or_b32 exec_lo, exec_lo, s39
	s_and_saveexec_b32 s38, s14
	s_cbranch_execnz .LBB2_1458
	s_branch .LBB2_1459
.LBB2_1774:                             ;   in Loop: Header=BB2_1120 Depth=4
	s_mov_b32 s14, -1
	s_mov_b32 s40, exec_lo
                                        ; implicit-def: $sgpr38
	v_cmpx_eq_u16_e64 0x80, v161
; %bb.1775:                             ;   in Loop: Header=BB2_1120 Depth=4
	s_mov_b32 s38, 0x7f800001
	s_xor_b32 s14, exec_lo, -1
; %bb.1776:                             ;   in Loop: Header=BB2_1120 Depth=4
	s_or_b32 exec_lo, exec_lo, s40
	s_delay_alu instid0(SALU_CYCLE_1)
	s_and_b32 s14, s14, exec_lo
                                        ; implicit-def: $vgpr161
	s_or_saveexec_b32 s39, s39
	v_mov_b32_e32 v14, s38
	s_xor_b32 exec_lo, exec_lo, s39
	s_cbranch_execz .LBB2_1471
.LBB2_1777:                             ;   in Loop: Header=BB2_1120 Depth=4
	v_cmp_ne_u16_e64 vcc_lo, 0, v161
	v_mov_b32_e32 v14, 0
	s_and_not1_b32 s14, s14, exec_lo
	s_delay_alu instid0(VALU_DEP_2) | instskip(NEXT) | instid1(SALU_CYCLE_1)
	s_and_b32 vcc_lo, vcc_lo, exec_lo
	s_or_b32 s14, s14, vcc_lo
	s_or_b32 exec_lo, exec_lo, s39
	s_and_saveexec_b32 s38, s14
	s_cbranch_execnz .LBB2_1472
	s_branch .LBB2_1473
.LBB2_1778:                             ;   in Loop: Header=BB2_1120 Depth=4
	s_mov_b32 s14, -1
	s_mov_b32 s40, exec_lo
                                        ; implicit-def: $sgpr38
	v_cmpx_eq_u16_e64 0x80, v162
; %bb.1779:                             ;   in Loop: Header=BB2_1120 Depth=4
	s_mov_b32 s38, 0x7f800001
	s_xor_b32 s14, exec_lo, -1
; %bb.1780:                             ;   in Loop: Header=BB2_1120 Depth=4
	s_or_b32 exec_lo, exec_lo, s40
	s_delay_alu instid0(SALU_CYCLE_1)
	s_and_b32 s14, s14, exec_lo
                                        ; implicit-def: $vgpr162
	s_or_saveexec_b32 s39, s39
	v_mov_b32_e32 v161, s38
	s_xor_b32 exec_lo, exec_lo, s39
	s_cbranch_execz .LBB2_1475
.LBB2_1781:                             ;   in Loop: Header=BB2_1120 Depth=4
	v_cmp_ne_u16_e64 vcc_lo, 0, v162
	v_mov_b32_e32 v161, 0
	s_and_not1_b32 s14, s14, exec_lo
	s_delay_alu instid0(VALU_DEP_2) | instskip(NEXT) | instid1(SALU_CYCLE_1)
	s_and_b32 vcc_lo, vcc_lo, exec_lo
	s_or_b32 s14, s14, vcc_lo
	s_or_b32 exec_lo, exec_lo, s39
	s_and_saveexec_b32 s38, s14
	s_cbranch_execnz .LBB2_1476
	s_branch .LBB2_1477
.LBB2_1782:                             ;   in Loop: Header=BB2_1120 Depth=4
	s_mov_b32 s14, -1
	s_mov_b32 s40, exec_lo
                                        ; implicit-def: $sgpr38
	v_cmpx_eq_u16_e64 0x80, v161
; %bb.1783:                             ;   in Loop: Header=BB2_1120 Depth=4
	s_mov_b32 s38, 0x7f800001
	s_xor_b32 s14, exec_lo, -1
; %bb.1784:                             ;   in Loop: Header=BB2_1120 Depth=4
	s_or_b32 exec_lo, exec_lo, s40
	s_delay_alu instid0(SALU_CYCLE_1)
	s_and_b32 s14, s14, exec_lo
                                        ; implicit-def: $vgpr161
	s_or_saveexec_b32 s39, s39
	v_mov_b32_e32 v14, s38
	s_xor_b32 exec_lo, exec_lo, s39
	s_cbranch_execz .LBB2_1482
.LBB2_1785:                             ;   in Loop: Header=BB2_1120 Depth=4
	v_cmp_ne_u16_e64 vcc_lo, 0, v161
	v_mov_b32_e32 v14, 0
	s_and_not1_b32 s14, s14, exec_lo
	s_delay_alu instid0(VALU_DEP_2) | instskip(NEXT) | instid1(SALU_CYCLE_1)
	s_and_b32 vcc_lo, vcc_lo, exec_lo
	s_or_b32 s14, s14, vcc_lo
	s_or_b32 exec_lo, exec_lo, s39
	s_and_saveexec_b32 s38, s14
	s_cbranch_execnz .LBB2_1483
	s_branch .LBB2_1484
.LBB2_1786:                             ;   in Loop: Header=BB2_1120 Depth=4
	s_mov_b32 s14, -1
	s_mov_b32 s40, exec_lo
                                        ; implicit-def: $sgpr38
	v_cmpx_eq_u16_e64 0x80, v162
; %bb.1787:                             ;   in Loop: Header=BB2_1120 Depth=4
	s_mov_b32 s38, 0x7f800001
	s_xor_b32 s14, exec_lo, -1
; %bb.1788:                             ;   in Loop: Header=BB2_1120 Depth=4
	s_or_b32 exec_lo, exec_lo, s40
	s_delay_alu instid0(SALU_CYCLE_1)
	s_and_b32 s14, s14, exec_lo
                                        ; implicit-def: $vgpr162
	s_or_saveexec_b32 s39, s39
	v_mov_b32_e32 v161, s38
	s_xor_b32 exec_lo, exec_lo, s39
	s_cbranch_execz .LBB2_1486
.LBB2_1789:                             ;   in Loop: Header=BB2_1120 Depth=4
	v_cmp_ne_u16_e64 vcc_lo, 0, v162
	v_mov_b32_e32 v161, 0
	s_and_not1_b32 s14, s14, exec_lo
	s_delay_alu instid0(VALU_DEP_2) | instskip(NEXT) | instid1(SALU_CYCLE_1)
	s_and_b32 vcc_lo, vcc_lo, exec_lo
	s_or_b32 s14, s14, vcc_lo
	s_or_b32 exec_lo, exec_lo, s39
	s_and_saveexec_b32 s38, s14
	s_cbranch_execnz .LBB2_1487
	s_branch .LBB2_1488
.LBB2_1790:                             ;   in Loop: Header=BB2_1120 Depth=4
	s_mov_b32 s14, -1
	s_mov_b32 s40, exec_lo
                                        ; implicit-def: $sgpr38
	v_cmpx_eq_u16_e64 0x80, v162
; %bb.1791:                             ;   in Loop: Header=BB2_1120 Depth=4
	s_mov_b32 s38, 0x7f800001
	s_xor_b32 s14, exec_lo, -1
; %bb.1792:                             ;   in Loop: Header=BB2_1120 Depth=4
	s_or_b32 exec_lo, exec_lo, s40
	s_delay_alu instid0(SALU_CYCLE_1)
	s_and_b32 s14, s14, exec_lo
	s_or_saveexec_b32 s39, s39
	v_mov_b32_e32 v163, s38
	s_xor_b32 exec_lo, exec_lo, s39
	s_cbranch_execz .LBB2_1500
.LBB2_1793:                             ;   in Loop: Header=BB2_1120 Depth=4
	v_cmp_ne_u16_e64 vcc_lo, 0, v162
	v_mov_b32_e32 v163, 0
	s_and_not1_b32 s14, s14, exec_lo
	s_delay_alu instid0(VALU_DEP_2) | instskip(NEXT) | instid1(SALU_CYCLE_1)
	s_and_b32 vcc_lo, vcc_lo, exec_lo
	s_or_b32 s14, s14, vcc_lo
	s_or_b32 exec_lo, exec_lo, s39
	s_and_saveexec_b32 s38, s14
	s_cbranch_execnz .LBB2_1501
	s_branch .LBB2_1502
.LBB2_1794:                             ;   in Loop: Header=BB2_1120 Depth=4
	s_mov_b32 s14, -1
	s_mov_b32 s40, exec_lo
                                        ; implicit-def: $sgpr38
	v_cmpx_eq_u16_e64 0x80, v161
; %bb.1795:                             ;   in Loop: Header=BB2_1120 Depth=4
	s_mov_b32 s38, 0x7f800001
	s_xor_b32 s14, exec_lo, -1
; %bb.1796:                             ;   in Loop: Header=BB2_1120 Depth=4
	s_or_b32 exec_lo, exec_lo, s40
	s_delay_alu instid0(SALU_CYCLE_1)
	s_and_b32 s14, s14, exec_lo
	s_or_saveexec_b32 s39, s39
	v_mov_b32_e32 v164, s38
	s_xor_b32 exec_lo, exec_lo, s39
	s_cbranch_execz .LBB2_1504
.LBB2_1797:                             ;   in Loop: Header=BB2_1120 Depth=4
	v_cmp_ne_u16_e64 vcc_lo, 0, v161
	v_mov_b32_e32 v164, 0
	s_and_not1_b32 s14, s14, exec_lo
	s_delay_alu instid0(VALU_DEP_2) | instskip(NEXT) | instid1(SALU_CYCLE_1)
	s_and_b32 vcc_lo, vcc_lo, exec_lo
	s_or_b32 s14, s14, vcc_lo
	s_or_b32 exec_lo, exec_lo, s39
	s_and_saveexec_b32 s38, s14
	s_cbranch_execnz .LBB2_1505
	s_branch .LBB2_1506
.LBB2_1798:                             ;   in Loop: Header=BB2_1120 Depth=4
	s_mov_b32 s14, -1
	s_mov_b32 s40, exec_lo
                                        ; implicit-def: $sgpr38
	v_cmpx_eq_u16_e64 0x80, v162
; %bb.1799:                             ;   in Loop: Header=BB2_1120 Depth=4
	s_mov_b32 s38, 0x7f800001
	s_xor_b32 s14, exec_lo, -1
; %bb.1800:                             ;   in Loop: Header=BB2_1120 Depth=4
	s_or_b32 exec_lo, exec_lo, s40
	s_delay_alu instid0(SALU_CYCLE_1)
	s_and_b32 s14, s14, exec_lo
	s_or_saveexec_b32 s39, s39
	v_mov_b32_e32 v163, s38
	s_xor_b32 exec_lo, exec_lo, s39
	s_cbranch_execz .LBB2_1511
.LBB2_1801:                             ;   in Loop: Header=BB2_1120 Depth=4
	v_cmp_ne_u16_e64 vcc_lo, 0, v162
	v_mov_b32_e32 v163, 0
	s_and_not1_b32 s14, s14, exec_lo
	s_delay_alu instid0(VALU_DEP_2) | instskip(NEXT) | instid1(SALU_CYCLE_1)
	s_and_b32 vcc_lo, vcc_lo, exec_lo
	s_or_b32 s14, s14, vcc_lo
	s_or_b32 exec_lo, exec_lo, s39
	s_and_saveexec_b32 s38, s14
	s_cbranch_execnz .LBB2_1512
	s_branch .LBB2_1513
.LBB2_1802:                             ;   in Loop: Header=BB2_1120 Depth=4
	s_mov_b32 s14, -1
	s_mov_b32 s40, exec_lo
                                        ; implicit-def: $sgpr38
	v_cmpx_eq_u16_e64 0x80, v161
; %bb.1803:                             ;   in Loop: Header=BB2_1120 Depth=4
	s_mov_b32 s38, 0x7f800001
	s_xor_b32 s14, exec_lo, -1
; %bb.1804:                             ;   in Loop: Header=BB2_1120 Depth=4
	s_or_b32 exec_lo, exec_lo, s40
	s_delay_alu instid0(SALU_CYCLE_1)
	s_and_b32 s14, s14, exec_lo
	s_or_saveexec_b32 s39, s39
	v_mov_b32_e32 v162, s38
	s_xor_b32 exec_lo, exec_lo, s39
	s_cbranch_execz .LBB2_1515
.LBB2_1805:                             ;   in Loop: Header=BB2_1120 Depth=4
	v_cmp_ne_u16_e64 vcc_lo, 0, v161
	v_mov_b32_e32 v162, 0
	s_and_not1_b32 s14, s14, exec_lo
	s_delay_alu instid0(VALU_DEP_2) | instskip(NEXT) | instid1(SALU_CYCLE_1)
	s_and_b32 vcc_lo, vcc_lo, exec_lo
	s_or_b32 s14, s14, vcc_lo
	s_or_b32 exec_lo, exec_lo, s39
	s_and_saveexec_b32 s38, s14
	s_cbranch_execnz .LBB2_1516
	s_branch .LBB2_1517
.LBB2_1806:                             ;   in Loop: Header=BB2_1120 Depth=4
	s_mov_b32 s14, -1
	s_mov_b32 s40, exec_lo
                                        ; implicit-def: $sgpr38
	v_cmpx_eq_u16_e64 0x80, v165
; %bb.1807:                             ;   in Loop: Header=BB2_1120 Depth=4
	s_mov_b32 s38, 0x7f800001
	s_xor_b32 s14, exec_lo, -1
; %bb.1808:                             ;   in Loop: Header=BB2_1120 Depth=4
	s_or_b32 exec_lo, exec_lo, s40
	s_delay_alu instid0(SALU_CYCLE_1)
	s_and_b32 s14, s14, exec_lo
                                        ; implicit-def: $vgpr165
	s_or_saveexec_b32 s39, s39
	v_mov_b32_e32 v164, s38
	s_xor_b32 exec_lo, exec_lo, s39
	s_cbranch_execz .LBB2_1529
.LBB2_1809:                             ;   in Loop: Header=BB2_1120 Depth=4
	v_cmp_ne_u16_e64 vcc_lo, 0, v165
	v_mov_b32_e32 v164, 0
	s_and_not1_b32 s14, s14, exec_lo
	s_delay_alu instid0(VALU_DEP_2) | instskip(NEXT) | instid1(SALU_CYCLE_1)
	s_and_b32 vcc_lo, vcc_lo, exec_lo
	s_or_b32 s14, s14, vcc_lo
	s_or_b32 exec_lo, exec_lo, s39
	s_and_saveexec_b32 s38, s14
	s_cbranch_execnz .LBB2_1530
	s_branch .LBB2_1531
.LBB2_1810:                             ;   in Loop: Header=BB2_1120 Depth=4
	s_mov_b32 s14, -1
	s_mov_b32 s40, exec_lo
                                        ; implicit-def: $sgpr38
	v_cmpx_eq_u16_e64 0x80, v166
; %bb.1811:                             ;   in Loop: Header=BB2_1120 Depth=4
	s_mov_b32 s38, 0x7f800001
	s_xor_b32 s14, exec_lo, -1
; %bb.1812:                             ;   in Loop: Header=BB2_1120 Depth=4
	s_or_b32 exec_lo, exec_lo, s40
	s_delay_alu instid0(SALU_CYCLE_1)
	s_and_b32 s14, s14, exec_lo
                                        ; implicit-def: $vgpr166
	s_or_saveexec_b32 s39, s39
	v_mov_b32_e32 v165, s38
	s_xor_b32 exec_lo, exec_lo, s39
	s_cbranch_execz .LBB2_1533
.LBB2_1813:                             ;   in Loop: Header=BB2_1120 Depth=4
	v_cmp_ne_u16_e64 vcc_lo, 0, v166
	v_mov_b32_e32 v165, 0
	s_and_not1_b32 s14, s14, exec_lo
	s_delay_alu instid0(VALU_DEP_2) | instskip(NEXT) | instid1(SALU_CYCLE_1)
	s_and_b32 vcc_lo, vcc_lo, exec_lo
	s_or_b32 s14, s14, vcc_lo
	s_or_b32 exec_lo, exec_lo, s39
	s_and_saveexec_b32 s38, s14
	s_cbranch_execnz .LBB2_1534
	s_branch .LBB2_1535
.LBB2_1814:                             ;   in Loop: Header=BB2_1120 Depth=4
	s_mov_b32 s14, -1
	s_mov_b32 s40, exec_lo
                                        ; implicit-def: $sgpr38
	v_cmpx_eq_u16_e64 0x80, v165
; %bb.1815:                             ;   in Loop: Header=BB2_1120 Depth=4
	s_mov_b32 s38, 0x7f800001
	s_xor_b32 s14, exec_lo, -1
; %bb.1816:                             ;   in Loop: Header=BB2_1120 Depth=4
	s_or_b32 exec_lo, exec_lo, s40
	s_delay_alu instid0(SALU_CYCLE_1)
	s_and_b32 s14, s14, exec_lo
                                        ; implicit-def: $vgpr165
	s_or_saveexec_b32 s39, s39
	v_mov_b32_e32 v164, s38
	s_xor_b32 exec_lo, exec_lo, s39
	s_cbranch_execz .LBB2_1540
.LBB2_1817:                             ;   in Loop: Header=BB2_1120 Depth=4
	v_cmp_ne_u16_e64 vcc_lo, 0, v165
	v_mov_b32_e32 v164, 0
	s_and_not1_b32 s14, s14, exec_lo
	s_delay_alu instid0(VALU_DEP_2) | instskip(NEXT) | instid1(SALU_CYCLE_1)
	s_and_b32 vcc_lo, vcc_lo, exec_lo
	s_or_b32 s14, s14, vcc_lo
	s_or_b32 exec_lo, exec_lo, s39
	s_and_saveexec_b32 s38, s14
	s_cbranch_execnz .LBB2_1541
	s_branch .LBB2_1542
.LBB2_1818:                             ;   in Loop: Header=BB2_1120 Depth=4
	s_mov_b32 s14, -1
	s_mov_b32 s40, exec_lo
                                        ; implicit-def: $sgpr38
	v_cmpx_eq_u16_e64 0x80, v165
; %bb.1819:                             ;   in Loop: Header=BB2_1120 Depth=4
	s_mov_b32 s38, 0x7f800001
	s_xor_b32 s14, exec_lo, -1
; %bb.1820:                             ;   in Loop: Header=BB2_1120 Depth=4
	s_or_b32 exec_lo, exec_lo, s40
	s_delay_alu instid0(SALU_CYCLE_1)
	s_and_b32 s14, s14, exec_lo
                                        ; implicit-def: $vgpr165
	s_or_saveexec_b32 s39, s39
	v_mov_b32_e32 v163, s38
	s_xor_b32 exec_lo, exec_lo, s39
	s_cbranch_execz .LBB2_1544
.LBB2_1821:                             ;   in Loop: Header=BB2_1120 Depth=4
	v_cmp_ne_u16_e64 vcc_lo, 0, v165
	v_mov_b32_e32 v163, 0
	s_and_not1_b32 s14, s14, exec_lo
	s_delay_alu instid0(VALU_DEP_2) | instskip(NEXT) | instid1(SALU_CYCLE_1)
	s_and_b32 vcc_lo, vcc_lo, exec_lo
	s_or_b32 s14, s14, vcc_lo
	s_or_b32 exec_lo, exec_lo, s39
	s_and_saveexec_b32 s38, s14
	s_cbranch_execnz .LBB2_1545
	s_branch .LBB2_1546
.LBB2_1822:                             ;   in Loop: Header=BB2_1120 Depth=4
	s_mov_b32 s14, -1
	s_mov_b32 s40, exec_lo
                                        ; implicit-def: $sgpr38
	v_cmpx_eq_u16_e64 0x80, v164
; %bb.1823:                             ;   in Loop: Header=BB2_1120 Depth=4
	s_mov_b32 s38, 0x7f800001
	s_xor_b32 s14, exec_lo, -1
; %bb.1824:                             ;   in Loop: Header=BB2_1120 Depth=4
	s_or_b32 exec_lo, exec_lo, s40
	s_delay_alu instid0(SALU_CYCLE_1)
	s_and_b32 s14, s14, exec_lo
	s_or_saveexec_b32 s39, s39
	v_mov_b32_e32 v165, s38
	s_xor_b32 exec_lo, exec_lo, s39
	s_cbranch_execz .LBB2_1558
.LBB2_1825:                             ;   in Loop: Header=BB2_1120 Depth=4
	v_cmp_ne_u16_e64 vcc_lo, 0, v164
	v_mov_b32_e32 v165, 0
	s_and_not1_b32 s14, s14, exec_lo
	s_delay_alu instid0(VALU_DEP_2) | instskip(NEXT) | instid1(SALU_CYCLE_1)
	s_and_b32 vcc_lo, vcc_lo, exec_lo
	s_or_b32 s14, s14, vcc_lo
	s_or_b32 exec_lo, exec_lo, s39
	s_and_saveexec_b32 s38, s14
	s_cbranch_execnz .LBB2_1559
	s_branch .LBB2_1560
.LBB2_1826:                             ;   in Loop: Header=BB2_1120 Depth=4
	s_mov_b32 s14, -1
	s_mov_b32 s40, exec_lo
                                        ; implicit-def: $sgpr38
	v_cmpx_eq_u16_e64 0x80, v163
; %bb.1827:                             ;   in Loop: Header=BB2_1120 Depth=4
	s_mov_b32 s38, 0x7f800001
	s_xor_b32 s14, exec_lo, -1
; %bb.1828:                             ;   in Loop: Header=BB2_1120 Depth=4
	s_or_b32 exec_lo, exec_lo, s40
	s_delay_alu instid0(SALU_CYCLE_1)
	s_and_b32 s14, s14, exec_lo
	s_or_saveexec_b32 s39, s39
	v_mov_b32_e32 v166, s38
	s_xor_b32 exec_lo, exec_lo, s39
	s_cbranch_execz .LBB2_1562
.LBB2_1829:                             ;   in Loop: Header=BB2_1120 Depth=4
	v_cmp_ne_u16_e64 vcc_lo, 0, v163
	v_mov_b32_e32 v166, 0
	s_and_not1_b32 s14, s14, exec_lo
	s_delay_alu instid0(VALU_DEP_2) | instskip(NEXT) | instid1(SALU_CYCLE_1)
	s_and_b32 vcc_lo, vcc_lo, exec_lo
	s_or_b32 s14, s14, vcc_lo
	s_or_b32 exec_lo, exec_lo, s39
	s_and_saveexec_b32 s38, s14
	s_cbranch_execnz .LBB2_1563
	s_branch .LBB2_1564
.LBB2_1830:                             ;   in Loop: Header=BB2_1120 Depth=4
	s_mov_b32 s14, -1
	s_mov_b32 s40, exec_lo
                                        ; implicit-def: $sgpr38
	v_cmpx_eq_u16_e64 0x80, v164
; %bb.1831:                             ;   in Loop: Header=BB2_1120 Depth=4
	s_mov_b32 s38, 0x7f800001
	s_xor_b32 s14, exec_lo, -1
; %bb.1832:                             ;   in Loop: Header=BB2_1120 Depth=4
	s_or_b32 exec_lo, exec_lo, s40
	s_delay_alu instid0(SALU_CYCLE_1)
	s_and_b32 s14, s14, exec_lo
	s_or_saveexec_b32 s39, s39
	v_mov_b32_e32 v165, s38
	s_xor_b32 exec_lo, exec_lo, s39
	s_cbranch_execz .LBB2_1569
.LBB2_1833:                             ;   in Loop: Header=BB2_1120 Depth=4
	v_cmp_ne_u16_e64 vcc_lo, 0, v164
	v_mov_b32_e32 v165, 0
	s_and_not1_b32 s14, s14, exec_lo
	s_delay_alu instid0(VALU_DEP_2) | instskip(NEXT) | instid1(SALU_CYCLE_1)
	s_and_b32 vcc_lo, vcc_lo, exec_lo
	s_or_b32 s14, s14, vcc_lo
	s_or_b32 exec_lo, exec_lo, s39
	s_and_saveexec_b32 s38, s14
	s_cbranch_execnz .LBB2_1570
	s_branch .LBB2_1571
.LBB2_1834:                             ;   in Loop: Header=BB2_1120 Depth=4
	s_mov_b32 s14, -1
	s_mov_b32 s40, exec_lo
                                        ; implicit-def: $sgpr38
	v_cmpx_eq_u16_e64 0x80, v163
; %bb.1835:                             ;   in Loop: Header=BB2_1120 Depth=4
	s_mov_b32 s38, 0x7f800001
	s_xor_b32 s14, exec_lo, -1
; %bb.1836:                             ;   in Loop: Header=BB2_1120 Depth=4
	s_or_b32 exec_lo, exec_lo, s40
	s_delay_alu instid0(SALU_CYCLE_1)
	s_and_b32 s14, s14, exec_lo
	s_or_saveexec_b32 s39, s39
	v_mov_b32_e32 v15, s38
	s_xor_b32 exec_lo, exec_lo, s39
	s_cbranch_execz .LBB2_1573
.LBB2_1837:                             ;   in Loop: Header=BB2_1120 Depth=4
	v_cmp_ne_u16_e64 vcc_lo, 0, v163
	v_mov_b32_e32 v15, 0
	s_and_not1_b32 s14, s14, exec_lo
	s_delay_alu instid0(VALU_DEP_2) | instskip(NEXT) | instid1(SALU_CYCLE_1)
	s_and_b32 vcc_lo, vcc_lo, exec_lo
	s_or_b32 s14, s14, vcc_lo
	s_or_b32 exec_lo, exec_lo, s39
	s_and_saveexec_b32 s38, s14
	s_cbranch_execnz .LBB2_1574
	s_branch .LBB2_1575
.LBB2_1838:                             ;   in Loop: Header=BB2_305 Depth=3
	s_or_b32 exec_lo, exec_lo, s36
.LBB2_1839:                             ;   in Loop: Header=BB2_305 Depth=3
	s_delay_alu instid0(SALU_CYCLE_1) | instskip(SKIP_4) | instid1(VALU_DEP_2)
	s_or_b32 exec_lo, exec_lo, s35
	v_and_b32_e32 v2, 15, v2
	v_mov_b32_e32 v14, 0
	s_mov_b32 s14, 0
	s_mov_b32 s35, exec_lo
                                        ; implicit-def: $vgpr66
                                        ; implicit-def: $vgpr8
	v_cndmask_b32_e64 v15, v134, v2, s13
	s_delay_alu instid0(VALU_DEP_1)
	v_cmpx_ne_u32_e32 0, v15
	s_cbranch_execz .LBB2_1841
; %bb.1840:                             ;   in Loop: Header=BB2_305 Depth=3
	v_cmp_lt_i32_e32 vcc_lo, 0, v144
	v_sub_nc_u32_e32 v2, v134, v2
	s_mov_b32 s14, exec_lo
	v_cndmask_b32_e32 v8, 0, v83, vcc_lo
	s_delay_alu instid0(VALU_DEP_2) | instskip(NEXT) | instid1(VALU_DEP_2)
	v_cndmask_b32_e64 v2, 0, v2, s13
	v_sub_nc_u32_e32 v8, v8, v144
	s_delay_alu instid0(VALU_DEP_2) | instskip(NEXT) | instid1(VALU_DEP_2)
	v_add3_u32 v14, v133, v132, v2
	v_lshl_add_u32 v66, v8, 5, v135
	s_delay_alu instid0(VALU_DEP_1) | instskip(NEXT) | instid1(VALU_DEP_1)
	v_ashrrev_i32_e32 v8, 31, v66
	v_lshrrev_b32_e32 v8, 27, v8
	s_delay_alu instid0(VALU_DEP_1) | instskip(NEXT) | instid1(VALU_DEP_1)
	v_add_nc_u32_e32 v8, v66, v8
	v_ashrrev_i32_e32 v8, 5, v8
.LBB2_1841:                             ;   in Loop: Header=BB2_305 Depth=3
	s_or_b32 exec_lo, exec_lo, s35
	s_delay_alu instid0(SALU_CYCLE_1)
	s_and_b32 s35, s14, exec_lo
.LBB2_1842:                             ;   in Loop: Header=BB2_305 Depth=3
	s_or_b32 exec_lo, exec_lo, s34
.LBB2_1843:                             ;   in Loop: Header=BB2_305 Depth=3
	s_and_saveexec_b32 s14, s35
	s_cbranch_execz .LBB2_2260
; %bb.1844:                             ;   in Loop: Header=BB2_305 Depth=3
	s_delay_alu instid0(VALU_DEP_1) | instskip(SKIP_1) | instid1(VALU_DEP_1)
	v_ashrrev_i32_e32 v2, 31, v15
	s_mov_b32 s34, exec_lo
	v_lshrrev_b32_e32 v2, 24, v2
	s_delay_alu instid0(VALU_DEP_1) | instskip(NEXT) | instid1(VALU_DEP_1)
	v_add_nc_u32_e32 v2, v15, v2
	v_ashrrev_i32_e32 v67, 8, v2
	s_delay_alu instid0(VALU_DEP_1) | instskip(NEXT) | instid1(VALU_DEP_1)
	v_sub_nc_u32_e32 v2, v67, v8
	v_cmpx_lt_i32_e32 0, v2
	s_cbranch_execz .LBB2_2209
; %bb.1845:                             ;   in Loop: Header=BB2_305 Depth=3
	s_cbranch_execz .LBB2_1846
; %bb.7628:
	s_getpc_b64 s[48:49]
.Lpost_getpc78:
	s_add_u32 s48, s48, (.LBB2_7238-.Lpost_getpc78)&4294967295
	s_addc_u32 s49, s49, (.LBB2_7238-.Lpost_getpc78)>>32
	s_setpc_b64 s[48:49]
.LBB2_1846:                             ;   in Loop: Header=BB2_305 Depth=3
	v_ashrrev_i32_e32 v9, 31, v66
	ds_load_b64 v[68:69], v0
	v_lshlrev_b32_e32 v8, 8, v8
	s_bitcmp1_b32 s31, 0
	s_mov_b32 s36, 0
	v_lshrrev_b32_e32 v9, 27, v9
	s_cselect_b32 s35, -1, 0
	s_delay_alu instid0(VALU_DEP_1) | instskip(NEXT) | instid1(VALU_DEP_1)
	v_add_nc_u32_e32 v9, v66, v9
	v_and_b32_e32 v13, 0xffffffe0, v9
	ds_load_b128 v[9:12], v0
	v_sub_nc_u32_e32 v13, v66, v13
	s_waitcnt lgkmcnt(1)
	v_add_co_u32 v68, vcc_lo, 0xe0, v68
	v_add_co_ci_u32_e32 v69, vcc_lo, 0, v69, vcc_lo
	s_delay_alu instid0(VALU_DEP_3) | instskip(NEXT) | instid1(VALU_DEP_1)
	v_add3_u32 v13, v14, v13, v8
	v_ashrrev_i32_e32 v70, 31, v13
	s_waitcnt lgkmcnt(0)
	v_add_co_u32 v8, vcc_lo, v9, v13
	s_delay_alu instid0(VALU_DEP_2)
	v_add_co_ci_u32_e32 v9, vcc_lo, v10, v70, vcc_lo
	v_add_co_u32 v10, vcc_lo, v11, v13
	v_add_co_ci_u32_e32 v11, vcc_lo, v12, v70, vcc_lo
	v_add_co_u32 v12, vcc_lo, v68, v13
	v_add_co_ci_u32_e32 v13, vcc_lo, v69, v70, vcc_lo
	s_branch .LBB2_1850
.LBB2_1847:                             ;   in Loop: Header=BB2_1850 Depth=4
	s_or_b32 exec_lo, exec_lo, s13
	s_delay_alu instid0(VALU_DEP_1) | instskip(NEXT) | instid1(VALU_DEP_2)
	v_lshrrev_b32_e32 v69, 20, v69
	v_cmp_gt_i32_e32 vcc_lo, 16, v68
	v_lshrrev_b32_e32 v132, 24, v132
	v_min_i32_e32 v135, 15, v68
	s_delay_alu instid0(VALU_DEP_2) | instskip(NEXT) | instid1(VALU_DEP_1)
	v_dual_cndmask_b32 v69, 7, v69 :: v_dual_and_b32 v132, 0x80, v132
	v_or_b32_e32 v68, v68, v69
	v_and_b32_e32 v146, 7, v69
	s_delay_alu instid0(VALU_DEP_2) | instskip(SKIP_1) | instid1(VALU_DEP_1)
	v_cmp_ne_u32_e32 vcc_lo, 0, v68
	v_lshlrev_b32_e32 v135, 3, v135
	v_or3_b32 v69, v135, v132, v146
	s_delay_alu instid0(VALU_DEP_1)
	v_cndmask_b32_e32 v68, 0, v69, vcc_lo
.LBB2_1848:                             ;   in Loop: Header=BB2_1850 Depth=4
	s_or_b32 exec_lo, exec_lo, s38
.LBB2_1849:                             ;   in Loop: Header=BB2_1850 Depth=4
	s_delay_alu instid0(SALU_CYCLE_1)
	s_or_b32 exec_lo, exec_lo, s37
	v_add_co_u32 v148, vcc_lo, 0xffffff20, v12
	v_add_co_ci_u32_e32 v149, vcc_lo, -1, v13, vcc_lo
	v_add_co_u32 v150, vcc_lo, 0xffffff40, v12
	v_add_co_ci_u32_e32 v151, vcc_lo, -1, v13, vcc_lo
	v_add_co_u32 v69, vcc_lo, 0xffffff60, v12
	flat_store_b8 v[148:149], v70 glc slc dlc
	flat_store_b8 v[150:151], v133 glc slc dlc
	v_add_co_ci_u32_e32 v70, vcc_lo, -1, v13, vcc_lo
	v_add_co_u32 v132, vcc_lo, 0xffffff80, v12
	v_add_co_ci_u32_e32 v133, vcc_lo, -1, v13, vcc_lo
	v_add_co_u32 v148, vcc_lo, 0xffffffa0, v12
	;; [unrolled: 2-line block ×5, first 2 shown]
	v_sub_nc_u32_e32 v2, v2, v83
	v_add_co_ci_u32_e32 v9, vcc_lo, v9, v112, vcc_lo
	v_add_co_u32 v10, vcc_lo, v10, v103
	v_add_co_ci_u32_e32 v11, vcc_lo, v11, v112, vcc_lo
	flat_store_b8 v[69:70], v144 glc slc dlc
	flat_store_b8 v[132:133], v147 glc slc dlc
	;; [unrolled: 1-line block ×6, first 2 shown]
	v_cmp_gt_i32_e32 vcc_lo, 1, v2
	v_add_co_u32 v12, s13, v12, v103
	s_delay_alu instid0(VALU_DEP_1) | instskip(SKIP_1) | instid1(SALU_CYCLE_1)
	v_add_co_ci_u32_e64 v13, s13, v13, v112, s13
	s_or_b32 s36, vcc_lo, s36
	s_and_not1_b32 exec_lo, exec_lo, s36
	s_cbranch_execz .LBB2_2208
.LBB2_1850:                             ;   Parent Loop BB2_51 Depth=1
                                        ;     Parent Loop BB2_303 Depth=2
                                        ;       Parent Loop BB2_305 Depth=3
                                        ; =>      This Inner Loop Header: Depth=4
	s_clause 0x7
	flat_load_u8 v151, v[8:9] slc dlc
	flat_load_u8 v150, v[8:9] offset:32 slc dlc
	flat_load_u8 v149, v[8:9] offset:64 slc dlc
	;; [unrolled: 1-line block ×7, first 2 shown]
	s_clause 0x7
	flat_load_u8 v70, v[10:11] slc dlc
	flat_load_u8 v133, v[10:11] offset:32 slc dlc
	flat_load_u8 v144, v[10:11] offset:64 slc dlc
	;; [unrolled: 1-line block ×7, first 2 shown]
	s_and_b32 vcc_lo, exec_lo, s35
	s_cbranch_vccz .LBB2_1860
; %bb.1851:                             ;   in Loop: Header=BB2_1850 Depth=4
	s_waitcnt vmcnt(15) lgkmcnt(15)
	v_and_b32_e32 v161, 0xff, v151
	s_mov_b32 s13, 0
	s_mov_b32 s38, exec_lo
                                        ; implicit-def: $sgpr37
	s_delay_alu instid0(VALU_DEP_1)
	v_cmpx_lt_i16_e64 0x7f, v161
	s_xor_b32 s38, exec_lo, s38
	s_cbranch_execnz .LBB2_2080
; %bb.1852:                             ;   in Loop: Header=BB2_1850 Depth=4
	s_or_saveexec_b32 s38, s38
	v_mov_b32_e32 v160, s37
	s_xor_b32 exec_lo, exec_lo, s38
	s_cbranch_execnz .LBB2_2083
.LBB2_1853:                             ;   in Loop: Header=BB2_1850 Depth=4
	s_or_b32 exec_lo, exec_lo, s38
	s_and_saveexec_b32 s37, s13
	s_cbranch_execz .LBB2_1855
.LBB2_1854:                             ;   in Loop: Header=BB2_1850 Depth=4
	v_lshrrev_b16 v163, 3, v151
	v_lshlrev_b32_e32 v164, 24, v151
	s_delay_alu instid0(VALU_DEP_2) | instskip(NEXT) | instid1(VALU_DEP_1)
	v_and_b32_e32 v163, 15, v163
	v_cmp_eq_u32_e32 vcc_lo, 0, v163
	v_and_b32_e32 v160, 7, v151
	s_delay_alu instid0(VALU_DEP_1) | instskip(NEXT) | instid1(VALU_DEP_1)
	v_clz_i32_u32_e32 v161, v160
	v_min_u32_e32 v161, 32, v161
	s_delay_alu instid0(VALU_DEP_1) | instskip(SKIP_1) | instid1(VALU_DEP_1)
	v_subrev_nc_u32_e32 v162, 28, v161
	v_sub_nc_u32_e32 v161, 29, v161
	v_dual_cndmask_b32 v161, v163, v161 :: v_dual_lshlrev_b32 v162, v162, v151
	s_delay_alu instid0(VALU_DEP_1) | instskip(NEXT) | instid1(VALU_DEP_2)
	v_and_b32_e32 v162, 7, v162
	v_lshl_add_u32 v161, v161, 23, 0x3b800000
	s_delay_alu instid0(VALU_DEP_2) | instskip(SKIP_1) | instid1(VALU_DEP_2)
	v_cndmask_b32_e32 v160, v160, v162, vcc_lo
	v_and_b32_e32 v162, 0x80000000, v164
	v_lshlrev_b32_e32 v160, 20, v160
	s_delay_alu instid0(VALU_DEP_1)
	v_or3_b32 v160, v162, v161, v160
.LBB2_1855:                             ;   in Loop: Header=BB2_1850 Depth=4
	s_or_b32 exec_lo, exec_lo, s37
	s_waitcnt vmcnt(7) lgkmcnt(7)
	v_and_b32_e32 v162, 0xff, v70
	s_mov_b32 s13, 0
	s_mov_b32 s38, exec_lo
                                        ; implicit-def: $sgpr37
	s_delay_alu instid0(VALU_DEP_1)
	v_cmpx_lt_i16_e64 0x7f, v162
	s_xor_b32 s38, exec_lo, s38
	s_cbranch_execnz .LBB2_2084
; %bb.1856:                             ;   in Loop: Header=BB2_1850 Depth=4
	s_or_saveexec_b32 s38, s38
	v_mov_b32_e32 v161, s37
	s_xor_b32 exec_lo, exec_lo, s38
	s_cbranch_execnz .LBB2_2087
.LBB2_1857:                             ;   in Loop: Header=BB2_1850 Depth=4
	s_or_b32 exec_lo, exec_lo, s38
	s_and_saveexec_b32 s37, s13
	s_cbranch_execz .LBB2_1859
.LBB2_1858:                             ;   in Loop: Header=BB2_1850 Depth=4
	v_and_b32_e32 v161, 7, v70
	v_lshrrev_b16 v164, 3, v70
	v_lshlrev_b32_e32 v165, 24, v70
	s_delay_alu instid0(VALU_DEP_3) | instskip(NEXT) | instid1(VALU_DEP_1)
	v_clz_i32_u32_e32 v162, v161
	v_min_u32_e32 v162, 32, v162
	s_delay_alu instid0(VALU_DEP_1) | instskip(SKIP_1) | instid1(VALU_DEP_2)
	v_subrev_nc_u32_e32 v163, 28, v162
	v_sub_nc_u32_e32 v162, 29, v162
	v_lshlrev_b32_e32 v163, v163, v70
	s_delay_alu instid0(VALU_DEP_1) | instskip(SKIP_1) | instid1(VALU_DEP_1)
	v_and_b32_e32 v163, 7, v163
	v_and_b32_e32 v164, 15, v164
	v_cmp_eq_u32_e32 vcc_lo, 0, v164
	s_delay_alu instid0(VALU_DEP_3) | instskip(SKIP_1) | instid1(VALU_DEP_2)
	v_dual_cndmask_b32 v161, v161, v163 :: v_dual_cndmask_b32 v162, v164, v162
	v_and_b32_e32 v163, 0x80000000, v165
	v_lshlrev_b32_e32 v161, 20, v161
	s_delay_alu instid0(VALU_DEP_3) | instskip(NEXT) | instid1(VALU_DEP_1)
	v_lshl_add_u32 v162, v162, 23, 0x3b800000
	v_or3_b32 v161, v163, v162, v161
.LBB2_1859:                             ;   in Loop: Header=BB2_1850 Depth=4
	s_or_b32 exec_lo, exec_lo, s37
	s_delay_alu instid0(VALU_DEP_1) | instskip(SKIP_1) | instid1(VALU_DEP_1)
	v_dual_max_f32 v161, v161, v161 :: v_dual_max_f32 v160, v160, v160
	s_mov_b32 s13, 0
	v_max_f32_e32 v160, v160, v161
	s_branch .LBB2_1861
.LBB2_1860:                             ;   in Loop: Header=BB2_1850 Depth=4
	s_mov_b32 s13, -1
                                        ; implicit-def: $vgpr160
.LBB2_1861:                             ;   in Loop: Header=BB2_1850 Depth=4
	s_delay_alu instid0(SALU_CYCLE_1)
	s_and_b32 vcc_lo, exec_lo, s13
	s_cbranch_vccz .LBB2_1871
; %bb.1862:                             ;   in Loop: Header=BB2_1850 Depth=4
	s_waitcnt vmcnt(15) lgkmcnt(15)
	v_and_b32_e32 v161, 0xff, v151
	s_mov_b32 s13, 0
	s_mov_b32 s38, exec_lo
                                        ; implicit-def: $sgpr37
	s_delay_alu instid0(VALU_DEP_1)
	v_cmpx_lt_i16_e64 0x7f, v161
	s_xor_b32 s38, exec_lo, s38
	s_cbranch_execnz .LBB2_2088
; %bb.1863:                             ;   in Loop: Header=BB2_1850 Depth=4
	s_or_saveexec_b32 s38, s38
	v_mov_b32_e32 v160, s37
	s_xor_b32 exec_lo, exec_lo, s38
	s_cbranch_execnz .LBB2_2091
.LBB2_1864:                             ;   in Loop: Header=BB2_1850 Depth=4
	s_or_b32 exec_lo, exec_lo, s38
	s_and_saveexec_b32 s37, s13
	s_cbranch_execz .LBB2_1866
.LBB2_1865:                             ;   in Loop: Header=BB2_1850 Depth=4
	v_lshrrev_b16 v163, 3, v151
	s_delay_alu instid0(VALU_DEP_1) | instskip(NEXT) | instid1(VALU_DEP_1)
	v_and_b32_e32 v163, 15, v163
	v_cmp_eq_u32_e32 vcc_lo, 0, v163
	v_and_b32_e32 v160, 7, v151
	s_delay_alu instid0(VALU_DEP_1) | instskip(NEXT) | instid1(VALU_DEP_1)
	v_clz_i32_u32_e32 v161, v160
	v_min_u32_e32 v161, 32, v161
	s_delay_alu instid0(VALU_DEP_1) | instskip(SKIP_1) | instid1(VALU_DEP_1)
	v_subrev_nc_u32_e32 v162, 28, v161
	v_sub_nc_u32_e32 v161, 29, v161
	v_dual_cndmask_b32 v161, v163, v161 :: v_dual_lshlrev_b32 v162, v162, v151
	v_lshlrev_b32_e32 v151, 24, v151
	s_delay_alu instid0(VALU_DEP_2) | instskip(NEXT) | instid1(VALU_DEP_3)
	v_and_b32_e32 v162, 7, v162
	v_lshl_add_u32 v161, v161, 23, 0x3b800000
	s_delay_alu instid0(VALU_DEP_2) | instskip(NEXT) | instid1(VALU_DEP_1)
	v_dual_cndmask_b32 v160, v160, v162 :: v_dual_and_b32 v151, 0x80000000, v151
	v_lshlrev_b32_e32 v160, 20, v160
	s_delay_alu instid0(VALU_DEP_1)
	v_or3_b32 v160, v151, v161, v160
.LBB2_1866:                             ;   in Loop: Header=BB2_1850 Depth=4
	s_or_b32 exec_lo, exec_lo, s37
	s_waitcnt vmcnt(7) lgkmcnt(7)
	v_and_b32_e32 v161, 0xff, v70
	s_mov_b32 s13, 0
	s_mov_b32 s38, exec_lo
                                        ; implicit-def: $sgpr37
	s_delay_alu instid0(VALU_DEP_1)
	v_cmpx_lt_i16_e64 0x7f, v161
	s_xor_b32 s38, exec_lo, s38
	s_cbranch_execnz .LBB2_2092
; %bb.1867:                             ;   in Loop: Header=BB2_1850 Depth=4
	s_or_saveexec_b32 s38, s38
	v_mov_b32_e32 v151, s37
	s_xor_b32 exec_lo, exec_lo, s38
	s_cbranch_execnz .LBB2_2095
.LBB2_1868:                             ;   in Loop: Header=BB2_1850 Depth=4
	s_or_b32 exec_lo, exec_lo, s38
	s_and_saveexec_b32 s37, s13
	s_cbranch_execz .LBB2_1870
.LBB2_1869:                             ;   in Loop: Header=BB2_1850 Depth=4
	v_and_b32_e32 v151, 7, v70
	v_lshrrev_b16 v163, 3, v70
	s_delay_alu instid0(VALU_DEP_2) | instskip(NEXT) | instid1(VALU_DEP_2)
	v_clz_i32_u32_e32 v161, v151
	v_and_b32_e32 v163, 15, v163
	s_delay_alu instid0(VALU_DEP_2) | instskip(NEXT) | instid1(VALU_DEP_2)
	v_min_u32_e32 v161, 32, v161
	v_cmp_eq_u32_e32 vcc_lo, 0, v163
	s_delay_alu instid0(VALU_DEP_2) | instskip(SKIP_1) | instid1(VALU_DEP_1)
	v_subrev_nc_u32_e32 v162, 28, v161
	v_sub_nc_u32_e32 v161, 29, v161
	v_dual_cndmask_b32 v161, v163, v161 :: v_dual_lshlrev_b32 v162, v162, v70
	v_lshlrev_b32_e32 v70, 24, v70
	s_delay_alu instid0(VALU_DEP_2) | instskip(NEXT) | instid1(VALU_DEP_3)
	v_and_b32_e32 v162, 7, v162
	v_lshl_add_u32 v161, v161, 23, 0x3b800000
	s_delay_alu instid0(VALU_DEP_3) | instskip(NEXT) | instid1(VALU_DEP_3)
	v_and_b32_e32 v70, 0x80000000, v70
	v_cndmask_b32_e32 v151, v151, v162, vcc_lo
	s_delay_alu instid0(VALU_DEP_1) | instskip(NEXT) | instid1(VALU_DEP_1)
	v_lshlrev_b32_e32 v151, 20, v151
	v_or3_b32 v151, v70, v161, v151
.LBB2_1870:                             ;   in Loop: Header=BB2_1850 Depth=4
	s_or_b32 exec_lo, exec_lo, s37
	s_delay_alu instid0(VALU_DEP_1) | instskip(NEXT) | instid1(VALU_DEP_1)
	v_dual_max_f32 v70, v151, v151 :: v_dual_max_f32 v151, v160, v160
	v_min_f32_e32 v160, v151, v70
.LBB2_1871:                             ;   in Loop: Header=BB2_1850 Depth=4
	s_waitcnt vmcnt(7) lgkmcnt(7)
	s_delay_alu instid0(VALU_DEP_1) | instskip(NEXT) | instid1(VALU_DEP_1)
	v_and_b32_e32 v70, 0x7f800000, v160
	v_cmp_ne_u32_e32 vcc_lo, 0x7f800000, v70
	v_mov_b32_e32 v70, 0x80
	s_and_saveexec_b32 s37, vcc_lo
	s_cbranch_execz .LBB2_1879
; %bb.1872:                             ;   in Loop: Header=BB2_1850 Depth=4
	v_mov_b32_e32 v70, 0
	s_mov_b32 s38, exec_lo
	v_cmpx_ne_u32_e32 0, v160
	s_cbranch_execz .LBB2_1878
; %bb.1873:                             ;   in Loop: Header=BB2_1850 Depth=4
	v_bfe_u32 v70, v160, 23, 8
	v_and_b32_e32 v151, 0x7fffff, v160
	s_delay_alu instid0(VALU_DEP_2) | instskip(SKIP_1) | instid1(VALU_DEP_3)
	v_sub_nc_u32_e32 v161, 0x78, v70
	v_cmp_gt_u32_e32 vcc_lo, 0x79, v70
	v_or_b32_e32 v162, 0x800000, v151
	s_delay_alu instid0(VALU_DEP_3) | instskip(SKIP_2) | instid1(VALU_DEP_3)
	v_cndmask_b32_e32 v161, 0, v161, vcc_lo
	v_cmp_eq_u32_e32 vcc_lo, 0, v70
	v_add_nc_u32_e32 v70, 0xffffff89, v70
	v_cndmask_b32_e64 v161, v161, 0x77, vcc_lo
	v_cndmask_b32_e32 v151, v162, v151, vcc_lo
	s_delay_alu instid0(VALU_DEP_3) | instskip(NEXT) | instid1(VALU_DEP_3)
	v_cndmask_b32_e64 v70, v70, 0xffffff8a, vcc_lo
	v_lshl_add_u32 v162, 0x100000, v161, -1
	s_delay_alu instid0(VALU_DEP_3) | instskip(SKIP_1) | instid1(VALU_DEP_4)
	v_lshrrev_b32_e32 v163, v161, v151
	v_lshlrev_b32_e64 v165, v161, 0x80000
	v_add_nc_u32_e32 v161, v161, v70
	s_delay_alu instid0(VALU_DEP_4) | instskip(NEXT) | instid1(VALU_DEP_4)
	v_and_b32_e32 v151, v162, v151
	v_bfe_u32 v164, v163, 20, 1
	s_delay_alu instid0(VALU_DEP_2) | instskip(NEXT) | instid1(VALU_DEP_2)
	v_cmp_eq_u32_e64 s13, v151, v165
	v_add_nc_u32_e32 v162, -1, v164
	s_delay_alu instid0(VALU_DEP_1) | instskip(SKIP_2) | instid1(VALU_DEP_2)
	v_cndmask_b32_e64 v151, 0, v162, s13
	v_lshrrev_b32_e32 v162, 23, v163
	s_mov_b32 s13, exec_lo
	v_add_nc_u32_e32 v151, v151, v163
	s_delay_alu instid0(VALU_DEP_2) | instskip(NEXT) | instid1(VALU_DEP_2)
	v_xor_b32_e32 v162, 1, v162
	v_and_b32_e32 v70, 0xfffff, v151
	s_delay_alu instid0(VALU_DEP_1) | instskip(NEXT) | instid1(VALU_DEP_3)
	v_add_nc_u32_e32 v151, v70, v163
                                        ; implicit-def: $vgpr70
	v_cmpx_ne_u32_e64 v161, v162
	s_xor_b32 s13, exec_lo, s13
; %bb.1874:                             ;   in Loop: Header=BB2_1850 Depth=4
	s_delay_alu instid0(VALU_DEP_2) | instskip(SKIP_2) | instid1(VALU_DEP_2)
	v_cmp_lt_u32_e32 vcc_lo, 0xffffff, v151
	v_sub_nc_u32_e32 v70, v161, v162
	v_cndmask_b32_e64 v161, 0, 1, vcc_lo
	v_add_co_ci_u32_e32 v70, vcc_lo, 0, v70, vcc_lo
	s_delay_alu instid0(VALU_DEP_2)
	v_lshrrev_b32_e32 v151, v161, v151
; %bb.1875:                             ;   in Loop: Header=BB2_1850 Depth=4
	s_and_not1_saveexec_b32 s13, s13
; %bb.1876:                             ;   in Loop: Header=BB2_1850 Depth=4
	s_delay_alu instid0(VALU_DEP_1)
	v_bfe_u32 v70, v151, 23, 1
; %bb.1877:                             ;   in Loop: Header=BB2_1850 Depth=4
	s_or_b32 exec_lo, exec_lo, s13
	v_lshrrev_b32_e32 v151, 20, v151
	s_delay_alu instid0(VALU_DEP_2) | instskip(SKIP_2) | instid1(VALU_DEP_2)
	v_cmp_gt_i32_e32 vcc_lo, 16, v70
	v_lshrrev_b32_e32 v160, 24, v160
	v_min_i32_e32 v161, 15, v70
	v_dual_cndmask_b32 v151, 7, v151 :: v_dual_and_b32 v160, 0x80, v160
	s_delay_alu instid0(VALU_DEP_1) | instskip(SKIP_1) | instid1(VALU_DEP_2)
	v_or_b32_e32 v70, v70, v151
	v_and_b32_e32 v162, 7, v151
	v_cmp_ne_u32_e32 vcc_lo, 0, v70
	v_lshlrev_b32_e32 v161, 3, v161
	s_delay_alu instid0(VALU_DEP_1) | instskip(NEXT) | instid1(VALU_DEP_1)
	v_or3_b32 v151, v161, v160, v162
	v_cndmask_b32_e32 v70, 0, v151, vcc_lo
.LBB2_1878:                             ;   in Loop: Header=BB2_1850 Depth=4
	s_or_b32 exec_lo, exec_lo, s38
.LBB2_1879:                             ;   in Loop: Header=BB2_1850 Depth=4
	s_delay_alu instid0(SALU_CYCLE_1) | instskip(NEXT) | instid1(SALU_CYCLE_1)
	s_or_b32 exec_lo, exec_lo, s37
	s_and_not1_b32 vcc_lo, exec_lo, s35
	s_cbranch_vccnz .LBB2_1889
; %bb.1880:                             ;   in Loop: Header=BB2_1850 Depth=4
	v_and_b32_e32 v160, 0xff, v150
	s_mov_b32 s13, 0
	s_mov_b32 s38, exec_lo
                                        ; implicit-def: $sgpr37
	s_delay_alu instid0(VALU_DEP_1)
	v_cmpx_lt_i16_e64 0x7f, v160
	s_xor_b32 s38, exec_lo, s38
	s_cbranch_execnz .LBB2_2096
; %bb.1881:                             ;   in Loop: Header=BB2_1850 Depth=4
	s_or_saveexec_b32 s38, s38
	v_mov_b32_e32 v151, s37
	s_xor_b32 exec_lo, exec_lo, s38
	s_cbranch_execnz .LBB2_2099
.LBB2_1882:                             ;   in Loop: Header=BB2_1850 Depth=4
	s_or_b32 exec_lo, exec_lo, s38
	s_and_saveexec_b32 s37, s13
	s_cbranch_execz .LBB2_1884
.LBB2_1883:                             ;   in Loop: Header=BB2_1850 Depth=4
	v_lshrrev_b16 v162, 3, v150
	v_lshlrev_b32_e32 v163, 24, v150
	s_delay_alu instid0(VALU_DEP_2) | instskip(NEXT) | instid1(VALU_DEP_1)
	v_and_b32_e32 v162, 15, v162
	v_cmp_eq_u32_e32 vcc_lo, 0, v162
	v_and_b32_e32 v151, 7, v150
	s_delay_alu instid0(VALU_DEP_1) | instskip(NEXT) | instid1(VALU_DEP_1)
	v_clz_i32_u32_e32 v160, v151
	v_min_u32_e32 v160, 32, v160
	s_delay_alu instid0(VALU_DEP_1) | instskip(SKIP_1) | instid1(VALU_DEP_1)
	v_subrev_nc_u32_e32 v161, 28, v160
	v_sub_nc_u32_e32 v160, 29, v160
	v_dual_cndmask_b32 v160, v162, v160 :: v_dual_lshlrev_b32 v161, v161, v150
	s_delay_alu instid0(VALU_DEP_1) | instskip(NEXT) | instid1(VALU_DEP_2)
	v_and_b32_e32 v161, 7, v161
	v_lshl_add_u32 v160, v160, 23, 0x3b800000
	s_delay_alu instid0(VALU_DEP_2) | instskip(SKIP_1) | instid1(VALU_DEP_2)
	v_cndmask_b32_e32 v151, v151, v161, vcc_lo
	v_and_b32_e32 v161, 0x80000000, v163
	v_lshlrev_b32_e32 v151, 20, v151
	s_delay_alu instid0(VALU_DEP_1)
	v_or3_b32 v151, v161, v160, v151
.LBB2_1884:                             ;   in Loop: Header=BB2_1850 Depth=4
	s_or_b32 exec_lo, exec_lo, s37
	s_waitcnt vmcnt(6) lgkmcnt(6)
	v_and_b32_e32 v161, 0xff, v133
	s_mov_b32 s13, 0
	s_mov_b32 s38, exec_lo
                                        ; implicit-def: $sgpr37
	s_delay_alu instid0(VALU_DEP_1)
	v_cmpx_lt_i16_e64 0x7f, v161
	s_xor_b32 s38, exec_lo, s38
	s_cbranch_execnz .LBB2_2100
; %bb.1885:                             ;   in Loop: Header=BB2_1850 Depth=4
	s_or_saveexec_b32 s38, s38
	v_mov_b32_e32 v160, s37
	s_xor_b32 exec_lo, exec_lo, s38
	s_cbranch_execnz .LBB2_2103
.LBB2_1886:                             ;   in Loop: Header=BB2_1850 Depth=4
	s_or_b32 exec_lo, exec_lo, s38
	s_and_saveexec_b32 s37, s13
	s_cbranch_execz .LBB2_1888
.LBB2_1887:                             ;   in Loop: Header=BB2_1850 Depth=4
	v_and_b32_e32 v160, 7, v133
	v_lshrrev_b16 v163, 3, v133
	v_lshlrev_b32_e32 v164, 24, v133
	s_delay_alu instid0(VALU_DEP_3) | instskip(NEXT) | instid1(VALU_DEP_1)
	v_clz_i32_u32_e32 v161, v160
	v_min_u32_e32 v161, 32, v161
	s_delay_alu instid0(VALU_DEP_1) | instskip(SKIP_1) | instid1(VALU_DEP_2)
	v_subrev_nc_u32_e32 v162, 28, v161
	v_sub_nc_u32_e32 v161, 29, v161
	v_lshlrev_b32_e32 v162, v162, v133
	s_delay_alu instid0(VALU_DEP_1) | instskip(SKIP_1) | instid1(VALU_DEP_1)
	v_and_b32_e32 v162, 7, v162
	v_and_b32_e32 v163, 15, v163
	v_cmp_eq_u32_e32 vcc_lo, 0, v163
	s_delay_alu instid0(VALU_DEP_3) | instskip(SKIP_1) | instid1(VALU_DEP_2)
	v_dual_cndmask_b32 v160, v160, v162 :: v_dual_cndmask_b32 v161, v163, v161
	v_and_b32_e32 v162, 0x80000000, v164
	v_lshlrev_b32_e32 v160, 20, v160
	s_delay_alu instid0(VALU_DEP_3) | instskip(NEXT) | instid1(VALU_DEP_1)
	v_lshl_add_u32 v161, v161, 23, 0x3b800000
	v_or3_b32 v160, v162, v161, v160
.LBB2_1888:                             ;   in Loop: Header=BB2_1850 Depth=4
	s_or_b32 exec_lo, exec_lo, s37
	s_delay_alu instid0(VALU_DEP_1) | instskip(SKIP_1) | instid1(VALU_DEP_1)
	v_dual_max_f32 v160, v160, v160 :: v_dual_max_f32 v151, v151, v151
	s_mov_b32 s13, 0
	v_max_f32_e32 v151, v151, v160
	s_branch .LBB2_1890
.LBB2_1889:                             ;   in Loop: Header=BB2_1850 Depth=4
	s_mov_b32 s13, -1
                                        ; implicit-def: $vgpr151
.LBB2_1890:                             ;   in Loop: Header=BB2_1850 Depth=4
	s_delay_alu instid0(SALU_CYCLE_1)
	s_and_b32 vcc_lo, exec_lo, s13
	s_cbranch_vccz .LBB2_1900
; %bb.1891:                             ;   in Loop: Header=BB2_1850 Depth=4
	v_and_b32_e32 v160, 0xff, v150
	s_mov_b32 s13, 0
	s_mov_b32 s38, exec_lo
                                        ; implicit-def: $sgpr37
	s_delay_alu instid0(VALU_DEP_1)
	v_cmpx_lt_i16_e64 0x7f, v160
	s_xor_b32 s38, exec_lo, s38
	s_cbranch_execnz .LBB2_2104
; %bb.1892:                             ;   in Loop: Header=BB2_1850 Depth=4
	s_or_saveexec_b32 s38, s38
	v_mov_b32_e32 v151, s37
	s_xor_b32 exec_lo, exec_lo, s38
	s_cbranch_execnz .LBB2_2107
.LBB2_1893:                             ;   in Loop: Header=BB2_1850 Depth=4
	s_or_b32 exec_lo, exec_lo, s38
	s_and_saveexec_b32 s37, s13
	s_cbranch_execz .LBB2_1895
.LBB2_1894:                             ;   in Loop: Header=BB2_1850 Depth=4
	v_lshrrev_b16 v162, 3, v150
	s_delay_alu instid0(VALU_DEP_1) | instskip(NEXT) | instid1(VALU_DEP_1)
	v_and_b32_e32 v162, 15, v162
	v_cmp_eq_u32_e32 vcc_lo, 0, v162
	v_and_b32_e32 v151, 7, v150
	s_delay_alu instid0(VALU_DEP_1) | instskip(NEXT) | instid1(VALU_DEP_1)
	v_clz_i32_u32_e32 v160, v151
	v_min_u32_e32 v160, 32, v160
	s_delay_alu instid0(VALU_DEP_1) | instskip(SKIP_1) | instid1(VALU_DEP_1)
	v_subrev_nc_u32_e32 v161, 28, v160
	v_sub_nc_u32_e32 v160, 29, v160
	v_dual_cndmask_b32 v160, v162, v160 :: v_dual_lshlrev_b32 v161, v161, v150
	v_lshlrev_b32_e32 v150, 24, v150
	s_delay_alu instid0(VALU_DEP_2) | instskip(NEXT) | instid1(VALU_DEP_3)
	v_and_b32_e32 v161, 7, v161
	v_lshl_add_u32 v160, v160, 23, 0x3b800000
	s_delay_alu instid0(VALU_DEP_2) | instskip(NEXT) | instid1(VALU_DEP_1)
	v_dual_cndmask_b32 v151, v151, v161 :: v_dual_and_b32 v150, 0x80000000, v150
	v_lshlrev_b32_e32 v151, 20, v151
	s_delay_alu instid0(VALU_DEP_1)
	v_or3_b32 v151, v150, v160, v151
.LBB2_1895:                             ;   in Loop: Header=BB2_1850 Depth=4
	s_or_b32 exec_lo, exec_lo, s37
	s_waitcnt vmcnt(6) lgkmcnt(6)
	v_and_b32_e32 v160, 0xff, v133
	s_mov_b32 s13, 0
	s_mov_b32 s38, exec_lo
                                        ; implicit-def: $sgpr37
	s_delay_alu instid0(VALU_DEP_1)
	v_cmpx_lt_i16_e64 0x7f, v160
	s_xor_b32 s38, exec_lo, s38
	s_cbranch_execnz .LBB2_2108
; %bb.1896:                             ;   in Loop: Header=BB2_1850 Depth=4
	s_or_saveexec_b32 s38, s38
	v_mov_b32_e32 v150, s37
	s_xor_b32 exec_lo, exec_lo, s38
	s_cbranch_execnz .LBB2_2111
.LBB2_1897:                             ;   in Loop: Header=BB2_1850 Depth=4
	s_or_b32 exec_lo, exec_lo, s38
	s_and_saveexec_b32 s37, s13
	s_cbranch_execz .LBB2_1899
.LBB2_1898:                             ;   in Loop: Header=BB2_1850 Depth=4
	v_and_b32_e32 v150, 7, v133
	v_lshrrev_b16 v162, 3, v133
	s_delay_alu instid0(VALU_DEP_2) | instskip(NEXT) | instid1(VALU_DEP_2)
	v_clz_i32_u32_e32 v160, v150
	v_and_b32_e32 v162, 15, v162
	s_delay_alu instid0(VALU_DEP_2) | instskip(NEXT) | instid1(VALU_DEP_2)
	v_min_u32_e32 v160, 32, v160
	v_cmp_eq_u32_e32 vcc_lo, 0, v162
	s_delay_alu instid0(VALU_DEP_2) | instskip(SKIP_1) | instid1(VALU_DEP_1)
	v_subrev_nc_u32_e32 v161, 28, v160
	v_sub_nc_u32_e32 v160, 29, v160
	v_dual_cndmask_b32 v160, v162, v160 :: v_dual_lshlrev_b32 v161, v161, v133
	v_lshlrev_b32_e32 v133, 24, v133
	s_delay_alu instid0(VALU_DEP_2) | instskip(NEXT) | instid1(VALU_DEP_3)
	v_and_b32_e32 v161, 7, v161
	v_lshl_add_u32 v160, v160, 23, 0x3b800000
	s_delay_alu instid0(VALU_DEP_3) | instskip(NEXT) | instid1(VALU_DEP_3)
	v_and_b32_e32 v133, 0x80000000, v133
	v_cndmask_b32_e32 v150, v150, v161, vcc_lo
	s_delay_alu instid0(VALU_DEP_1) | instskip(NEXT) | instid1(VALU_DEP_1)
	v_lshlrev_b32_e32 v150, 20, v150
	v_or3_b32 v150, v133, v160, v150
.LBB2_1899:                             ;   in Loop: Header=BB2_1850 Depth=4
	s_or_b32 exec_lo, exec_lo, s37
	s_delay_alu instid0(VALU_DEP_1) | instskip(NEXT) | instid1(VALU_DEP_1)
	v_dual_max_f32 v133, v150, v150 :: v_dual_max_f32 v150, v151, v151
	v_min_f32_e32 v151, v150, v133
.LBB2_1900:                             ;   in Loop: Header=BB2_1850 Depth=4
	s_waitcnt vmcnt(6) lgkmcnt(6)
	s_delay_alu instid0(VALU_DEP_1) | instskip(NEXT) | instid1(VALU_DEP_1)
	v_and_b32_e32 v133, 0x7f800000, v151
	v_cmp_ne_u32_e32 vcc_lo, 0x7f800000, v133
	v_mov_b32_e32 v133, 0x80
	s_and_saveexec_b32 s37, vcc_lo
	s_cbranch_execz .LBB2_1908
; %bb.1901:                             ;   in Loop: Header=BB2_1850 Depth=4
	v_mov_b32_e32 v133, 0
	s_mov_b32 s38, exec_lo
	v_cmpx_ne_u32_e32 0, v151
	s_cbranch_execz .LBB2_1907
; %bb.1902:                             ;   in Loop: Header=BB2_1850 Depth=4
	v_bfe_u32 v133, v151, 23, 8
	v_and_b32_e32 v150, 0x7fffff, v151
	s_delay_alu instid0(VALU_DEP_2) | instskip(SKIP_1) | instid1(VALU_DEP_3)
	v_sub_nc_u32_e32 v160, 0x78, v133
	v_cmp_gt_u32_e32 vcc_lo, 0x79, v133
	v_or_b32_e32 v161, 0x800000, v150
	s_delay_alu instid0(VALU_DEP_3) | instskip(SKIP_2) | instid1(VALU_DEP_3)
	v_cndmask_b32_e32 v160, 0, v160, vcc_lo
	v_cmp_eq_u32_e32 vcc_lo, 0, v133
	v_add_nc_u32_e32 v133, 0xffffff89, v133
	v_cndmask_b32_e64 v160, v160, 0x77, vcc_lo
	v_cndmask_b32_e32 v150, v161, v150, vcc_lo
	s_delay_alu instid0(VALU_DEP_3) | instskip(NEXT) | instid1(VALU_DEP_3)
	v_cndmask_b32_e64 v133, v133, 0xffffff8a, vcc_lo
	v_lshl_add_u32 v161, 0x100000, v160, -1
	s_delay_alu instid0(VALU_DEP_3) | instskip(SKIP_1) | instid1(VALU_DEP_4)
	v_lshrrev_b32_e32 v162, v160, v150
	v_lshlrev_b32_e64 v164, v160, 0x80000
	v_add_nc_u32_e32 v160, v160, v133
	s_delay_alu instid0(VALU_DEP_4) | instskip(NEXT) | instid1(VALU_DEP_4)
	v_and_b32_e32 v150, v161, v150
	v_bfe_u32 v163, v162, 20, 1
	s_delay_alu instid0(VALU_DEP_2) | instskip(NEXT) | instid1(VALU_DEP_2)
	v_cmp_eq_u32_e64 s13, v150, v164
	v_add_nc_u32_e32 v161, -1, v163
	s_delay_alu instid0(VALU_DEP_1) | instskip(SKIP_2) | instid1(VALU_DEP_2)
	v_cndmask_b32_e64 v150, 0, v161, s13
	v_lshrrev_b32_e32 v161, 23, v162
	s_mov_b32 s13, exec_lo
	v_add_nc_u32_e32 v150, v150, v162
	s_delay_alu instid0(VALU_DEP_2) | instskip(NEXT) | instid1(VALU_DEP_2)
	v_xor_b32_e32 v161, 1, v161
	v_and_b32_e32 v133, 0xfffff, v150
	s_delay_alu instid0(VALU_DEP_1) | instskip(NEXT) | instid1(VALU_DEP_3)
	v_add_nc_u32_e32 v150, v133, v162
                                        ; implicit-def: $vgpr133
	v_cmpx_ne_u32_e64 v160, v161
	s_xor_b32 s13, exec_lo, s13
; %bb.1903:                             ;   in Loop: Header=BB2_1850 Depth=4
	s_delay_alu instid0(VALU_DEP_2) | instskip(SKIP_2) | instid1(VALU_DEP_2)
	v_cmp_lt_u32_e32 vcc_lo, 0xffffff, v150
	v_sub_nc_u32_e32 v133, v160, v161
	v_cndmask_b32_e64 v160, 0, 1, vcc_lo
	v_add_co_ci_u32_e32 v133, vcc_lo, 0, v133, vcc_lo
	s_delay_alu instid0(VALU_DEP_2)
	v_lshrrev_b32_e32 v150, v160, v150
; %bb.1904:                             ;   in Loop: Header=BB2_1850 Depth=4
	s_and_not1_saveexec_b32 s13, s13
; %bb.1905:                             ;   in Loop: Header=BB2_1850 Depth=4
	s_delay_alu instid0(VALU_DEP_1)
	v_bfe_u32 v133, v150, 23, 1
; %bb.1906:                             ;   in Loop: Header=BB2_1850 Depth=4
	s_or_b32 exec_lo, exec_lo, s13
	v_lshrrev_b32_e32 v150, 20, v150
	s_delay_alu instid0(VALU_DEP_2) | instskip(SKIP_2) | instid1(VALU_DEP_2)
	v_cmp_gt_i32_e32 vcc_lo, 16, v133
	v_lshrrev_b32_e32 v151, 24, v151
	v_min_i32_e32 v160, 15, v133
	v_dual_cndmask_b32 v150, 7, v150 :: v_dual_and_b32 v151, 0x80, v151
	s_delay_alu instid0(VALU_DEP_1) | instskip(SKIP_1) | instid1(VALU_DEP_2)
	v_or_b32_e32 v133, v133, v150
	v_and_b32_e32 v161, 7, v150
	v_cmp_ne_u32_e32 vcc_lo, 0, v133
	v_lshlrev_b32_e32 v160, 3, v160
	s_delay_alu instid0(VALU_DEP_1) | instskip(NEXT) | instid1(VALU_DEP_1)
	v_or3_b32 v150, v160, v151, v161
	v_cndmask_b32_e32 v133, 0, v150, vcc_lo
.LBB2_1907:                             ;   in Loop: Header=BB2_1850 Depth=4
	s_or_b32 exec_lo, exec_lo, s38
.LBB2_1908:                             ;   in Loop: Header=BB2_1850 Depth=4
	s_delay_alu instid0(SALU_CYCLE_1) | instskip(NEXT) | instid1(SALU_CYCLE_1)
	s_or_b32 exec_lo, exec_lo, s37
	s_and_not1_b32 vcc_lo, exec_lo, s35
	s_cbranch_vccnz .LBB2_1918
; %bb.1909:                             ;   in Loop: Header=BB2_1850 Depth=4
	v_and_b32_e32 v151, 0xff, v149
	s_mov_b32 s13, 0
	s_mov_b32 s38, exec_lo
                                        ; implicit-def: $sgpr37
	s_delay_alu instid0(VALU_DEP_1)
	v_cmpx_lt_i16_e64 0x7f, v151
	s_xor_b32 s38, exec_lo, s38
	s_cbranch_execnz .LBB2_2112
; %bb.1910:                             ;   in Loop: Header=BB2_1850 Depth=4
	s_or_saveexec_b32 s38, s38
	v_mov_b32_e32 v150, s37
	s_xor_b32 exec_lo, exec_lo, s38
	s_cbranch_execnz .LBB2_2115
.LBB2_1911:                             ;   in Loop: Header=BB2_1850 Depth=4
	s_or_b32 exec_lo, exec_lo, s38
	s_and_saveexec_b32 s37, s13
	s_cbranch_execz .LBB2_1913
.LBB2_1912:                             ;   in Loop: Header=BB2_1850 Depth=4
	v_lshrrev_b16 v161, 3, v149
	v_lshlrev_b32_e32 v162, 24, v149
	s_delay_alu instid0(VALU_DEP_2) | instskip(NEXT) | instid1(VALU_DEP_1)
	v_and_b32_e32 v161, 15, v161
	v_cmp_eq_u32_e32 vcc_lo, 0, v161
	v_and_b32_e32 v150, 7, v149
	s_delay_alu instid0(VALU_DEP_1) | instskip(NEXT) | instid1(VALU_DEP_1)
	v_clz_i32_u32_e32 v151, v150
	v_min_u32_e32 v151, 32, v151
	s_delay_alu instid0(VALU_DEP_1) | instskip(SKIP_1) | instid1(VALU_DEP_1)
	v_subrev_nc_u32_e32 v160, 28, v151
	v_sub_nc_u32_e32 v151, 29, v151
	v_dual_cndmask_b32 v151, v161, v151 :: v_dual_lshlrev_b32 v160, v160, v149
	s_delay_alu instid0(VALU_DEP_1) | instskip(NEXT) | instid1(VALU_DEP_2)
	v_and_b32_e32 v160, 7, v160
	v_lshl_add_u32 v151, v151, 23, 0x3b800000
	s_delay_alu instid0(VALU_DEP_2) | instskip(SKIP_1) | instid1(VALU_DEP_2)
	v_cndmask_b32_e32 v150, v150, v160, vcc_lo
	v_and_b32_e32 v160, 0x80000000, v162
	v_lshlrev_b32_e32 v150, 20, v150
	s_delay_alu instid0(VALU_DEP_1)
	v_or3_b32 v150, v160, v151, v150
.LBB2_1913:                             ;   in Loop: Header=BB2_1850 Depth=4
	s_or_b32 exec_lo, exec_lo, s37
	s_waitcnt vmcnt(5) lgkmcnt(5)
	v_and_b32_e32 v160, 0xff, v144
	s_mov_b32 s13, 0
	s_mov_b32 s38, exec_lo
                                        ; implicit-def: $sgpr37
	s_delay_alu instid0(VALU_DEP_1)
	v_cmpx_lt_i16_e64 0x7f, v160
	s_xor_b32 s38, exec_lo, s38
	s_cbranch_execnz .LBB2_2116
; %bb.1914:                             ;   in Loop: Header=BB2_1850 Depth=4
	s_or_saveexec_b32 s38, s38
	v_mov_b32_e32 v151, s37
	s_xor_b32 exec_lo, exec_lo, s38
	s_cbranch_execnz .LBB2_2119
.LBB2_1915:                             ;   in Loop: Header=BB2_1850 Depth=4
	s_or_b32 exec_lo, exec_lo, s38
	s_and_saveexec_b32 s37, s13
	s_cbranch_execz .LBB2_1917
.LBB2_1916:                             ;   in Loop: Header=BB2_1850 Depth=4
	v_and_b32_e32 v151, 7, v144
	v_lshrrev_b16 v162, 3, v144
	v_lshlrev_b32_e32 v163, 24, v144
	s_delay_alu instid0(VALU_DEP_3) | instskip(NEXT) | instid1(VALU_DEP_1)
	v_clz_i32_u32_e32 v160, v151
	v_min_u32_e32 v160, 32, v160
	s_delay_alu instid0(VALU_DEP_1) | instskip(SKIP_1) | instid1(VALU_DEP_2)
	v_subrev_nc_u32_e32 v161, 28, v160
	v_sub_nc_u32_e32 v160, 29, v160
	v_lshlrev_b32_e32 v161, v161, v144
	s_delay_alu instid0(VALU_DEP_1) | instskip(SKIP_1) | instid1(VALU_DEP_1)
	v_and_b32_e32 v161, 7, v161
	v_and_b32_e32 v162, 15, v162
	v_cmp_eq_u32_e32 vcc_lo, 0, v162
	s_delay_alu instid0(VALU_DEP_3) | instskip(SKIP_1) | instid1(VALU_DEP_2)
	v_dual_cndmask_b32 v151, v151, v161 :: v_dual_cndmask_b32 v160, v162, v160
	v_and_b32_e32 v161, 0x80000000, v163
	v_lshlrev_b32_e32 v151, 20, v151
	s_delay_alu instid0(VALU_DEP_3) | instskip(NEXT) | instid1(VALU_DEP_1)
	v_lshl_add_u32 v160, v160, 23, 0x3b800000
	v_or3_b32 v151, v161, v160, v151
.LBB2_1917:                             ;   in Loop: Header=BB2_1850 Depth=4
	s_or_b32 exec_lo, exec_lo, s37
	s_delay_alu instid0(VALU_DEP_1) | instskip(SKIP_1) | instid1(VALU_DEP_1)
	v_dual_max_f32 v151, v151, v151 :: v_dual_max_f32 v150, v150, v150
	s_mov_b32 s13, 0
	v_max_f32_e32 v150, v150, v151
	s_branch .LBB2_1919
.LBB2_1918:                             ;   in Loop: Header=BB2_1850 Depth=4
	s_mov_b32 s13, -1
                                        ; implicit-def: $vgpr150
.LBB2_1919:                             ;   in Loop: Header=BB2_1850 Depth=4
	s_delay_alu instid0(SALU_CYCLE_1)
	s_and_b32 vcc_lo, exec_lo, s13
	s_cbranch_vccz .LBB2_1929
; %bb.1920:                             ;   in Loop: Header=BB2_1850 Depth=4
	v_and_b32_e32 v151, 0xff, v149
	s_mov_b32 s13, 0
	s_mov_b32 s38, exec_lo
                                        ; implicit-def: $sgpr37
	s_delay_alu instid0(VALU_DEP_1)
	v_cmpx_lt_i16_e64 0x7f, v151
	s_xor_b32 s38, exec_lo, s38
	s_cbranch_execnz .LBB2_2120
; %bb.1921:                             ;   in Loop: Header=BB2_1850 Depth=4
	s_or_saveexec_b32 s38, s38
	v_mov_b32_e32 v150, s37
	s_xor_b32 exec_lo, exec_lo, s38
	s_cbranch_execnz .LBB2_2123
.LBB2_1922:                             ;   in Loop: Header=BB2_1850 Depth=4
	s_or_b32 exec_lo, exec_lo, s38
	s_and_saveexec_b32 s37, s13
	s_cbranch_execz .LBB2_1924
.LBB2_1923:                             ;   in Loop: Header=BB2_1850 Depth=4
	v_lshrrev_b16 v161, 3, v149
	s_delay_alu instid0(VALU_DEP_1) | instskip(NEXT) | instid1(VALU_DEP_1)
	v_and_b32_e32 v161, 15, v161
	v_cmp_eq_u32_e32 vcc_lo, 0, v161
	v_and_b32_e32 v150, 7, v149
	s_delay_alu instid0(VALU_DEP_1) | instskip(NEXT) | instid1(VALU_DEP_1)
	v_clz_i32_u32_e32 v151, v150
	v_min_u32_e32 v151, 32, v151
	s_delay_alu instid0(VALU_DEP_1) | instskip(SKIP_1) | instid1(VALU_DEP_1)
	v_subrev_nc_u32_e32 v160, 28, v151
	v_sub_nc_u32_e32 v151, 29, v151
	v_dual_cndmask_b32 v151, v161, v151 :: v_dual_lshlrev_b32 v160, v160, v149
	v_lshlrev_b32_e32 v149, 24, v149
	s_delay_alu instid0(VALU_DEP_2) | instskip(NEXT) | instid1(VALU_DEP_3)
	v_and_b32_e32 v160, 7, v160
	v_lshl_add_u32 v151, v151, 23, 0x3b800000
	s_delay_alu instid0(VALU_DEP_2) | instskip(NEXT) | instid1(VALU_DEP_1)
	v_dual_cndmask_b32 v150, v150, v160 :: v_dual_and_b32 v149, 0x80000000, v149
	v_lshlrev_b32_e32 v150, 20, v150
	s_delay_alu instid0(VALU_DEP_1)
	v_or3_b32 v150, v149, v151, v150
.LBB2_1924:                             ;   in Loop: Header=BB2_1850 Depth=4
	s_or_b32 exec_lo, exec_lo, s37
	s_waitcnt vmcnt(5) lgkmcnt(5)
	v_and_b32_e32 v151, 0xff, v144
	s_mov_b32 s13, 0
	s_mov_b32 s38, exec_lo
                                        ; implicit-def: $sgpr37
	s_delay_alu instid0(VALU_DEP_1)
	v_cmpx_lt_i16_e64 0x7f, v151
	s_xor_b32 s38, exec_lo, s38
	s_cbranch_execnz .LBB2_2124
; %bb.1925:                             ;   in Loop: Header=BB2_1850 Depth=4
	s_or_saveexec_b32 s38, s38
	v_mov_b32_e32 v149, s37
	s_xor_b32 exec_lo, exec_lo, s38
	s_cbranch_execnz .LBB2_2127
.LBB2_1926:                             ;   in Loop: Header=BB2_1850 Depth=4
	s_or_b32 exec_lo, exec_lo, s38
	s_and_saveexec_b32 s37, s13
	s_cbranch_execz .LBB2_1928
.LBB2_1927:                             ;   in Loop: Header=BB2_1850 Depth=4
	v_and_b32_e32 v149, 7, v144
	v_lshrrev_b16 v161, 3, v144
	s_delay_alu instid0(VALU_DEP_2) | instskip(NEXT) | instid1(VALU_DEP_2)
	v_clz_i32_u32_e32 v151, v149
	v_and_b32_e32 v161, 15, v161
	s_delay_alu instid0(VALU_DEP_2) | instskip(NEXT) | instid1(VALU_DEP_2)
	v_min_u32_e32 v151, 32, v151
	v_cmp_eq_u32_e32 vcc_lo, 0, v161
	s_delay_alu instid0(VALU_DEP_2) | instskip(SKIP_1) | instid1(VALU_DEP_1)
	v_subrev_nc_u32_e32 v160, 28, v151
	v_sub_nc_u32_e32 v151, 29, v151
	v_dual_cndmask_b32 v151, v161, v151 :: v_dual_lshlrev_b32 v160, v160, v144
	v_lshlrev_b32_e32 v144, 24, v144
	s_delay_alu instid0(VALU_DEP_2) | instskip(NEXT) | instid1(VALU_DEP_3)
	v_and_b32_e32 v160, 7, v160
	v_lshl_add_u32 v151, v151, 23, 0x3b800000
	s_delay_alu instid0(VALU_DEP_3) | instskip(NEXT) | instid1(VALU_DEP_3)
	v_and_b32_e32 v144, 0x80000000, v144
	v_cndmask_b32_e32 v149, v149, v160, vcc_lo
	s_delay_alu instid0(VALU_DEP_1) | instskip(NEXT) | instid1(VALU_DEP_1)
	v_lshlrev_b32_e32 v149, 20, v149
	v_or3_b32 v149, v144, v151, v149
.LBB2_1928:                             ;   in Loop: Header=BB2_1850 Depth=4
	s_or_b32 exec_lo, exec_lo, s37
	s_delay_alu instid0(VALU_DEP_1) | instskip(NEXT) | instid1(VALU_DEP_1)
	v_dual_max_f32 v144, v149, v149 :: v_dual_max_f32 v149, v150, v150
	v_min_f32_e32 v150, v149, v144
.LBB2_1929:                             ;   in Loop: Header=BB2_1850 Depth=4
	s_waitcnt vmcnt(5) lgkmcnt(5)
	s_delay_alu instid0(VALU_DEP_1) | instskip(NEXT) | instid1(VALU_DEP_1)
	v_and_b32_e32 v144, 0x7f800000, v150
	v_cmp_ne_u32_e32 vcc_lo, 0x7f800000, v144
	v_mov_b32_e32 v144, 0x80
	s_and_saveexec_b32 s37, vcc_lo
	s_cbranch_execz .LBB2_1937
; %bb.1930:                             ;   in Loop: Header=BB2_1850 Depth=4
	v_mov_b32_e32 v144, 0
	s_mov_b32 s38, exec_lo
	v_cmpx_ne_u32_e32 0, v150
	s_cbranch_execz .LBB2_1936
; %bb.1931:                             ;   in Loop: Header=BB2_1850 Depth=4
	v_bfe_u32 v144, v150, 23, 8
	v_and_b32_e32 v149, 0x7fffff, v150
	s_delay_alu instid0(VALU_DEP_2) | instskip(SKIP_1) | instid1(VALU_DEP_3)
	v_sub_nc_u32_e32 v151, 0x78, v144
	v_cmp_gt_u32_e32 vcc_lo, 0x79, v144
	v_or_b32_e32 v160, 0x800000, v149
	s_delay_alu instid0(VALU_DEP_3) | instskip(SKIP_2) | instid1(VALU_DEP_3)
	v_cndmask_b32_e32 v151, 0, v151, vcc_lo
	v_cmp_eq_u32_e32 vcc_lo, 0, v144
	v_add_nc_u32_e32 v144, 0xffffff89, v144
	v_cndmask_b32_e64 v151, v151, 0x77, vcc_lo
	v_cndmask_b32_e32 v149, v160, v149, vcc_lo
	s_delay_alu instid0(VALU_DEP_3) | instskip(NEXT) | instid1(VALU_DEP_3)
	v_cndmask_b32_e64 v144, v144, 0xffffff8a, vcc_lo
	v_lshl_add_u32 v160, 0x100000, v151, -1
	s_delay_alu instid0(VALU_DEP_3) | instskip(SKIP_1) | instid1(VALU_DEP_4)
	v_lshrrev_b32_e32 v161, v151, v149
	v_lshlrev_b32_e64 v163, v151, 0x80000
	v_add_nc_u32_e32 v151, v151, v144
	s_delay_alu instid0(VALU_DEP_4) | instskip(NEXT) | instid1(VALU_DEP_4)
	v_and_b32_e32 v149, v160, v149
	v_bfe_u32 v162, v161, 20, 1
	s_delay_alu instid0(VALU_DEP_2) | instskip(NEXT) | instid1(VALU_DEP_2)
	v_cmp_eq_u32_e64 s13, v149, v163
	v_add_nc_u32_e32 v160, -1, v162
	s_delay_alu instid0(VALU_DEP_1) | instskip(SKIP_2) | instid1(VALU_DEP_2)
	v_cndmask_b32_e64 v149, 0, v160, s13
	v_lshrrev_b32_e32 v160, 23, v161
	s_mov_b32 s13, exec_lo
	v_add_nc_u32_e32 v149, v149, v161
	s_delay_alu instid0(VALU_DEP_2) | instskip(NEXT) | instid1(VALU_DEP_2)
	v_xor_b32_e32 v160, 1, v160
	v_and_b32_e32 v144, 0xfffff, v149
	s_delay_alu instid0(VALU_DEP_1) | instskip(NEXT) | instid1(VALU_DEP_3)
	v_add_nc_u32_e32 v149, v144, v161
                                        ; implicit-def: $vgpr144
	v_cmpx_ne_u32_e64 v151, v160
	s_xor_b32 s13, exec_lo, s13
; %bb.1932:                             ;   in Loop: Header=BB2_1850 Depth=4
	s_delay_alu instid0(VALU_DEP_2) | instskip(SKIP_2) | instid1(VALU_DEP_2)
	v_cmp_lt_u32_e32 vcc_lo, 0xffffff, v149
	v_sub_nc_u32_e32 v144, v151, v160
	v_cndmask_b32_e64 v151, 0, 1, vcc_lo
	v_add_co_ci_u32_e32 v144, vcc_lo, 0, v144, vcc_lo
	s_delay_alu instid0(VALU_DEP_2)
	v_lshrrev_b32_e32 v149, v151, v149
; %bb.1933:                             ;   in Loop: Header=BB2_1850 Depth=4
	s_and_not1_saveexec_b32 s13, s13
; %bb.1934:                             ;   in Loop: Header=BB2_1850 Depth=4
	s_delay_alu instid0(VALU_DEP_1)
	v_bfe_u32 v144, v149, 23, 1
; %bb.1935:                             ;   in Loop: Header=BB2_1850 Depth=4
	s_or_b32 exec_lo, exec_lo, s13
	v_lshrrev_b32_e32 v149, 20, v149
	s_delay_alu instid0(VALU_DEP_2) | instskip(SKIP_2) | instid1(VALU_DEP_2)
	v_cmp_gt_i32_e32 vcc_lo, 16, v144
	v_lshrrev_b32_e32 v150, 24, v150
	v_min_i32_e32 v151, 15, v144
	v_dual_cndmask_b32 v149, 7, v149 :: v_dual_and_b32 v150, 0x80, v150
	s_delay_alu instid0(VALU_DEP_1) | instskip(SKIP_1) | instid1(VALU_DEP_2)
	v_or_b32_e32 v144, v144, v149
	v_and_b32_e32 v160, 7, v149
	v_cmp_ne_u32_e32 vcc_lo, 0, v144
	v_lshlrev_b32_e32 v151, 3, v151
	s_delay_alu instid0(VALU_DEP_1) | instskip(NEXT) | instid1(VALU_DEP_1)
	v_or3_b32 v149, v151, v150, v160
	v_cndmask_b32_e32 v144, 0, v149, vcc_lo
.LBB2_1936:                             ;   in Loop: Header=BB2_1850 Depth=4
	s_or_b32 exec_lo, exec_lo, s38
.LBB2_1937:                             ;   in Loop: Header=BB2_1850 Depth=4
	s_delay_alu instid0(SALU_CYCLE_1) | instskip(NEXT) | instid1(SALU_CYCLE_1)
	s_or_b32 exec_lo, exec_lo, s37
	s_and_not1_b32 vcc_lo, exec_lo, s35
	s_cbranch_vccnz .LBB2_1947
; %bb.1938:                             ;   in Loop: Header=BB2_1850 Depth=4
	v_and_b32_e32 v150, 0xff, v148
	s_mov_b32 s13, 0
	s_mov_b32 s38, exec_lo
                                        ; implicit-def: $sgpr37
	s_delay_alu instid0(VALU_DEP_1)
	v_cmpx_lt_i16_e64 0x7f, v150
	s_xor_b32 s38, exec_lo, s38
	s_cbranch_execnz .LBB2_2128
; %bb.1939:                             ;   in Loop: Header=BB2_1850 Depth=4
	s_or_saveexec_b32 s38, s38
	v_mov_b32_e32 v149, s37
	s_xor_b32 exec_lo, exec_lo, s38
	s_cbranch_execnz .LBB2_2131
.LBB2_1940:                             ;   in Loop: Header=BB2_1850 Depth=4
	s_or_b32 exec_lo, exec_lo, s38
	s_and_saveexec_b32 s37, s13
	s_cbranch_execz .LBB2_1942
.LBB2_1941:                             ;   in Loop: Header=BB2_1850 Depth=4
	v_lshrrev_b16 v160, 3, v148
	v_lshlrev_b32_e32 v161, 24, v148
	s_delay_alu instid0(VALU_DEP_2) | instskip(NEXT) | instid1(VALU_DEP_1)
	v_and_b32_e32 v160, 15, v160
	v_cmp_eq_u32_e32 vcc_lo, 0, v160
	v_and_b32_e32 v149, 7, v148
	s_delay_alu instid0(VALU_DEP_1) | instskip(NEXT) | instid1(VALU_DEP_1)
	v_clz_i32_u32_e32 v150, v149
	v_min_u32_e32 v150, 32, v150
	s_delay_alu instid0(VALU_DEP_1) | instskip(SKIP_1) | instid1(VALU_DEP_1)
	v_subrev_nc_u32_e32 v151, 28, v150
	v_sub_nc_u32_e32 v150, 29, v150
	v_dual_cndmask_b32 v150, v160, v150 :: v_dual_lshlrev_b32 v151, v151, v148
	s_delay_alu instid0(VALU_DEP_1) | instskip(NEXT) | instid1(VALU_DEP_2)
	v_and_b32_e32 v151, 7, v151
	v_lshl_add_u32 v150, v150, 23, 0x3b800000
	s_delay_alu instid0(VALU_DEP_2) | instskip(SKIP_1) | instid1(VALU_DEP_2)
	v_cndmask_b32_e32 v149, v149, v151, vcc_lo
	v_and_b32_e32 v151, 0x80000000, v161
	v_lshlrev_b32_e32 v149, 20, v149
	s_delay_alu instid0(VALU_DEP_1)
	v_or3_b32 v149, v151, v150, v149
.LBB2_1942:                             ;   in Loop: Header=BB2_1850 Depth=4
	s_or_b32 exec_lo, exec_lo, s37
	s_waitcnt vmcnt(4) lgkmcnt(4)
	v_and_b32_e32 v151, 0xff, v147
	s_mov_b32 s13, 0
	s_mov_b32 s38, exec_lo
                                        ; implicit-def: $sgpr37
	s_delay_alu instid0(VALU_DEP_1)
	v_cmpx_lt_i16_e64 0x7f, v151
	s_xor_b32 s38, exec_lo, s38
	s_cbranch_execnz .LBB2_2132
; %bb.1943:                             ;   in Loop: Header=BB2_1850 Depth=4
	s_or_saveexec_b32 s38, s38
	v_mov_b32_e32 v150, s37
	s_xor_b32 exec_lo, exec_lo, s38
	s_cbranch_execnz .LBB2_2135
.LBB2_1944:                             ;   in Loop: Header=BB2_1850 Depth=4
	s_or_b32 exec_lo, exec_lo, s38
	s_and_saveexec_b32 s37, s13
	s_cbranch_execz .LBB2_1946
.LBB2_1945:                             ;   in Loop: Header=BB2_1850 Depth=4
	v_and_b32_e32 v150, 7, v147
	v_lshrrev_b16 v161, 3, v147
	v_lshlrev_b32_e32 v162, 24, v147
	s_delay_alu instid0(VALU_DEP_3) | instskip(NEXT) | instid1(VALU_DEP_1)
	v_clz_i32_u32_e32 v151, v150
	v_min_u32_e32 v151, 32, v151
	s_delay_alu instid0(VALU_DEP_1) | instskip(SKIP_1) | instid1(VALU_DEP_2)
	v_subrev_nc_u32_e32 v160, 28, v151
	v_sub_nc_u32_e32 v151, 29, v151
	v_lshlrev_b32_e32 v160, v160, v147
	s_delay_alu instid0(VALU_DEP_1) | instskip(SKIP_1) | instid1(VALU_DEP_1)
	v_and_b32_e32 v160, 7, v160
	v_and_b32_e32 v161, 15, v161
	v_cmp_eq_u32_e32 vcc_lo, 0, v161
	s_delay_alu instid0(VALU_DEP_3) | instskip(SKIP_1) | instid1(VALU_DEP_2)
	v_dual_cndmask_b32 v150, v150, v160 :: v_dual_cndmask_b32 v151, v161, v151
	v_and_b32_e32 v160, 0x80000000, v162
	v_lshlrev_b32_e32 v150, 20, v150
	s_delay_alu instid0(VALU_DEP_3) | instskip(NEXT) | instid1(VALU_DEP_1)
	v_lshl_add_u32 v151, v151, 23, 0x3b800000
	v_or3_b32 v150, v160, v151, v150
.LBB2_1946:                             ;   in Loop: Header=BB2_1850 Depth=4
	s_or_b32 exec_lo, exec_lo, s37
	s_delay_alu instid0(VALU_DEP_1) | instskip(SKIP_1) | instid1(VALU_DEP_1)
	v_dual_max_f32 v150, v150, v150 :: v_dual_max_f32 v149, v149, v149
	s_mov_b32 s13, 0
	v_max_f32_e32 v149, v149, v150
	s_branch .LBB2_1948
.LBB2_1947:                             ;   in Loop: Header=BB2_1850 Depth=4
	s_mov_b32 s13, -1
                                        ; implicit-def: $vgpr149
.LBB2_1948:                             ;   in Loop: Header=BB2_1850 Depth=4
	s_delay_alu instid0(SALU_CYCLE_1)
	s_and_b32 vcc_lo, exec_lo, s13
	s_cbranch_vccz .LBB2_1958
; %bb.1949:                             ;   in Loop: Header=BB2_1850 Depth=4
	v_and_b32_e32 v150, 0xff, v148
	s_mov_b32 s13, 0
	s_mov_b32 s38, exec_lo
                                        ; implicit-def: $sgpr37
	s_delay_alu instid0(VALU_DEP_1)
	v_cmpx_lt_i16_e64 0x7f, v150
	s_xor_b32 s38, exec_lo, s38
	s_cbranch_execnz .LBB2_2136
; %bb.1950:                             ;   in Loop: Header=BB2_1850 Depth=4
	s_or_saveexec_b32 s38, s38
	v_mov_b32_e32 v149, s37
	s_xor_b32 exec_lo, exec_lo, s38
	s_cbranch_execnz .LBB2_2139
.LBB2_1951:                             ;   in Loop: Header=BB2_1850 Depth=4
	s_or_b32 exec_lo, exec_lo, s38
	s_and_saveexec_b32 s37, s13
	s_cbranch_execz .LBB2_1953
.LBB2_1952:                             ;   in Loop: Header=BB2_1850 Depth=4
	v_lshrrev_b16 v160, 3, v148
	s_delay_alu instid0(VALU_DEP_1) | instskip(NEXT) | instid1(VALU_DEP_1)
	v_and_b32_e32 v160, 15, v160
	v_cmp_eq_u32_e32 vcc_lo, 0, v160
	v_and_b32_e32 v149, 7, v148
	s_delay_alu instid0(VALU_DEP_1) | instskip(NEXT) | instid1(VALU_DEP_1)
	v_clz_i32_u32_e32 v150, v149
	v_min_u32_e32 v150, 32, v150
	s_delay_alu instid0(VALU_DEP_1) | instskip(SKIP_1) | instid1(VALU_DEP_1)
	v_subrev_nc_u32_e32 v151, 28, v150
	v_sub_nc_u32_e32 v150, 29, v150
	v_dual_cndmask_b32 v150, v160, v150 :: v_dual_lshlrev_b32 v151, v151, v148
	v_lshlrev_b32_e32 v148, 24, v148
	s_delay_alu instid0(VALU_DEP_2) | instskip(NEXT) | instid1(VALU_DEP_3)
	v_and_b32_e32 v151, 7, v151
	v_lshl_add_u32 v150, v150, 23, 0x3b800000
	s_delay_alu instid0(VALU_DEP_2) | instskip(NEXT) | instid1(VALU_DEP_1)
	v_dual_cndmask_b32 v149, v149, v151 :: v_dual_and_b32 v148, 0x80000000, v148
	v_lshlrev_b32_e32 v149, 20, v149
	s_delay_alu instid0(VALU_DEP_1)
	v_or3_b32 v149, v148, v150, v149
.LBB2_1953:                             ;   in Loop: Header=BB2_1850 Depth=4
	s_or_b32 exec_lo, exec_lo, s37
	s_waitcnt vmcnt(4) lgkmcnt(4)
	v_and_b32_e32 v150, 0xff, v147
	s_mov_b32 s13, 0
	s_mov_b32 s38, exec_lo
                                        ; implicit-def: $sgpr37
	s_delay_alu instid0(VALU_DEP_1)
	v_cmpx_lt_i16_e64 0x7f, v150
	s_xor_b32 s38, exec_lo, s38
	s_cbranch_execnz .LBB2_2140
; %bb.1954:                             ;   in Loop: Header=BB2_1850 Depth=4
	s_or_saveexec_b32 s38, s38
	v_mov_b32_e32 v148, s37
	s_xor_b32 exec_lo, exec_lo, s38
	s_cbranch_execnz .LBB2_2143
.LBB2_1955:                             ;   in Loop: Header=BB2_1850 Depth=4
	s_or_b32 exec_lo, exec_lo, s38
	s_and_saveexec_b32 s37, s13
	s_cbranch_execz .LBB2_1957
.LBB2_1956:                             ;   in Loop: Header=BB2_1850 Depth=4
	v_and_b32_e32 v148, 7, v147
	v_lshrrev_b16 v160, 3, v147
	s_delay_alu instid0(VALU_DEP_2) | instskip(NEXT) | instid1(VALU_DEP_2)
	v_clz_i32_u32_e32 v150, v148
	v_and_b32_e32 v160, 15, v160
	s_delay_alu instid0(VALU_DEP_2) | instskip(NEXT) | instid1(VALU_DEP_2)
	v_min_u32_e32 v150, 32, v150
	v_cmp_eq_u32_e32 vcc_lo, 0, v160
	s_delay_alu instid0(VALU_DEP_2) | instskip(SKIP_1) | instid1(VALU_DEP_1)
	v_subrev_nc_u32_e32 v151, 28, v150
	v_sub_nc_u32_e32 v150, 29, v150
	v_dual_cndmask_b32 v150, v160, v150 :: v_dual_lshlrev_b32 v151, v151, v147
	v_lshlrev_b32_e32 v147, 24, v147
	s_delay_alu instid0(VALU_DEP_2) | instskip(NEXT) | instid1(VALU_DEP_3)
	v_and_b32_e32 v151, 7, v151
	v_lshl_add_u32 v150, v150, 23, 0x3b800000
	s_delay_alu instid0(VALU_DEP_3) | instskip(NEXT) | instid1(VALU_DEP_3)
	v_and_b32_e32 v147, 0x80000000, v147
	v_cndmask_b32_e32 v148, v148, v151, vcc_lo
	s_delay_alu instid0(VALU_DEP_1) | instskip(NEXT) | instid1(VALU_DEP_1)
	v_lshlrev_b32_e32 v148, 20, v148
	v_or3_b32 v148, v147, v150, v148
.LBB2_1957:                             ;   in Loop: Header=BB2_1850 Depth=4
	s_or_b32 exec_lo, exec_lo, s37
	s_delay_alu instid0(VALU_DEP_1) | instskip(NEXT) | instid1(VALU_DEP_1)
	v_dual_max_f32 v147, v148, v148 :: v_dual_max_f32 v148, v149, v149
	v_min_f32_e32 v149, v148, v147
.LBB2_1958:                             ;   in Loop: Header=BB2_1850 Depth=4
	s_waitcnt vmcnt(4) lgkmcnt(4)
	s_delay_alu instid0(VALU_DEP_1) | instskip(NEXT) | instid1(VALU_DEP_1)
	v_and_b32_e32 v147, 0x7f800000, v149
	v_cmp_ne_u32_e32 vcc_lo, 0x7f800000, v147
	v_mov_b32_e32 v147, 0x80
	s_and_saveexec_b32 s37, vcc_lo
	s_cbranch_execz .LBB2_1966
; %bb.1959:                             ;   in Loop: Header=BB2_1850 Depth=4
	v_mov_b32_e32 v147, 0
	s_mov_b32 s38, exec_lo
	v_cmpx_ne_u32_e32 0, v149
	s_cbranch_execz .LBB2_1965
; %bb.1960:                             ;   in Loop: Header=BB2_1850 Depth=4
	v_bfe_u32 v147, v149, 23, 8
	v_and_b32_e32 v148, 0x7fffff, v149
	s_delay_alu instid0(VALU_DEP_2) | instskip(SKIP_1) | instid1(VALU_DEP_3)
	v_sub_nc_u32_e32 v150, 0x78, v147
	v_cmp_gt_u32_e32 vcc_lo, 0x79, v147
	v_or_b32_e32 v151, 0x800000, v148
	s_delay_alu instid0(VALU_DEP_3) | instskip(SKIP_2) | instid1(VALU_DEP_3)
	v_cndmask_b32_e32 v150, 0, v150, vcc_lo
	v_cmp_eq_u32_e32 vcc_lo, 0, v147
	v_add_nc_u32_e32 v147, 0xffffff89, v147
	v_cndmask_b32_e64 v150, v150, 0x77, vcc_lo
	v_cndmask_b32_e32 v148, v151, v148, vcc_lo
	s_delay_alu instid0(VALU_DEP_3) | instskip(NEXT) | instid1(VALU_DEP_3)
	v_cndmask_b32_e64 v147, v147, 0xffffff8a, vcc_lo
	v_lshl_add_u32 v151, 0x100000, v150, -1
	s_delay_alu instid0(VALU_DEP_3) | instskip(SKIP_1) | instid1(VALU_DEP_4)
	v_lshrrev_b32_e32 v160, v150, v148
	v_lshlrev_b32_e64 v162, v150, 0x80000
	v_add_nc_u32_e32 v150, v150, v147
	s_delay_alu instid0(VALU_DEP_4) | instskip(NEXT) | instid1(VALU_DEP_4)
	v_and_b32_e32 v148, v151, v148
	v_bfe_u32 v161, v160, 20, 1
	s_delay_alu instid0(VALU_DEP_2) | instskip(NEXT) | instid1(VALU_DEP_2)
	v_cmp_eq_u32_e64 s13, v148, v162
	v_add_nc_u32_e32 v151, -1, v161
	s_delay_alu instid0(VALU_DEP_1) | instskip(SKIP_2) | instid1(VALU_DEP_2)
	v_cndmask_b32_e64 v148, 0, v151, s13
	v_lshrrev_b32_e32 v151, 23, v160
	s_mov_b32 s13, exec_lo
	v_add_nc_u32_e32 v148, v148, v160
	s_delay_alu instid0(VALU_DEP_2) | instskip(NEXT) | instid1(VALU_DEP_2)
	v_xor_b32_e32 v151, 1, v151
	v_and_b32_e32 v147, 0xfffff, v148
	s_delay_alu instid0(VALU_DEP_1) | instskip(NEXT) | instid1(VALU_DEP_3)
	v_add_nc_u32_e32 v148, v147, v160
                                        ; implicit-def: $vgpr147
	v_cmpx_ne_u32_e64 v150, v151
	s_xor_b32 s13, exec_lo, s13
; %bb.1961:                             ;   in Loop: Header=BB2_1850 Depth=4
	s_delay_alu instid0(VALU_DEP_2) | instskip(SKIP_2) | instid1(VALU_DEP_2)
	v_cmp_lt_u32_e32 vcc_lo, 0xffffff, v148
	v_sub_nc_u32_e32 v147, v150, v151
	v_cndmask_b32_e64 v150, 0, 1, vcc_lo
	v_add_co_ci_u32_e32 v147, vcc_lo, 0, v147, vcc_lo
	s_delay_alu instid0(VALU_DEP_2)
	v_lshrrev_b32_e32 v148, v150, v148
; %bb.1962:                             ;   in Loop: Header=BB2_1850 Depth=4
	s_and_not1_saveexec_b32 s13, s13
; %bb.1963:                             ;   in Loop: Header=BB2_1850 Depth=4
	s_delay_alu instid0(VALU_DEP_1)
	v_bfe_u32 v147, v148, 23, 1
; %bb.1964:                             ;   in Loop: Header=BB2_1850 Depth=4
	s_or_b32 exec_lo, exec_lo, s13
	v_lshrrev_b32_e32 v148, 20, v148
	s_delay_alu instid0(VALU_DEP_2) | instskip(SKIP_2) | instid1(VALU_DEP_2)
	v_cmp_gt_i32_e32 vcc_lo, 16, v147
	v_lshrrev_b32_e32 v149, 24, v149
	v_min_i32_e32 v150, 15, v147
	v_dual_cndmask_b32 v148, 7, v148 :: v_dual_and_b32 v149, 0x80, v149
	s_delay_alu instid0(VALU_DEP_1) | instskip(SKIP_1) | instid1(VALU_DEP_2)
	v_or_b32_e32 v147, v147, v148
	v_and_b32_e32 v151, 7, v148
	v_cmp_ne_u32_e32 vcc_lo, 0, v147
	v_lshlrev_b32_e32 v150, 3, v150
	s_delay_alu instid0(VALU_DEP_1) | instskip(NEXT) | instid1(VALU_DEP_1)
	v_or3_b32 v148, v150, v149, v151
	v_cndmask_b32_e32 v147, 0, v148, vcc_lo
.LBB2_1965:                             ;   in Loop: Header=BB2_1850 Depth=4
	s_or_b32 exec_lo, exec_lo, s38
.LBB2_1966:                             ;   in Loop: Header=BB2_1850 Depth=4
	s_delay_alu instid0(SALU_CYCLE_1) | instskip(NEXT) | instid1(SALU_CYCLE_1)
	s_or_b32 exec_lo, exec_lo, s37
	s_and_not1_b32 vcc_lo, exec_lo, s35
	s_cbranch_vccnz .LBB2_1976
; %bb.1967:                             ;   in Loop: Header=BB2_1850 Depth=4
	v_and_b32_e32 v149, 0xff, v146
	s_mov_b32 s13, 0
	s_mov_b32 s38, exec_lo
                                        ; implicit-def: $sgpr37
	s_delay_alu instid0(VALU_DEP_1)
	v_cmpx_lt_i16_e64 0x7f, v149
	s_xor_b32 s38, exec_lo, s38
	s_cbranch_execnz .LBB2_2144
; %bb.1968:                             ;   in Loop: Header=BB2_1850 Depth=4
	s_or_saveexec_b32 s38, s38
	v_mov_b32_e32 v148, s37
	s_xor_b32 exec_lo, exec_lo, s38
	s_cbranch_execnz .LBB2_2147
.LBB2_1969:                             ;   in Loop: Header=BB2_1850 Depth=4
	s_or_b32 exec_lo, exec_lo, s38
	s_and_saveexec_b32 s37, s13
	s_cbranch_execz .LBB2_1971
.LBB2_1970:                             ;   in Loop: Header=BB2_1850 Depth=4
	v_lshrrev_b16 v151, 3, v146
	v_lshlrev_b32_e32 v160, 24, v146
	s_delay_alu instid0(VALU_DEP_2) | instskip(NEXT) | instid1(VALU_DEP_1)
	v_and_b32_e32 v151, 15, v151
	v_cmp_eq_u32_e32 vcc_lo, 0, v151
	v_and_b32_e32 v148, 7, v146
	s_delay_alu instid0(VALU_DEP_1) | instskip(NEXT) | instid1(VALU_DEP_1)
	v_clz_i32_u32_e32 v149, v148
	v_min_u32_e32 v149, 32, v149
	s_delay_alu instid0(VALU_DEP_1) | instskip(SKIP_1) | instid1(VALU_DEP_1)
	v_subrev_nc_u32_e32 v150, 28, v149
	v_sub_nc_u32_e32 v149, 29, v149
	v_dual_cndmask_b32 v149, v151, v149 :: v_dual_lshlrev_b32 v150, v150, v146
	s_delay_alu instid0(VALU_DEP_1) | instskip(NEXT) | instid1(VALU_DEP_2)
	v_and_b32_e32 v150, 7, v150
	v_lshl_add_u32 v149, v149, 23, 0x3b800000
	s_delay_alu instid0(VALU_DEP_2) | instskip(SKIP_1) | instid1(VALU_DEP_2)
	v_cndmask_b32_e32 v148, v148, v150, vcc_lo
	v_and_b32_e32 v150, 0x80000000, v160
	v_lshlrev_b32_e32 v148, 20, v148
	s_delay_alu instid0(VALU_DEP_1)
	v_or3_b32 v148, v150, v149, v148
.LBB2_1971:                             ;   in Loop: Header=BB2_1850 Depth=4
	s_or_b32 exec_lo, exec_lo, s37
	s_waitcnt vmcnt(3) lgkmcnt(3)
	v_and_b32_e32 v150, 0xff, v145
	s_mov_b32 s13, 0
	s_mov_b32 s38, exec_lo
                                        ; implicit-def: $sgpr37
	s_delay_alu instid0(VALU_DEP_1)
	v_cmpx_lt_i16_e64 0x7f, v150
	s_xor_b32 s38, exec_lo, s38
	s_cbranch_execnz .LBB2_2148
; %bb.1972:                             ;   in Loop: Header=BB2_1850 Depth=4
	s_or_saveexec_b32 s38, s38
	v_mov_b32_e32 v149, s37
	s_xor_b32 exec_lo, exec_lo, s38
	s_cbranch_execnz .LBB2_2151
.LBB2_1973:                             ;   in Loop: Header=BB2_1850 Depth=4
	s_or_b32 exec_lo, exec_lo, s38
	s_and_saveexec_b32 s37, s13
	s_cbranch_execz .LBB2_1975
.LBB2_1974:                             ;   in Loop: Header=BB2_1850 Depth=4
	v_lshrrev_b16 v160, 3, v145
	v_lshlrev_b32_e32 v161, 24, v145
	s_delay_alu instid0(VALU_DEP_2) | instskip(NEXT) | instid1(VALU_DEP_1)
	v_and_b32_e32 v160, 15, v160
	v_cmp_eq_u32_e32 vcc_lo, 0, v160
	v_and_b32_e32 v149, 7, v145
	s_delay_alu instid0(VALU_DEP_1) | instskip(NEXT) | instid1(VALU_DEP_1)
	v_clz_i32_u32_e32 v150, v149
	v_min_u32_e32 v150, 32, v150
	s_delay_alu instid0(VALU_DEP_1) | instskip(SKIP_1) | instid1(VALU_DEP_1)
	v_subrev_nc_u32_e32 v151, 28, v150
	v_sub_nc_u32_e32 v150, 29, v150
	v_dual_cndmask_b32 v150, v160, v150 :: v_dual_lshlrev_b32 v151, v151, v145
	s_delay_alu instid0(VALU_DEP_1) | instskip(NEXT) | instid1(VALU_DEP_2)
	v_and_b32_e32 v151, 7, v151
	v_lshl_add_u32 v150, v150, 23, 0x3b800000
	s_delay_alu instid0(VALU_DEP_2) | instskip(SKIP_1) | instid1(VALU_DEP_2)
	v_cndmask_b32_e32 v149, v149, v151, vcc_lo
	v_and_b32_e32 v151, 0x80000000, v161
	v_lshlrev_b32_e32 v149, 20, v149
	s_delay_alu instid0(VALU_DEP_1)
	v_or3_b32 v149, v151, v150, v149
.LBB2_1975:                             ;   in Loop: Header=BB2_1850 Depth=4
	s_or_b32 exec_lo, exec_lo, s37
	s_delay_alu instid0(VALU_DEP_1) | instskip(SKIP_1) | instid1(VALU_DEP_1)
	v_dual_max_f32 v149, v149, v149 :: v_dual_max_f32 v148, v148, v148
	s_mov_b32 s13, 0
	v_max_f32_e32 v148, v148, v149
	s_branch .LBB2_1977
.LBB2_1976:                             ;   in Loop: Header=BB2_1850 Depth=4
	s_mov_b32 s13, -1
                                        ; implicit-def: $vgpr148
.LBB2_1977:                             ;   in Loop: Header=BB2_1850 Depth=4
	s_delay_alu instid0(SALU_CYCLE_1)
	s_and_b32 vcc_lo, exec_lo, s13
	s_cbranch_vccz .LBB2_1987
; %bb.1978:                             ;   in Loop: Header=BB2_1850 Depth=4
	v_and_b32_e32 v149, 0xff, v146
	s_mov_b32 s13, 0
	s_mov_b32 s38, exec_lo
                                        ; implicit-def: $sgpr37
	s_delay_alu instid0(VALU_DEP_1)
	v_cmpx_lt_i16_e64 0x7f, v149
	s_xor_b32 s38, exec_lo, s38
	s_cbranch_execnz .LBB2_2152
; %bb.1979:                             ;   in Loop: Header=BB2_1850 Depth=4
	s_or_saveexec_b32 s38, s38
	v_mov_b32_e32 v148, s37
	s_xor_b32 exec_lo, exec_lo, s38
	s_cbranch_execnz .LBB2_2155
.LBB2_1980:                             ;   in Loop: Header=BB2_1850 Depth=4
	s_or_b32 exec_lo, exec_lo, s38
	s_and_saveexec_b32 s37, s13
	s_cbranch_execz .LBB2_1982
.LBB2_1981:                             ;   in Loop: Header=BB2_1850 Depth=4
	v_lshrrev_b16 v151, 3, v146
	s_delay_alu instid0(VALU_DEP_1) | instskip(NEXT) | instid1(VALU_DEP_1)
	v_and_b32_e32 v151, 15, v151
	v_cmp_eq_u32_e32 vcc_lo, 0, v151
	v_and_b32_e32 v148, 7, v146
	s_delay_alu instid0(VALU_DEP_1) | instskip(NEXT) | instid1(VALU_DEP_1)
	v_clz_i32_u32_e32 v149, v148
	v_min_u32_e32 v149, 32, v149
	s_delay_alu instid0(VALU_DEP_1) | instskip(SKIP_1) | instid1(VALU_DEP_1)
	v_subrev_nc_u32_e32 v150, 28, v149
	v_sub_nc_u32_e32 v149, 29, v149
	v_dual_cndmask_b32 v149, v151, v149 :: v_dual_lshlrev_b32 v150, v150, v146
	v_lshlrev_b32_e32 v146, 24, v146
	s_delay_alu instid0(VALU_DEP_2) | instskip(NEXT) | instid1(VALU_DEP_3)
	v_and_b32_e32 v150, 7, v150
	v_lshl_add_u32 v149, v149, 23, 0x3b800000
	s_delay_alu instid0(VALU_DEP_3) | instskip(NEXT) | instid1(VALU_DEP_3)
	v_and_b32_e32 v146, 0x80000000, v146
	v_cndmask_b32_e32 v148, v148, v150, vcc_lo
	s_delay_alu instid0(VALU_DEP_1) | instskip(NEXT) | instid1(VALU_DEP_1)
	v_lshlrev_b32_e32 v148, 20, v148
	v_or3_b32 v148, v146, v149, v148
.LBB2_1982:                             ;   in Loop: Header=BB2_1850 Depth=4
	s_or_b32 exec_lo, exec_lo, s37
	s_waitcnt vmcnt(3) lgkmcnt(3)
	v_and_b32_e32 v149, 0xff, v145
	s_mov_b32 s13, 0
	s_mov_b32 s38, exec_lo
                                        ; implicit-def: $sgpr37
	s_delay_alu instid0(VALU_DEP_1)
	v_cmpx_lt_i16_e64 0x7f, v149
	s_xor_b32 s38, exec_lo, s38
	s_cbranch_execnz .LBB2_2156
; %bb.1983:                             ;   in Loop: Header=BB2_1850 Depth=4
	s_or_saveexec_b32 s38, s38
	v_mov_b32_e32 v146, s37
	s_xor_b32 exec_lo, exec_lo, s38
	s_cbranch_execnz .LBB2_2159
.LBB2_1984:                             ;   in Loop: Header=BB2_1850 Depth=4
	s_or_b32 exec_lo, exec_lo, s38
	s_and_saveexec_b32 s37, s13
	s_cbranch_execz .LBB2_1986
.LBB2_1985:                             ;   in Loop: Header=BB2_1850 Depth=4
	v_and_b32_e32 v146, 7, v145
	v_lshrrev_b16 v151, 3, v145
	s_delay_alu instid0(VALU_DEP_2) | instskip(NEXT) | instid1(VALU_DEP_1)
	v_clz_i32_u32_e32 v149, v146
	v_min_u32_e32 v149, 32, v149
	s_delay_alu instid0(VALU_DEP_1) | instskip(SKIP_1) | instid1(VALU_DEP_2)
	v_subrev_nc_u32_e32 v150, 28, v149
	v_sub_nc_u32_e32 v149, 29, v149
	v_lshlrev_b32_e32 v150, v150, v145
	v_lshlrev_b32_e32 v145, 24, v145
	s_delay_alu instid0(VALU_DEP_2) | instskip(SKIP_1) | instid1(VALU_DEP_3)
	v_and_b32_e32 v150, 7, v150
	v_and_b32_e32 v151, 15, v151
	;; [unrolled: 1-line block ×3, first 2 shown]
	s_delay_alu instid0(VALU_DEP_2) | instskip(NEXT) | instid1(VALU_DEP_4)
	v_cmp_eq_u32_e32 vcc_lo, 0, v151
	v_dual_cndmask_b32 v146, v146, v150 :: v_dual_cndmask_b32 v149, v151, v149
	s_delay_alu instid0(VALU_DEP_1) | instskip(NEXT) | instid1(VALU_DEP_2)
	v_lshlrev_b32_e32 v146, 20, v146
	v_lshl_add_u32 v149, v149, 23, 0x3b800000
	s_delay_alu instid0(VALU_DEP_1)
	v_or3_b32 v146, v145, v149, v146
.LBB2_1986:                             ;   in Loop: Header=BB2_1850 Depth=4
	s_or_b32 exec_lo, exec_lo, s37
	s_delay_alu instid0(VALU_DEP_1) | instskip(NEXT) | instid1(VALU_DEP_1)
	v_dual_max_f32 v145, v146, v146 :: v_dual_max_f32 v146, v148, v148
	v_min_f32_e32 v148, v146, v145
.LBB2_1987:                             ;   in Loop: Header=BB2_1850 Depth=4
	s_waitcnt vmcnt(3) lgkmcnt(3)
	s_delay_alu instid0(VALU_DEP_1) | instskip(NEXT) | instid1(VALU_DEP_1)
	v_and_b32_e32 v145, 0x7f800000, v148
	v_cmp_ne_u32_e32 vcc_lo, 0x7f800000, v145
	v_mov_b32_e32 v145, 0x80
	s_and_saveexec_b32 s37, vcc_lo
	s_cbranch_execz .LBB2_1995
; %bb.1988:                             ;   in Loop: Header=BB2_1850 Depth=4
	v_mov_b32_e32 v145, 0
	s_mov_b32 s38, exec_lo
	v_cmpx_ne_u32_e32 0, v148
	s_cbranch_execz .LBB2_1994
; %bb.1989:                             ;   in Loop: Header=BB2_1850 Depth=4
	v_bfe_u32 v145, v148, 23, 8
	s_delay_alu instid0(VALU_DEP_1) | instskip(SKIP_1) | instid1(VALU_DEP_2)
	v_sub_nc_u32_e32 v149, 0x78, v145
	v_cmp_gt_u32_e32 vcc_lo, 0x79, v145
	v_dual_cndmask_b32 v149, 0, v149 :: v_dual_and_b32 v146, 0x7fffff, v148
	s_delay_alu instid0(VALU_DEP_1) | instskip(SKIP_2) | instid1(VALU_DEP_4)
	v_or_b32_e32 v150, 0x800000, v146
	v_cmp_eq_u32_e32 vcc_lo, 0, v145
	v_add_nc_u32_e32 v145, 0xffffff89, v145
	v_cndmask_b32_e64 v149, v149, 0x77, vcc_lo
	s_delay_alu instid0(VALU_DEP_4) | instskip(NEXT) | instid1(VALU_DEP_3)
	v_cndmask_b32_e32 v146, v150, v146, vcc_lo
	v_cndmask_b32_e64 v145, v145, 0xffffff8a, vcc_lo
	s_delay_alu instid0(VALU_DEP_3) | instskip(NEXT) | instid1(VALU_DEP_3)
	v_lshl_add_u32 v150, 0x100000, v149, -1
	v_lshrrev_b32_e32 v151, v149, v146
	v_lshlrev_b32_e64 v161, v149, 0x80000
	s_delay_alu instid0(VALU_DEP_4) | instskip(NEXT) | instid1(VALU_DEP_4)
	v_add_nc_u32_e32 v149, v149, v145
	v_and_b32_e32 v146, v150, v146
	s_delay_alu instid0(VALU_DEP_4) | instskip(NEXT) | instid1(VALU_DEP_2)
	v_bfe_u32 v160, v151, 20, 1
	v_cmp_eq_u32_e64 s13, v146, v161
	s_delay_alu instid0(VALU_DEP_2) | instskip(NEXT) | instid1(VALU_DEP_1)
	v_add_nc_u32_e32 v150, -1, v160
	v_cndmask_b32_e64 v146, 0, v150, s13
	v_lshrrev_b32_e32 v150, 23, v151
	s_mov_b32 s13, exec_lo
	s_delay_alu instid0(VALU_DEP_2) | instskip(NEXT) | instid1(VALU_DEP_2)
	v_add_nc_u32_e32 v146, v146, v151
	v_xor_b32_e32 v150, 1, v150
	s_delay_alu instid0(VALU_DEP_2) | instskip(NEXT) | instid1(VALU_DEP_1)
	v_and_b32_e32 v145, 0xfffff, v146
	v_add_nc_u32_e32 v146, v145, v151
                                        ; implicit-def: $vgpr145
	s_delay_alu instid0(VALU_DEP_3)
	v_cmpx_ne_u32_e64 v149, v150
	s_xor_b32 s13, exec_lo, s13
; %bb.1990:                             ;   in Loop: Header=BB2_1850 Depth=4
	s_delay_alu instid0(VALU_DEP_2) | instskip(SKIP_2) | instid1(VALU_DEP_2)
	v_cmp_lt_u32_e32 vcc_lo, 0xffffff, v146
	v_sub_nc_u32_e32 v145, v149, v150
	v_cndmask_b32_e64 v149, 0, 1, vcc_lo
	v_add_co_ci_u32_e32 v145, vcc_lo, 0, v145, vcc_lo
	s_delay_alu instid0(VALU_DEP_2)
	v_lshrrev_b32_e32 v146, v149, v146
; %bb.1991:                             ;   in Loop: Header=BB2_1850 Depth=4
	s_and_not1_saveexec_b32 s13, s13
; %bb.1992:                             ;   in Loop: Header=BB2_1850 Depth=4
	s_delay_alu instid0(VALU_DEP_1)
	v_bfe_u32 v145, v146, 23, 1
; %bb.1993:                             ;   in Loop: Header=BB2_1850 Depth=4
	s_or_b32 exec_lo, exec_lo, s13
	v_lshrrev_b32_e32 v146, 20, v146
	s_delay_alu instid0(VALU_DEP_2) | instskip(SKIP_2) | instid1(VALU_DEP_2)
	v_cmp_gt_i32_e32 vcc_lo, 16, v145
	v_min_i32_e32 v149, 15, v145
	v_lshrrev_b32_e32 v148, 24, v148
	v_dual_cndmask_b32 v146, 7, v146 :: v_dual_lshlrev_b32 v149, 3, v149
	s_delay_alu instid0(VALU_DEP_1) | instskip(SKIP_1) | instid1(VALU_DEP_2)
	v_or_b32_e32 v145, v145, v146
	v_and_b32_e32 v150, 7, v146
	v_cmp_ne_u32_e32 vcc_lo, 0, v145
	v_and_b32_e32 v148, 0x80, v148
	s_delay_alu instid0(VALU_DEP_1) | instskip(NEXT) | instid1(VALU_DEP_1)
	v_or3_b32 v146, v149, v148, v150
	v_cndmask_b32_e32 v145, 0, v146, vcc_lo
.LBB2_1994:                             ;   in Loop: Header=BB2_1850 Depth=4
	s_or_b32 exec_lo, exec_lo, s38
.LBB2_1995:                             ;   in Loop: Header=BB2_1850 Depth=4
	s_delay_alu instid0(SALU_CYCLE_1) | instskip(NEXT) | instid1(SALU_CYCLE_1)
	s_or_b32 exec_lo, exec_lo, s37
	s_and_not1_b32 vcc_lo, exec_lo, s35
	s_cbranch_vccnz .LBB2_2005
; %bb.1996:                             ;   in Loop: Header=BB2_1850 Depth=4
	v_and_b32_e32 v148, 0xff, v135
	s_mov_b32 s13, 0
	s_mov_b32 s38, exec_lo
                                        ; implicit-def: $sgpr37
	s_delay_alu instid0(VALU_DEP_1)
	v_cmpx_lt_i16_e64 0x7f, v148
	s_xor_b32 s38, exec_lo, s38
	s_cbranch_execnz .LBB2_2160
; %bb.1997:                             ;   in Loop: Header=BB2_1850 Depth=4
	s_or_saveexec_b32 s38, s38
	v_mov_b32_e32 v146, s37
	s_xor_b32 exec_lo, exec_lo, s38
	s_cbranch_execnz .LBB2_2163
.LBB2_1998:                             ;   in Loop: Header=BB2_1850 Depth=4
	s_or_b32 exec_lo, exec_lo, s38
	s_and_saveexec_b32 s37, s13
	s_cbranch_execz .LBB2_2000
.LBB2_1999:                             ;   in Loop: Header=BB2_1850 Depth=4
	v_and_b32_e32 v146, 7, v135
	v_lshrrev_b16 v150, 3, v135
	s_delay_alu instid0(VALU_DEP_2) | instskip(NEXT) | instid1(VALU_DEP_2)
	v_clz_i32_u32_e32 v148, v146
	v_and_b32_e32 v150, 15, v150
	s_delay_alu instid0(VALU_DEP_2) | instskip(NEXT) | instid1(VALU_DEP_2)
	v_min_u32_e32 v148, 32, v148
	v_cmp_eq_u32_e32 vcc_lo, 0, v150
	s_delay_alu instid0(VALU_DEP_2) | instskip(SKIP_1) | instid1(VALU_DEP_1)
	v_subrev_nc_u32_e32 v149, 28, v148
	v_sub_nc_u32_e32 v148, 29, v148
	v_dual_cndmask_b32 v148, v150, v148 :: v_dual_lshlrev_b32 v149, v149, v135
	s_delay_alu instid0(VALU_DEP_1) | instskip(SKIP_1) | instid1(VALU_DEP_3)
	v_and_b32_e32 v149, 7, v149
	v_lshlrev_b32_e32 v151, 24, v135
	v_lshl_add_u32 v148, v148, 23, 0x3b800000
	s_delay_alu instid0(VALU_DEP_2) | instskip(NEXT) | instid1(VALU_DEP_1)
	v_dual_cndmask_b32 v146, v146, v149 :: v_dual_and_b32 v149, 0x80000000, v151
	v_lshlrev_b32_e32 v146, 20, v146
	s_delay_alu instid0(VALU_DEP_1)
	v_or3_b32 v146, v149, v148, v146
.LBB2_2000:                             ;   in Loop: Header=BB2_1850 Depth=4
	s_or_b32 exec_lo, exec_lo, s37
	s_waitcnt vmcnt(2) lgkmcnt(2)
	v_and_b32_e32 v149, 0xff, v134
	s_mov_b32 s13, 0
	s_mov_b32 s38, exec_lo
                                        ; implicit-def: $sgpr37
	s_delay_alu instid0(VALU_DEP_1)
	v_cmpx_lt_i16_e64 0x7f, v149
	s_xor_b32 s38, exec_lo, s38
	s_cbranch_execnz .LBB2_2164
; %bb.2001:                             ;   in Loop: Header=BB2_1850 Depth=4
	s_or_saveexec_b32 s38, s38
	v_mov_b32_e32 v148, s37
	s_xor_b32 exec_lo, exec_lo, s38
	s_cbranch_execnz .LBB2_2167
.LBB2_2002:                             ;   in Loop: Header=BB2_1850 Depth=4
	s_or_b32 exec_lo, exec_lo, s38
	s_and_saveexec_b32 s37, s13
	s_cbranch_execz .LBB2_2004
.LBB2_2003:                             ;   in Loop: Header=BB2_1850 Depth=4
	v_lshrrev_b16 v151, 3, v134
	v_lshlrev_b32_e32 v160, 24, v134
	s_delay_alu instid0(VALU_DEP_2) | instskip(NEXT) | instid1(VALU_DEP_1)
	v_and_b32_e32 v151, 15, v151
	v_cmp_eq_u32_e32 vcc_lo, 0, v151
	v_and_b32_e32 v148, 7, v134
	s_delay_alu instid0(VALU_DEP_1) | instskip(NEXT) | instid1(VALU_DEP_1)
	v_clz_i32_u32_e32 v149, v148
	v_min_u32_e32 v149, 32, v149
	s_delay_alu instid0(VALU_DEP_1) | instskip(SKIP_1) | instid1(VALU_DEP_1)
	v_subrev_nc_u32_e32 v150, 28, v149
	v_sub_nc_u32_e32 v149, 29, v149
	v_dual_cndmask_b32 v149, v151, v149 :: v_dual_lshlrev_b32 v150, v150, v134
	s_delay_alu instid0(VALU_DEP_1) | instskip(NEXT) | instid1(VALU_DEP_2)
	v_and_b32_e32 v150, 7, v150
	v_lshl_add_u32 v149, v149, 23, 0x3b800000
	s_delay_alu instid0(VALU_DEP_2) | instskip(SKIP_1) | instid1(VALU_DEP_2)
	v_cndmask_b32_e32 v148, v148, v150, vcc_lo
	v_and_b32_e32 v150, 0x80000000, v160
	v_lshlrev_b32_e32 v148, 20, v148
	s_delay_alu instid0(VALU_DEP_1)
	v_or3_b32 v148, v150, v149, v148
.LBB2_2004:                             ;   in Loop: Header=BB2_1850 Depth=4
	s_or_b32 exec_lo, exec_lo, s37
	s_delay_alu instid0(VALU_DEP_1) | instskip(SKIP_2) | instid1(VALU_DEP_1)
	v_max_f32_e32 v148, v148, v148
	v_max_f32_e32 v146, v146, v146
	s_mov_b32 s13, 0
	v_max_f32_e32 v146, v146, v148
	s_branch .LBB2_2006
.LBB2_2005:                             ;   in Loop: Header=BB2_1850 Depth=4
	s_mov_b32 s13, -1
                                        ; implicit-def: $vgpr146
.LBB2_2006:                             ;   in Loop: Header=BB2_1850 Depth=4
	s_delay_alu instid0(SALU_CYCLE_1)
	s_and_b32 vcc_lo, exec_lo, s13
	s_cbranch_vccz .LBB2_2016
; %bb.2007:                             ;   in Loop: Header=BB2_1850 Depth=4
	v_and_b32_e32 v148, 0xff, v135
	s_mov_b32 s13, 0
	s_mov_b32 s38, exec_lo
                                        ; implicit-def: $sgpr37
	s_delay_alu instid0(VALU_DEP_1)
	v_cmpx_lt_i16_e64 0x7f, v148
	s_xor_b32 s38, exec_lo, s38
	s_cbranch_execnz .LBB2_2168
; %bb.2008:                             ;   in Loop: Header=BB2_1850 Depth=4
	s_or_saveexec_b32 s38, s38
	v_mov_b32_e32 v146, s37
	s_xor_b32 exec_lo, exec_lo, s38
	s_cbranch_execnz .LBB2_2171
.LBB2_2009:                             ;   in Loop: Header=BB2_1850 Depth=4
	s_or_b32 exec_lo, exec_lo, s38
	s_and_saveexec_b32 s37, s13
	s_cbranch_execz .LBB2_2011
.LBB2_2010:                             ;   in Loop: Header=BB2_1850 Depth=4
	v_and_b32_e32 v146, 7, v135
	v_lshrrev_b16 v150, 3, v135
	s_delay_alu instid0(VALU_DEP_2) | instskip(NEXT) | instid1(VALU_DEP_2)
	v_clz_i32_u32_e32 v148, v146
	v_and_b32_e32 v150, 15, v150
	s_delay_alu instid0(VALU_DEP_2) | instskip(NEXT) | instid1(VALU_DEP_2)
	v_min_u32_e32 v148, 32, v148
	v_cmp_eq_u32_e32 vcc_lo, 0, v150
	s_delay_alu instid0(VALU_DEP_2) | instskip(SKIP_1) | instid1(VALU_DEP_1)
	v_subrev_nc_u32_e32 v149, 28, v148
	v_sub_nc_u32_e32 v148, 29, v148
	v_dual_cndmask_b32 v148, v150, v148 :: v_dual_lshlrev_b32 v149, v149, v135
	s_delay_alu instid0(VALU_DEP_1) | instskip(SKIP_1) | instid1(VALU_DEP_3)
	v_and_b32_e32 v149, 7, v149
	v_lshlrev_b32_e32 v135, 24, v135
	v_lshl_add_u32 v148, v148, 23, 0x3b800000
	s_delay_alu instid0(VALU_DEP_2) | instskip(NEXT) | instid1(VALU_DEP_1)
	v_dual_cndmask_b32 v146, v146, v149 :: v_dual_and_b32 v135, 0x80000000, v135
	v_lshlrev_b32_e32 v146, 20, v146
	s_delay_alu instid0(VALU_DEP_1)
	v_or3_b32 v146, v135, v148, v146
.LBB2_2011:                             ;   in Loop: Header=BB2_1850 Depth=4
	s_or_b32 exec_lo, exec_lo, s37
	s_waitcnt vmcnt(2) lgkmcnt(2)
	v_and_b32_e32 v148, 0xff, v134
	s_mov_b32 s13, 0
	s_mov_b32 s38, exec_lo
                                        ; implicit-def: $sgpr37
	s_delay_alu instid0(VALU_DEP_1)
	v_cmpx_lt_i16_e64 0x7f, v148
	s_xor_b32 s38, exec_lo, s38
	s_cbranch_execnz .LBB2_2172
; %bb.2012:                             ;   in Loop: Header=BB2_1850 Depth=4
	s_or_saveexec_b32 s38, s38
	v_mov_b32_e32 v135, s37
	s_xor_b32 exec_lo, exec_lo, s38
	s_cbranch_execnz .LBB2_2175
.LBB2_2013:                             ;   in Loop: Header=BB2_1850 Depth=4
	s_or_b32 exec_lo, exec_lo, s38
	s_and_saveexec_b32 s37, s13
	s_cbranch_execz .LBB2_2015
.LBB2_2014:                             ;   in Loop: Header=BB2_1850 Depth=4
	v_lshrrev_b16 v150, 3, v134
	s_delay_alu instid0(VALU_DEP_1) | instskip(NEXT) | instid1(VALU_DEP_1)
	v_and_b32_e32 v150, 15, v150
	v_cmp_eq_u32_e32 vcc_lo, 0, v150
	v_and_b32_e32 v135, 7, v134
	s_delay_alu instid0(VALU_DEP_1) | instskip(NEXT) | instid1(VALU_DEP_1)
	v_clz_i32_u32_e32 v148, v135
	v_min_u32_e32 v148, 32, v148
	s_delay_alu instid0(VALU_DEP_1) | instskip(SKIP_1) | instid1(VALU_DEP_1)
	v_subrev_nc_u32_e32 v149, 28, v148
	v_sub_nc_u32_e32 v148, 29, v148
	v_dual_cndmask_b32 v148, v150, v148 :: v_dual_lshlrev_b32 v149, v149, v134
	v_lshlrev_b32_e32 v134, 24, v134
	s_delay_alu instid0(VALU_DEP_2) | instskip(NEXT) | instid1(VALU_DEP_3)
	v_and_b32_e32 v149, 7, v149
	v_lshl_add_u32 v148, v148, 23, 0x3b800000
	s_delay_alu instid0(VALU_DEP_2) | instskip(NEXT) | instid1(VALU_DEP_1)
	v_dual_cndmask_b32 v135, v135, v149 :: v_dual_and_b32 v134, 0x80000000, v134
	v_lshlrev_b32_e32 v135, 20, v135
	s_delay_alu instid0(VALU_DEP_1)
	v_or3_b32 v135, v134, v148, v135
.LBB2_2015:                             ;   in Loop: Header=BB2_1850 Depth=4
	s_or_b32 exec_lo, exec_lo, s37
	s_delay_alu instid0(VALU_DEP_1) | instskip(NEXT) | instid1(VALU_DEP_1)
	v_dual_max_f32 v134, v135, v135 :: v_dual_max_f32 v135, v146, v146
	v_min_f32_e32 v146, v135, v134
.LBB2_2016:                             ;   in Loop: Header=BB2_1850 Depth=4
	s_waitcnt vmcnt(2) lgkmcnt(2)
	s_delay_alu instid0(VALU_DEP_1) | instskip(NEXT) | instid1(VALU_DEP_1)
	v_and_b32_e32 v134, 0x7f800000, v146
	v_cmp_ne_u32_e32 vcc_lo, 0x7f800000, v134
	v_mov_b32_e32 v134, 0x80
	s_and_saveexec_b32 s37, vcc_lo
	s_cbranch_execz .LBB2_2024
; %bb.2017:                             ;   in Loop: Header=BB2_1850 Depth=4
	v_mov_b32_e32 v134, 0
	s_mov_b32 s38, exec_lo
	v_cmpx_ne_u32_e32 0, v146
	s_cbranch_execz .LBB2_2023
; %bb.2018:                             ;   in Loop: Header=BB2_1850 Depth=4
	v_bfe_u32 v134, v146, 23, 8
	s_delay_alu instid0(VALU_DEP_1) | instskip(SKIP_1) | instid1(VALU_DEP_2)
	v_sub_nc_u32_e32 v148, 0x78, v134
	v_cmp_gt_u32_e32 vcc_lo, 0x79, v134
	v_dual_cndmask_b32 v148, 0, v148 :: v_dual_and_b32 v135, 0x7fffff, v146
	s_delay_alu instid0(VALU_DEP_1) | instskip(SKIP_2) | instid1(VALU_DEP_4)
	v_or_b32_e32 v149, 0x800000, v135
	v_cmp_eq_u32_e32 vcc_lo, 0, v134
	v_add_nc_u32_e32 v134, 0xffffff89, v134
	v_cndmask_b32_e64 v148, v148, 0x77, vcc_lo
	s_delay_alu instid0(VALU_DEP_4) | instskip(NEXT) | instid1(VALU_DEP_3)
	v_cndmask_b32_e32 v135, v149, v135, vcc_lo
	v_cndmask_b32_e64 v134, v134, 0xffffff8a, vcc_lo
	s_delay_alu instid0(VALU_DEP_3) | instskip(NEXT) | instid1(VALU_DEP_3)
	v_lshl_add_u32 v149, 0x100000, v148, -1
	v_lshrrev_b32_e32 v150, v148, v135
	v_lshlrev_b32_e64 v160, v148, 0x80000
	s_delay_alu instid0(VALU_DEP_4) | instskip(NEXT) | instid1(VALU_DEP_4)
	v_add_nc_u32_e32 v148, v148, v134
	v_and_b32_e32 v135, v149, v135
	s_delay_alu instid0(VALU_DEP_4) | instskip(NEXT) | instid1(VALU_DEP_2)
	v_bfe_u32 v151, v150, 20, 1
	v_cmp_eq_u32_e64 s13, v135, v160
	s_delay_alu instid0(VALU_DEP_2) | instskip(NEXT) | instid1(VALU_DEP_1)
	v_add_nc_u32_e32 v149, -1, v151
	v_cndmask_b32_e64 v135, 0, v149, s13
	v_lshrrev_b32_e32 v149, 23, v150
	s_mov_b32 s13, exec_lo
	s_delay_alu instid0(VALU_DEP_2) | instskip(NEXT) | instid1(VALU_DEP_2)
	v_add_nc_u32_e32 v135, v135, v150
	v_xor_b32_e32 v149, 1, v149
	s_delay_alu instid0(VALU_DEP_2) | instskip(NEXT) | instid1(VALU_DEP_1)
	v_and_b32_e32 v134, 0xfffff, v135
	v_add_nc_u32_e32 v135, v134, v150
                                        ; implicit-def: $vgpr134
	s_delay_alu instid0(VALU_DEP_3)
	v_cmpx_ne_u32_e64 v148, v149
	s_xor_b32 s13, exec_lo, s13
; %bb.2019:                             ;   in Loop: Header=BB2_1850 Depth=4
	s_delay_alu instid0(VALU_DEP_2) | instskip(SKIP_2) | instid1(VALU_DEP_2)
	v_cmp_lt_u32_e32 vcc_lo, 0xffffff, v135
	v_sub_nc_u32_e32 v134, v148, v149
	v_cndmask_b32_e64 v148, 0, 1, vcc_lo
	v_add_co_ci_u32_e32 v134, vcc_lo, 0, v134, vcc_lo
	s_delay_alu instid0(VALU_DEP_2)
	v_lshrrev_b32_e32 v135, v148, v135
; %bb.2020:                             ;   in Loop: Header=BB2_1850 Depth=4
	s_and_not1_saveexec_b32 s13, s13
; %bb.2021:                             ;   in Loop: Header=BB2_1850 Depth=4
	s_delay_alu instid0(VALU_DEP_1)
	v_bfe_u32 v134, v135, 23, 1
; %bb.2022:                             ;   in Loop: Header=BB2_1850 Depth=4
	s_or_b32 exec_lo, exec_lo, s13
	v_lshrrev_b32_e32 v135, 20, v135
	s_delay_alu instid0(VALU_DEP_2) | instskip(SKIP_2) | instid1(VALU_DEP_2)
	v_cmp_gt_i32_e32 vcc_lo, 16, v134
	v_lshrrev_b32_e32 v146, 24, v146
	v_min_i32_e32 v148, 15, v134
	v_dual_cndmask_b32 v135, 7, v135 :: v_dual_and_b32 v146, 0x80, v146
	s_delay_alu instid0(VALU_DEP_2) | instskip(NEXT) | instid1(VALU_DEP_2)
	v_lshlrev_b32_e32 v148, 3, v148
	v_and_b32_e32 v149, 7, v135
	v_or_b32_e32 v134, v134, v135
	s_delay_alu instid0(VALU_DEP_2) | instskip(NEXT) | instid1(VALU_DEP_2)
	v_or3_b32 v135, v148, v146, v149
	v_cmp_ne_u32_e32 vcc_lo, 0, v134
	s_delay_alu instid0(VALU_DEP_2)
	v_cndmask_b32_e32 v134, 0, v135, vcc_lo
.LBB2_2023:                             ;   in Loop: Header=BB2_1850 Depth=4
	s_or_b32 exec_lo, exec_lo, s38
.LBB2_2024:                             ;   in Loop: Header=BB2_1850 Depth=4
	s_delay_alu instid0(SALU_CYCLE_1) | instskip(NEXT) | instid1(SALU_CYCLE_1)
	s_or_b32 exec_lo, exec_lo, s37
	s_and_not1_b32 vcc_lo, exec_lo, s35
	s_cbranch_vccnz .LBB2_2034
; %bb.2025:                             ;   in Loop: Header=BB2_1850 Depth=4
	v_and_b32_e32 v146, 0xff, v132
	s_mov_b32 s13, 0
	s_mov_b32 s38, exec_lo
                                        ; implicit-def: $sgpr37
	s_delay_alu instid0(VALU_DEP_1)
	v_cmpx_lt_i16_e64 0x7f, v146
	s_xor_b32 s38, exec_lo, s38
	s_cbranch_execnz .LBB2_2176
; %bb.2026:                             ;   in Loop: Header=BB2_1850 Depth=4
	s_or_saveexec_b32 s38, s38
	v_mov_b32_e32 v135, s37
	s_xor_b32 exec_lo, exec_lo, s38
	s_cbranch_execnz .LBB2_2179
.LBB2_2027:                             ;   in Loop: Header=BB2_1850 Depth=4
	s_or_b32 exec_lo, exec_lo, s38
	s_and_saveexec_b32 s37, s13
	s_cbranch_execz .LBB2_2029
.LBB2_2028:                             ;   in Loop: Header=BB2_1850 Depth=4
	v_lshrrev_b16 v149, 3, v132
	v_lshlrev_b32_e32 v150, 24, v132
	s_delay_alu instid0(VALU_DEP_2) | instskip(NEXT) | instid1(VALU_DEP_1)
	v_and_b32_e32 v149, 15, v149
	v_cmp_eq_u32_e32 vcc_lo, 0, v149
	v_and_b32_e32 v135, 7, v132
	s_delay_alu instid0(VALU_DEP_1) | instskip(NEXT) | instid1(VALU_DEP_1)
	v_clz_i32_u32_e32 v146, v135
	v_min_u32_e32 v146, 32, v146
	s_delay_alu instid0(VALU_DEP_1) | instskip(SKIP_1) | instid1(VALU_DEP_2)
	v_subrev_nc_u32_e32 v148, 28, v146
	v_sub_nc_u32_e32 v146, 29, v146
	v_lshlrev_b32_e32 v148, v148, v132
	s_delay_alu instid0(VALU_DEP_2) | instskip(NEXT) | instid1(VALU_DEP_2)
	v_cndmask_b32_e32 v146, v149, v146, vcc_lo
	v_and_b32_e32 v148, 7, v148
	s_delay_alu instid0(VALU_DEP_2) | instskip(NEXT) | instid1(VALU_DEP_2)
	v_lshl_add_u32 v146, v146, 23, 0x3b800000
	v_dual_cndmask_b32 v135, v135, v148 :: v_dual_and_b32 v148, 0x80000000, v150
	s_delay_alu instid0(VALU_DEP_1) | instskip(NEXT) | instid1(VALU_DEP_1)
	v_lshlrev_b32_e32 v135, 20, v135
	v_or3_b32 v135, v148, v146, v135
.LBB2_2029:                             ;   in Loop: Header=BB2_1850 Depth=4
	s_or_b32 exec_lo, exec_lo, s37
	s_waitcnt vmcnt(1) lgkmcnt(1)
	v_and_b32_e32 v148, 0xff, v71
	s_mov_b32 s13, 0
	s_mov_b32 s38, exec_lo
                                        ; implicit-def: $sgpr37
	s_delay_alu instid0(VALU_DEP_1)
	v_cmpx_lt_i16_e64 0x7f, v148
	s_xor_b32 s38, exec_lo, s38
	s_cbranch_execnz .LBB2_2180
; %bb.2030:                             ;   in Loop: Header=BB2_1850 Depth=4
	s_or_saveexec_b32 s38, s38
	v_mov_b32_e32 v146, s37
	s_xor_b32 exec_lo, exec_lo, s38
	s_cbranch_execnz .LBB2_2183
.LBB2_2031:                             ;   in Loop: Header=BB2_1850 Depth=4
	s_or_b32 exec_lo, exec_lo, s38
	s_and_saveexec_b32 s37, s13
	s_cbranch_execz .LBB2_2033
.LBB2_2032:                             ;   in Loop: Header=BB2_1850 Depth=4
	v_and_b32_e32 v146, 7, v71
	v_lshrrev_b16 v150, 3, v71
	s_delay_alu instid0(VALU_DEP_2) | instskip(NEXT) | instid1(VALU_DEP_2)
	v_clz_i32_u32_e32 v148, v146
	v_and_b32_e32 v150, 15, v150
	s_delay_alu instid0(VALU_DEP_2) | instskip(NEXT) | instid1(VALU_DEP_2)
	v_min_u32_e32 v148, 32, v148
	v_cmp_eq_u32_e32 vcc_lo, 0, v150
	s_delay_alu instid0(VALU_DEP_2) | instskip(SKIP_1) | instid1(VALU_DEP_1)
	v_subrev_nc_u32_e32 v149, 28, v148
	v_sub_nc_u32_e32 v148, 29, v148
	v_dual_cndmask_b32 v148, v150, v148 :: v_dual_lshlrev_b32 v149, v149, v71
	s_delay_alu instid0(VALU_DEP_1) | instskip(SKIP_1) | instid1(VALU_DEP_3)
	v_and_b32_e32 v149, 7, v149
	v_lshlrev_b32_e32 v151, 24, v71
	v_lshl_add_u32 v148, v148, 23, 0x3b800000
	s_delay_alu instid0(VALU_DEP_2) | instskip(NEXT) | instid1(VALU_DEP_1)
	v_dual_cndmask_b32 v146, v146, v149 :: v_dual_and_b32 v149, 0x80000000, v151
	v_lshlrev_b32_e32 v146, 20, v146
	s_delay_alu instid0(VALU_DEP_1)
	v_or3_b32 v146, v149, v148, v146
.LBB2_2033:                             ;   in Loop: Header=BB2_1850 Depth=4
	s_or_b32 exec_lo, exec_lo, s37
	s_delay_alu instid0(VALU_DEP_1) | instskip(SKIP_1) | instid1(VALU_DEP_1)
	v_dual_max_f32 v146, v146, v146 :: v_dual_max_f32 v135, v135, v135
	s_mov_b32 s13, 0
	v_max_f32_e32 v135, v135, v146
	s_branch .LBB2_2035
.LBB2_2034:                             ;   in Loop: Header=BB2_1850 Depth=4
	s_mov_b32 s13, -1
                                        ; implicit-def: $vgpr135
.LBB2_2035:                             ;   in Loop: Header=BB2_1850 Depth=4
	s_delay_alu instid0(SALU_CYCLE_1)
	s_and_b32 vcc_lo, exec_lo, s13
	s_cbranch_vccz .LBB2_2045
; %bb.2036:                             ;   in Loop: Header=BB2_1850 Depth=4
	v_and_b32_e32 v146, 0xff, v132
	s_mov_b32 s13, 0
	s_mov_b32 s38, exec_lo
                                        ; implicit-def: $sgpr37
	s_delay_alu instid0(VALU_DEP_1)
	v_cmpx_lt_i16_e64 0x7f, v146
	s_xor_b32 s38, exec_lo, s38
	s_cbranch_execnz .LBB2_2184
; %bb.2037:                             ;   in Loop: Header=BB2_1850 Depth=4
	s_or_saveexec_b32 s38, s38
	v_mov_b32_e32 v135, s37
	s_xor_b32 exec_lo, exec_lo, s38
	s_cbranch_execnz .LBB2_2187
.LBB2_2038:                             ;   in Loop: Header=BB2_1850 Depth=4
	s_or_b32 exec_lo, exec_lo, s38
	s_and_saveexec_b32 s37, s13
	s_cbranch_execz .LBB2_2040
.LBB2_2039:                             ;   in Loop: Header=BB2_1850 Depth=4
	v_lshrrev_b16 v149, 3, v132
	s_delay_alu instid0(VALU_DEP_1) | instskip(NEXT) | instid1(VALU_DEP_1)
	v_and_b32_e32 v149, 15, v149
	v_cmp_eq_u32_e32 vcc_lo, 0, v149
	v_and_b32_e32 v135, 7, v132
	s_delay_alu instid0(VALU_DEP_1) | instskip(NEXT) | instid1(VALU_DEP_1)
	v_clz_i32_u32_e32 v146, v135
	v_min_u32_e32 v146, 32, v146
	s_delay_alu instid0(VALU_DEP_1) | instskip(SKIP_1) | instid1(VALU_DEP_2)
	v_subrev_nc_u32_e32 v148, 28, v146
	v_sub_nc_u32_e32 v146, 29, v146
	v_lshlrev_b32_e32 v148, v148, v132
	s_delay_alu instid0(VALU_DEP_2) | instskip(SKIP_1) | instid1(VALU_DEP_3)
	v_cndmask_b32_e32 v146, v149, v146, vcc_lo
	v_lshlrev_b32_e32 v132, 24, v132
	v_and_b32_e32 v148, 7, v148
	s_delay_alu instid0(VALU_DEP_3) | instskip(NEXT) | instid1(VALU_DEP_3)
	v_lshl_add_u32 v146, v146, 23, 0x3b800000
	v_and_b32_e32 v132, 0x80000000, v132
	s_delay_alu instid0(VALU_DEP_3) | instskip(NEXT) | instid1(VALU_DEP_1)
	v_cndmask_b32_e32 v135, v135, v148, vcc_lo
	v_lshlrev_b32_e32 v135, 20, v135
	s_delay_alu instid0(VALU_DEP_1)
	v_or3_b32 v135, v132, v146, v135
.LBB2_2040:                             ;   in Loop: Header=BB2_1850 Depth=4
	s_or_b32 exec_lo, exec_lo, s37
	s_waitcnt vmcnt(1) lgkmcnt(1)
	v_and_b32_e32 v146, 0xff, v71
	s_mov_b32 s13, 0
	s_mov_b32 s38, exec_lo
                                        ; implicit-def: $sgpr37
	s_delay_alu instid0(VALU_DEP_1)
	v_cmpx_lt_i16_e64 0x7f, v146
	s_xor_b32 s38, exec_lo, s38
	s_cbranch_execnz .LBB2_2188
; %bb.2041:                             ;   in Loop: Header=BB2_1850 Depth=4
	s_or_saveexec_b32 s38, s38
	v_mov_b32_e32 v132, s37
	s_xor_b32 exec_lo, exec_lo, s38
	s_cbranch_execnz .LBB2_2191
.LBB2_2042:                             ;   in Loop: Header=BB2_1850 Depth=4
	s_or_b32 exec_lo, exec_lo, s38
	s_and_saveexec_b32 s37, s13
	s_cbranch_execz .LBB2_2044
.LBB2_2043:                             ;   in Loop: Header=BB2_1850 Depth=4
	v_and_b32_e32 v132, 7, v71
	v_lshrrev_b16 v149, 3, v71
	s_delay_alu instid0(VALU_DEP_2) | instskip(NEXT) | instid1(VALU_DEP_1)
	v_clz_i32_u32_e32 v146, v132
	v_min_u32_e32 v146, 32, v146
	s_delay_alu instid0(VALU_DEP_1) | instskip(SKIP_1) | instid1(VALU_DEP_2)
	v_subrev_nc_u32_e32 v148, 28, v146
	v_sub_nc_u32_e32 v146, 29, v146
	v_lshlrev_b32_e32 v148, v148, v71
	s_delay_alu instid0(VALU_DEP_1) | instskip(SKIP_1) | instid1(VALU_DEP_1)
	v_and_b32_e32 v148, 7, v148
	v_and_b32_e32 v149, 15, v149
	v_cmp_eq_u32_e32 vcc_lo, 0, v149
	s_delay_alu instid0(VALU_DEP_3) | instskip(SKIP_1) | instid1(VALU_DEP_2)
	v_dual_cndmask_b32 v132, v132, v148 :: v_dual_lshlrev_b32 v71, 24, v71
	v_cndmask_b32_e32 v146, v149, v146, vcc_lo
	v_lshlrev_b32_e32 v132, 20, v132
	s_delay_alu instid0(VALU_DEP_3) | instskip(NEXT) | instid1(VALU_DEP_3)
	v_and_b32_e32 v71, 0x80000000, v71
	v_lshl_add_u32 v146, v146, 23, 0x3b800000
	s_delay_alu instid0(VALU_DEP_1)
	v_or3_b32 v132, v71, v146, v132
.LBB2_2044:                             ;   in Loop: Header=BB2_1850 Depth=4
	s_or_b32 exec_lo, exec_lo, s37
	s_delay_alu instid0(VALU_DEP_1) | instskip(NEXT) | instid1(VALU_DEP_1)
	v_dual_max_f32 v71, v132, v132 :: v_dual_max_f32 v132, v135, v135
	v_min_f32_e32 v135, v132, v71
.LBB2_2045:                             ;   in Loop: Header=BB2_1850 Depth=4
	s_waitcnt vmcnt(1) lgkmcnt(1)
	s_delay_alu instid0(VALU_DEP_1) | instskip(NEXT) | instid1(VALU_DEP_1)
	v_and_b32_e32 v71, 0x7f800000, v135
	v_cmp_ne_u32_e32 vcc_lo, 0x7f800000, v71
	v_mov_b32_e32 v71, 0x80
	s_and_saveexec_b32 s37, vcc_lo
	s_cbranch_execz .LBB2_2053
; %bb.2046:                             ;   in Loop: Header=BB2_1850 Depth=4
	v_mov_b32_e32 v71, 0
	s_mov_b32 s38, exec_lo
	v_cmpx_ne_u32_e32 0, v135
	s_cbranch_execz .LBB2_2052
; %bb.2047:                             ;   in Loop: Header=BB2_1850 Depth=4
	v_bfe_u32 v71, v135, 23, 8
	v_and_b32_e32 v132, 0x7fffff, v135
	s_delay_alu instid0(VALU_DEP_2) | instskip(SKIP_1) | instid1(VALU_DEP_3)
	v_sub_nc_u32_e32 v146, 0x78, v71
	v_cmp_gt_u32_e32 vcc_lo, 0x79, v71
	v_or_b32_e32 v148, 0x800000, v132
	s_delay_alu instid0(VALU_DEP_3) | instskip(SKIP_2) | instid1(VALU_DEP_3)
	v_cndmask_b32_e32 v146, 0, v146, vcc_lo
	v_cmp_eq_u32_e32 vcc_lo, 0, v71
	v_add_nc_u32_e32 v71, 0xffffff89, v71
	v_cndmask_b32_e64 v146, v146, 0x77, vcc_lo
	v_cndmask_b32_e32 v132, v148, v132, vcc_lo
	s_delay_alu instid0(VALU_DEP_3) | instskip(NEXT) | instid1(VALU_DEP_3)
	v_cndmask_b32_e64 v71, v71, 0xffffff8a, vcc_lo
	v_lshl_add_u32 v148, 0x100000, v146, -1
	s_delay_alu instid0(VALU_DEP_3) | instskip(SKIP_1) | instid1(VALU_DEP_4)
	v_lshrrev_b32_e32 v149, v146, v132
	v_lshlrev_b32_e64 v151, v146, 0x80000
	v_add_nc_u32_e32 v146, v146, v71
	s_delay_alu instid0(VALU_DEP_4) | instskip(NEXT) | instid1(VALU_DEP_4)
	v_and_b32_e32 v132, v148, v132
	v_bfe_u32 v150, v149, 20, 1
	s_delay_alu instid0(VALU_DEP_2) | instskip(NEXT) | instid1(VALU_DEP_2)
	v_cmp_eq_u32_e64 s13, v132, v151
	v_add_nc_u32_e32 v148, -1, v150
	s_delay_alu instid0(VALU_DEP_1) | instskip(SKIP_2) | instid1(VALU_DEP_2)
	v_cndmask_b32_e64 v132, 0, v148, s13
	v_lshrrev_b32_e32 v148, 23, v149
	s_mov_b32 s13, exec_lo
	v_add_nc_u32_e32 v132, v132, v149
	s_delay_alu instid0(VALU_DEP_2) | instskip(NEXT) | instid1(VALU_DEP_2)
	v_xor_b32_e32 v148, 1, v148
	v_and_b32_e32 v71, 0xfffff, v132
	s_delay_alu instid0(VALU_DEP_1) | instskip(NEXT) | instid1(VALU_DEP_3)
	v_add_nc_u32_e32 v132, v71, v149
                                        ; implicit-def: $vgpr71
	v_cmpx_ne_u32_e64 v146, v148
	s_xor_b32 s13, exec_lo, s13
; %bb.2048:                             ;   in Loop: Header=BB2_1850 Depth=4
	s_delay_alu instid0(VALU_DEP_2) | instskip(SKIP_2) | instid1(VALU_DEP_2)
	v_cmp_lt_u32_e32 vcc_lo, 0xffffff, v132
	v_sub_nc_u32_e32 v71, v146, v148
	v_cndmask_b32_e64 v146, 0, 1, vcc_lo
	v_add_co_ci_u32_e32 v71, vcc_lo, 0, v71, vcc_lo
	s_delay_alu instid0(VALU_DEP_2)
	v_lshrrev_b32_e32 v132, v146, v132
; %bb.2049:                             ;   in Loop: Header=BB2_1850 Depth=4
	s_and_not1_saveexec_b32 s13, s13
; %bb.2050:                             ;   in Loop: Header=BB2_1850 Depth=4
	s_delay_alu instid0(VALU_DEP_1)
	v_bfe_u32 v71, v132, 23, 1
; %bb.2051:                             ;   in Loop: Header=BB2_1850 Depth=4
	s_or_b32 exec_lo, exec_lo, s13
	v_lshrrev_b32_e32 v132, 20, v132
	s_delay_alu instid0(VALU_DEP_2) | instskip(SKIP_2) | instid1(VALU_DEP_2)
	v_cmp_gt_i32_e32 vcc_lo, 16, v71
	v_lshrrev_b32_e32 v135, 24, v135
	v_min_i32_e32 v146, 15, v71
	v_dual_cndmask_b32 v132, 7, v132 :: v_dual_and_b32 v135, 0x80, v135
	s_delay_alu instid0(VALU_DEP_1) | instskip(SKIP_1) | instid1(VALU_DEP_2)
	v_or_b32_e32 v71, v71, v132
	v_and_b32_e32 v148, 7, v132
	v_cmp_ne_u32_e32 vcc_lo, 0, v71
	v_lshlrev_b32_e32 v146, 3, v146
	s_delay_alu instid0(VALU_DEP_1) | instskip(NEXT) | instid1(VALU_DEP_1)
	v_or3_b32 v132, v146, v135, v148
	v_cndmask_b32_e32 v71, 0, v132, vcc_lo
.LBB2_2052:                             ;   in Loop: Header=BB2_1850 Depth=4
	s_or_b32 exec_lo, exec_lo, s38
.LBB2_2053:                             ;   in Loop: Header=BB2_1850 Depth=4
	s_delay_alu instid0(SALU_CYCLE_1) | instskip(NEXT) | instid1(SALU_CYCLE_1)
	s_or_b32 exec_lo, exec_lo, s37
	s_and_not1_b32 vcc_lo, exec_lo, s35
	s_cbranch_vccnz .LBB2_2063
; %bb.2054:                             ;   in Loop: Header=BB2_1850 Depth=4
	v_and_b32_e32 v135, 0xff, v69
	s_mov_b32 s13, 0
	s_mov_b32 s38, exec_lo
                                        ; implicit-def: $sgpr37
	s_delay_alu instid0(VALU_DEP_1)
	v_cmpx_lt_i16_e64 0x7f, v135
	s_xor_b32 s38, exec_lo, s38
	s_cbranch_execnz .LBB2_2192
; %bb.2055:                             ;   in Loop: Header=BB2_1850 Depth=4
	s_or_saveexec_b32 s38, s38
	v_mov_b32_e32 v132, s37
	s_xor_b32 exec_lo, exec_lo, s38
	s_cbranch_execnz .LBB2_2195
.LBB2_2056:                             ;   in Loop: Header=BB2_1850 Depth=4
	s_or_b32 exec_lo, exec_lo, s38
	s_and_saveexec_b32 s37, s13
	s_cbranch_execz .LBB2_2058
.LBB2_2057:                             ;   in Loop: Header=BB2_1850 Depth=4
	v_lshrrev_b16 v148, 3, v69
	s_delay_alu instid0(VALU_DEP_1) | instskip(NEXT) | instid1(VALU_DEP_1)
	v_and_b32_e32 v148, 15, v148
	v_cmp_eq_u32_e32 vcc_lo, 0, v148
	v_and_b32_e32 v132, 7, v69
	s_delay_alu instid0(VALU_DEP_1) | instskip(NEXT) | instid1(VALU_DEP_1)
	v_clz_i32_u32_e32 v135, v132
	v_min_u32_e32 v135, 32, v135
	s_delay_alu instid0(VALU_DEP_1) | instskip(SKIP_1) | instid1(VALU_DEP_1)
	v_subrev_nc_u32_e32 v146, 28, v135
	v_sub_nc_u32_e32 v135, 29, v135
	v_dual_cndmask_b32 v135, v148, v135 :: v_dual_lshlrev_b32 v146, v146, v69
	s_delay_alu instid0(VALU_DEP_1) | instskip(SKIP_1) | instid1(VALU_DEP_3)
	v_and_b32_e32 v146, 7, v146
	v_lshlrev_b32_e32 v149, 24, v69
	v_lshl_add_u32 v135, v135, 23, 0x3b800000
	s_delay_alu instid0(VALU_DEP_3) | instskip(NEXT) | instid1(VALU_DEP_3)
	v_cndmask_b32_e32 v132, v132, v146, vcc_lo
	v_and_b32_e32 v146, 0x80000000, v149
	s_delay_alu instid0(VALU_DEP_2) | instskip(NEXT) | instid1(VALU_DEP_1)
	v_lshlrev_b32_e32 v132, 20, v132
	v_or3_b32 v132, v146, v135, v132
.LBB2_2058:                             ;   in Loop: Header=BB2_1850 Depth=4
	s_or_b32 exec_lo, exec_lo, s37
	s_waitcnt vmcnt(0) lgkmcnt(0)
	v_and_b32_e32 v146, 0xff, v68
	s_mov_b32 s13, 0
	s_mov_b32 s38, exec_lo
                                        ; implicit-def: $sgpr37
	s_delay_alu instid0(VALU_DEP_1)
	v_cmpx_lt_i16_e64 0x7f, v146
	s_xor_b32 s38, exec_lo, s38
	s_cbranch_execnz .LBB2_2196
; %bb.2059:                             ;   in Loop: Header=BB2_1850 Depth=4
	s_or_saveexec_b32 s38, s38
	v_mov_b32_e32 v135, s37
	s_xor_b32 exec_lo, exec_lo, s38
	s_cbranch_execnz .LBB2_2199
.LBB2_2060:                             ;   in Loop: Header=BB2_1850 Depth=4
	s_or_b32 exec_lo, exec_lo, s38
	s_and_saveexec_b32 s37, s13
	s_cbranch_execz .LBB2_2062
.LBB2_2061:                             ;   in Loop: Header=BB2_1850 Depth=4
	v_lshrrev_b16 v149, 3, v68
	v_lshlrev_b32_e32 v150, 24, v68
	s_delay_alu instid0(VALU_DEP_2) | instskip(NEXT) | instid1(VALU_DEP_1)
	v_and_b32_e32 v149, 15, v149
	v_cmp_eq_u32_e32 vcc_lo, 0, v149
	v_and_b32_e32 v135, 7, v68
	s_delay_alu instid0(VALU_DEP_1) | instskip(NEXT) | instid1(VALU_DEP_1)
	v_clz_i32_u32_e32 v146, v135
	v_min_u32_e32 v146, 32, v146
	s_delay_alu instid0(VALU_DEP_1) | instskip(SKIP_1) | instid1(VALU_DEP_2)
	v_subrev_nc_u32_e32 v148, 28, v146
	v_sub_nc_u32_e32 v146, 29, v146
	v_lshlrev_b32_e32 v148, v148, v68
	s_delay_alu instid0(VALU_DEP_2) | instskip(NEXT) | instid1(VALU_DEP_2)
	v_cndmask_b32_e32 v146, v149, v146, vcc_lo
	v_and_b32_e32 v148, 7, v148
	s_delay_alu instid0(VALU_DEP_2) | instskip(NEXT) | instid1(VALU_DEP_2)
	v_lshl_add_u32 v146, v146, 23, 0x3b800000
	v_dual_cndmask_b32 v135, v135, v148 :: v_dual_and_b32 v148, 0x80000000, v150
	s_delay_alu instid0(VALU_DEP_1) | instskip(NEXT) | instid1(VALU_DEP_1)
	v_lshlrev_b32_e32 v135, 20, v135
	v_or3_b32 v135, v148, v146, v135
.LBB2_2062:                             ;   in Loop: Header=BB2_1850 Depth=4
	s_or_b32 exec_lo, exec_lo, s37
	s_delay_alu instid0(VALU_DEP_1) | instskip(SKIP_1) | instid1(VALU_DEP_1)
	v_dual_max_f32 v135, v135, v135 :: v_dual_max_f32 v132, v132, v132
	s_mov_b32 s13, 0
	v_max_f32_e32 v132, v132, v135
	s_branch .LBB2_2064
.LBB2_2063:                             ;   in Loop: Header=BB2_1850 Depth=4
	s_mov_b32 s13, -1
                                        ; implicit-def: $vgpr132
.LBB2_2064:                             ;   in Loop: Header=BB2_1850 Depth=4
	s_delay_alu instid0(SALU_CYCLE_1)
	s_and_b32 vcc_lo, exec_lo, s13
	s_cbranch_vccz .LBB2_2074
; %bb.2065:                             ;   in Loop: Header=BB2_1850 Depth=4
	v_and_b32_e32 v135, 0xff, v69
	s_mov_b32 s13, 0
	s_mov_b32 s38, exec_lo
                                        ; implicit-def: $sgpr37
	s_delay_alu instid0(VALU_DEP_1)
	v_cmpx_lt_i16_e64 0x7f, v135
	s_xor_b32 s38, exec_lo, s38
	s_cbranch_execnz .LBB2_2200
; %bb.2066:                             ;   in Loop: Header=BB2_1850 Depth=4
	s_or_saveexec_b32 s38, s38
	v_mov_b32_e32 v132, s37
	s_xor_b32 exec_lo, exec_lo, s38
	s_cbranch_execnz .LBB2_2203
.LBB2_2067:                             ;   in Loop: Header=BB2_1850 Depth=4
	s_or_b32 exec_lo, exec_lo, s38
	s_and_saveexec_b32 s37, s13
	s_cbranch_execz .LBB2_2069
.LBB2_2068:                             ;   in Loop: Header=BB2_1850 Depth=4
	v_lshrrev_b16 v148, 3, v69
	s_delay_alu instid0(VALU_DEP_1) | instskip(NEXT) | instid1(VALU_DEP_1)
	v_and_b32_e32 v148, 15, v148
	v_cmp_eq_u32_e32 vcc_lo, 0, v148
	v_and_b32_e32 v132, 7, v69
	s_delay_alu instid0(VALU_DEP_1) | instskip(NEXT) | instid1(VALU_DEP_1)
	v_clz_i32_u32_e32 v135, v132
	v_min_u32_e32 v135, 32, v135
	s_delay_alu instid0(VALU_DEP_1) | instskip(SKIP_1) | instid1(VALU_DEP_1)
	v_subrev_nc_u32_e32 v146, 28, v135
	v_sub_nc_u32_e32 v135, 29, v135
	v_dual_cndmask_b32 v135, v148, v135 :: v_dual_lshlrev_b32 v146, v146, v69
	s_delay_alu instid0(VALU_DEP_1) | instskip(SKIP_1) | instid1(VALU_DEP_3)
	v_and_b32_e32 v146, 7, v146
	v_lshlrev_b32_e32 v69, 24, v69
	v_lshl_add_u32 v135, v135, 23, 0x3b800000
	s_delay_alu instid0(VALU_DEP_2) | instskip(NEXT) | instid1(VALU_DEP_1)
	v_dual_cndmask_b32 v132, v132, v146 :: v_dual_and_b32 v69, 0x80000000, v69
	v_lshlrev_b32_e32 v132, 20, v132
	s_delay_alu instid0(VALU_DEP_1)
	v_or3_b32 v132, v69, v135, v132
.LBB2_2069:                             ;   in Loop: Header=BB2_1850 Depth=4
	s_or_b32 exec_lo, exec_lo, s37
	s_waitcnt vmcnt(0) lgkmcnt(0)
	v_and_b32_e32 v135, 0xff, v68
	s_mov_b32 s13, 0
	s_mov_b32 s38, exec_lo
                                        ; implicit-def: $sgpr37
	s_delay_alu instid0(VALU_DEP_1)
	v_cmpx_lt_i16_e64 0x7f, v135
	s_xor_b32 s38, exec_lo, s38
	s_cbranch_execnz .LBB2_2204
; %bb.2070:                             ;   in Loop: Header=BB2_1850 Depth=4
	s_or_saveexec_b32 s38, s38
	v_mov_b32_e32 v69, s37
	s_xor_b32 exec_lo, exec_lo, s38
	s_cbranch_execnz .LBB2_2207
.LBB2_2071:                             ;   in Loop: Header=BB2_1850 Depth=4
	s_or_b32 exec_lo, exec_lo, s38
	s_and_saveexec_b32 s37, s13
	s_cbranch_execz .LBB2_2073
.LBB2_2072:                             ;   in Loop: Header=BB2_1850 Depth=4
	v_and_b32_e32 v69, 7, v68
	v_lshrrev_b16 v148, 3, v68
	s_delay_alu instid0(VALU_DEP_2) | instskip(NEXT) | instid1(VALU_DEP_2)
	v_clz_i32_u32_e32 v135, v69
	v_and_b32_e32 v148, 15, v148
	s_delay_alu instid0(VALU_DEP_2) | instskip(NEXT) | instid1(VALU_DEP_2)
	v_min_u32_e32 v135, 32, v135
	v_cmp_eq_u32_e32 vcc_lo, 0, v148
	s_delay_alu instid0(VALU_DEP_2) | instskip(SKIP_1) | instid1(VALU_DEP_1)
	v_subrev_nc_u32_e32 v146, 28, v135
	v_sub_nc_u32_e32 v135, 29, v135
	v_dual_cndmask_b32 v135, v148, v135 :: v_dual_lshlrev_b32 v146, v146, v68
	v_lshlrev_b32_e32 v68, 24, v68
	s_delay_alu instid0(VALU_DEP_2) | instskip(NEXT) | instid1(VALU_DEP_3)
	v_and_b32_e32 v146, 7, v146
	v_lshl_add_u32 v135, v135, 23, 0x3b800000
	s_delay_alu instid0(VALU_DEP_2) | instskip(NEXT) | instid1(VALU_DEP_1)
	v_dual_cndmask_b32 v69, v69, v146 :: v_dual_and_b32 v68, 0x80000000, v68
	v_lshlrev_b32_e32 v69, 20, v69
	s_delay_alu instid0(VALU_DEP_1)
	v_or3_b32 v69, v68, v135, v69
.LBB2_2073:                             ;   in Loop: Header=BB2_1850 Depth=4
	s_or_b32 exec_lo, exec_lo, s37
	s_delay_alu instid0(VALU_DEP_1) | instskip(NEXT) | instid1(VALU_DEP_1)
	v_dual_max_f32 v68, v69, v69 :: v_dual_max_f32 v69, v132, v132
	v_min_f32_e32 v132, v69, v68
.LBB2_2074:                             ;   in Loop: Header=BB2_1850 Depth=4
	s_waitcnt vmcnt(0) lgkmcnt(0)
	s_delay_alu instid0(VALU_DEP_1) | instskip(NEXT) | instid1(VALU_DEP_1)
	v_and_b32_e32 v68, 0x7f800000, v132
	v_cmp_ne_u32_e32 vcc_lo, 0x7f800000, v68
	v_mov_b32_e32 v68, 0x80
	s_and_saveexec_b32 s37, vcc_lo
	s_cbranch_execz .LBB2_1849
; %bb.2075:                             ;   in Loop: Header=BB2_1850 Depth=4
	v_mov_b32_e32 v68, 0
	s_mov_b32 s38, exec_lo
	v_cmpx_ne_u32_e32 0, v132
	s_cbranch_execz .LBB2_1848
; %bb.2076:                             ;   in Loop: Header=BB2_1850 Depth=4
	v_bfe_u32 v68, v132, 23, 8
	v_and_b32_e32 v69, 0x7fffff, v132
	s_delay_alu instid0(VALU_DEP_2) | instskip(SKIP_1) | instid1(VALU_DEP_3)
	v_sub_nc_u32_e32 v135, 0x78, v68
	v_cmp_gt_u32_e32 vcc_lo, 0x79, v68
	v_or_b32_e32 v146, 0x800000, v69
	s_delay_alu instid0(VALU_DEP_3) | instskip(SKIP_2) | instid1(VALU_DEP_3)
	v_cndmask_b32_e32 v135, 0, v135, vcc_lo
	v_cmp_eq_u32_e32 vcc_lo, 0, v68
	v_add_nc_u32_e32 v68, 0xffffff89, v68
	v_cndmask_b32_e64 v135, v135, 0x77, vcc_lo
	v_cndmask_b32_e32 v69, v146, v69, vcc_lo
	s_delay_alu instid0(VALU_DEP_3) | instskip(NEXT) | instid1(VALU_DEP_3)
	v_cndmask_b32_e64 v68, v68, 0xffffff8a, vcc_lo
	v_lshl_add_u32 v146, 0x100000, v135, -1
	s_delay_alu instid0(VALU_DEP_3) | instskip(SKIP_1) | instid1(VALU_DEP_4)
	v_lshrrev_b32_e32 v148, v135, v69
	v_lshlrev_b32_e64 v150, v135, 0x80000
	v_add_nc_u32_e32 v135, v135, v68
	s_delay_alu instid0(VALU_DEP_4) | instskip(NEXT) | instid1(VALU_DEP_4)
	v_and_b32_e32 v69, v146, v69
	v_bfe_u32 v149, v148, 20, 1
	s_delay_alu instid0(VALU_DEP_2) | instskip(NEXT) | instid1(VALU_DEP_2)
	v_cmp_eq_u32_e64 s13, v69, v150
	v_add_nc_u32_e32 v146, -1, v149
	s_delay_alu instid0(VALU_DEP_1) | instskip(SKIP_2) | instid1(VALU_DEP_2)
	v_cndmask_b32_e64 v69, 0, v146, s13
	v_lshrrev_b32_e32 v146, 23, v148
	s_mov_b32 s13, exec_lo
	v_add_nc_u32_e32 v69, v69, v148
	s_delay_alu instid0(VALU_DEP_2) | instskip(NEXT) | instid1(VALU_DEP_2)
	v_xor_b32_e32 v146, 1, v146
	v_and_b32_e32 v68, 0xfffff, v69
	s_delay_alu instid0(VALU_DEP_1) | instskip(NEXT) | instid1(VALU_DEP_3)
	v_add_nc_u32_e32 v69, v68, v148
                                        ; implicit-def: $vgpr68
	v_cmpx_ne_u32_e64 v135, v146
	s_xor_b32 s13, exec_lo, s13
; %bb.2077:                             ;   in Loop: Header=BB2_1850 Depth=4
	s_delay_alu instid0(VALU_DEP_2) | instskip(SKIP_2) | instid1(VALU_DEP_2)
	v_cmp_lt_u32_e32 vcc_lo, 0xffffff, v69
	v_sub_nc_u32_e32 v68, v135, v146
	v_cndmask_b32_e64 v135, 0, 1, vcc_lo
	v_add_co_ci_u32_e32 v68, vcc_lo, 0, v68, vcc_lo
	s_delay_alu instid0(VALU_DEP_2)
	v_lshrrev_b32_e32 v69, v135, v69
; %bb.2078:                             ;   in Loop: Header=BB2_1850 Depth=4
	s_and_not1_saveexec_b32 s13, s13
	s_cbranch_execz .LBB2_1847
; %bb.2079:                             ;   in Loop: Header=BB2_1850 Depth=4
	s_delay_alu instid0(VALU_DEP_1)
	v_bfe_u32 v68, v69, 23, 1
	s_branch .LBB2_1847
.LBB2_2080:                             ;   in Loop: Header=BB2_1850 Depth=4
	s_mov_b32 s13, -1
	s_mov_b32 s39, exec_lo
                                        ; implicit-def: $sgpr37
	v_cmpx_eq_u16_e64 0x80, v161
; %bb.2081:                             ;   in Loop: Header=BB2_1850 Depth=4
	s_mov_b32 s37, 0x7f800001
	s_xor_b32 s13, exec_lo, -1
; %bb.2082:                             ;   in Loop: Header=BB2_1850 Depth=4
	s_or_b32 exec_lo, exec_lo, s39
	s_delay_alu instid0(SALU_CYCLE_1)
	s_and_b32 s13, s13, exec_lo
                                        ; implicit-def: $vgpr161
	s_or_saveexec_b32 s38, s38
	v_mov_b32_e32 v160, s37
	s_xor_b32 exec_lo, exec_lo, s38
	s_cbranch_execz .LBB2_1853
.LBB2_2083:                             ;   in Loop: Header=BB2_1850 Depth=4
	v_cmp_ne_u16_e64 vcc_lo, 0, v161
	v_mov_b32_e32 v160, 0
	s_and_not1_b32 s13, s13, exec_lo
	s_delay_alu instid0(VALU_DEP_2) | instskip(NEXT) | instid1(SALU_CYCLE_1)
	s_and_b32 vcc_lo, vcc_lo, exec_lo
	s_or_b32 s13, s13, vcc_lo
	s_or_b32 exec_lo, exec_lo, s38
	s_and_saveexec_b32 s37, s13
	s_cbranch_execnz .LBB2_1854
	s_branch .LBB2_1855
.LBB2_2084:                             ;   in Loop: Header=BB2_1850 Depth=4
	s_mov_b32 s13, -1
	s_mov_b32 s39, exec_lo
                                        ; implicit-def: $sgpr37
	v_cmpx_eq_u16_e64 0x80, v162
; %bb.2085:                             ;   in Loop: Header=BB2_1850 Depth=4
	s_mov_b32 s37, 0x7f800001
	s_xor_b32 s13, exec_lo, -1
; %bb.2086:                             ;   in Loop: Header=BB2_1850 Depth=4
	s_or_b32 exec_lo, exec_lo, s39
	s_delay_alu instid0(SALU_CYCLE_1)
	s_and_b32 s13, s13, exec_lo
                                        ; implicit-def: $vgpr162
	s_or_saveexec_b32 s38, s38
	v_mov_b32_e32 v161, s37
	s_xor_b32 exec_lo, exec_lo, s38
	s_cbranch_execz .LBB2_1857
.LBB2_2087:                             ;   in Loop: Header=BB2_1850 Depth=4
	v_cmp_ne_u16_e64 vcc_lo, 0, v162
	v_mov_b32_e32 v161, 0
	s_and_not1_b32 s13, s13, exec_lo
	s_delay_alu instid0(VALU_DEP_2) | instskip(NEXT) | instid1(SALU_CYCLE_1)
	s_and_b32 vcc_lo, vcc_lo, exec_lo
	s_or_b32 s13, s13, vcc_lo
	s_or_b32 exec_lo, exec_lo, s38
	s_and_saveexec_b32 s37, s13
	s_cbranch_execnz .LBB2_1858
	s_branch .LBB2_1859
.LBB2_2088:                             ;   in Loop: Header=BB2_1850 Depth=4
	s_mov_b32 s13, -1
	s_mov_b32 s39, exec_lo
                                        ; implicit-def: $sgpr37
	v_cmpx_eq_u16_e64 0x80, v161
; %bb.2089:                             ;   in Loop: Header=BB2_1850 Depth=4
	s_mov_b32 s37, 0x7f800001
	s_xor_b32 s13, exec_lo, -1
; %bb.2090:                             ;   in Loop: Header=BB2_1850 Depth=4
	s_or_b32 exec_lo, exec_lo, s39
	s_delay_alu instid0(SALU_CYCLE_1)
	s_and_b32 s13, s13, exec_lo
                                        ; implicit-def: $vgpr161
	s_or_saveexec_b32 s38, s38
	v_mov_b32_e32 v160, s37
	s_xor_b32 exec_lo, exec_lo, s38
	s_cbranch_execz .LBB2_1864
.LBB2_2091:                             ;   in Loop: Header=BB2_1850 Depth=4
	v_cmp_ne_u16_e64 vcc_lo, 0, v161
	v_mov_b32_e32 v160, 0
	s_and_not1_b32 s13, s13, exec_lo
	s_delay_alu instid0(VALU_DEP_2) | instskip(NEXT) | instid1(SALU_CYCLE_1)
	s_and_b32 vcc_lo, vcc_lo, exec_lo
	s_or_b32 s13, s13, vcc_lo
	s_or_b32 exec_lo, exec_lo, s38
	s_and_saveexec_b32 s37, s13
	s_cbranch_execnz .LBB2_1865
	s_branch .LBB2_1866
.LBB2_2092:                             ;   in Loop: Header=BB2_1850 Depth=4
	s_mov_b32 s13, -1
	s_mov_b32 s39, exec_lo
                                        ; implicit-def: $sgpr37
	v_cmpx_eq_u16_e64 0x80, v161
; %bb.2093:                             ;   in Loop: Header=BB2_1850 Depth=4
	s_mov_b32 s37, 0x7f800001
	s_xor_b32 s13, exec_lo, -1
; %bb.2094:                             ;   in Loop: Header=BB2_1850 Depth=4
	s_or_b32 exec_lo, exec_lo, s39
	s_delay_alu instid0(SALU_CYCLE_1)
	s_and_b32 s13, s13, exec_lo
                                        ; implicit-def: $vgpr161
	s_or_saveexec_b32 s38, s38
	v_mov_b32_e32 v151, s37
	s_xor_b32 exec_lo, exec_lo, s38
	s_cbranch_execz .LBB2_1868
.LBB2_2095:                             ;   in Loop: Header=BB2_1850 Depth=4
	v_cmp_ne_u16_e64 vcc_lo, 0, v161
	v_mov_b32_e32 v151, 0
	s_and_not1_b32 s13, s13, exec_lo
	s_delay_alu instid0(VALU_DEP_2) | instskip(NEXT) | instid1(SALU_CYCLE_1)
	s_and_b32 vcc_lo, vcc_lo, exec_lo
	s_or_b32 s13, s13, vcc_lo
	s_or_b32 exec_lo, exec_lo, s38
	s_and_saveexec_b32 s37, s13
	s_cbranch_execnz .LBB2_1869
	s_branch .LBB2_1870
.LBB2_2096:                             ;   in Loop: Header=BB2_1850 Depth=4
	s_mov_b32 s13, -1
	s_mov_b32 s39, exec_lo
                                        ; implicit-def: $sgpr37
	v_cmpx_eq_u16_e64 0x80, v160
; %bb.2097:                             ;   in Loop: Header=BB2_1850 Depth=4
	s_mov_b32 s37, 0x7f800001
	s_xor_b32 s13, exec_lo, -1
; %bb.2098:                             ;   in Loop: Header=BB2_1850 Depth=4
	s_or_b32 exec_lo, exec_lo, s39
	s_delay_alu instid0(SALU_CYCLE_1)
	s_and_b32 s13, s13, exec_lo
                                        ; implicit-def: $vgpr160
	s_or_saveexec_b32 s38, s38
	v_mov_b32_e32 v151, s37
	s_xor_b32 exec_lo, exec_lo, s38
	s_cbranch_execz .LBB2_1882
.LBB2_2099:                             ;   in Loop: Header=BB2_1850 Depth=4
	v_cmp_ne_u16_e64 vcc_lo, 0, v160
	v_mov_b32_e32 v151, 0
	s_and_not1_b32 s13, s13, exec_lo
	s_delay_alu instid0(VALU_DEP_2) | instskip(NEXT) | instid1(SALU_CYCLE_1)
	s_and_b32 vcc_lo, vcc_lo, exec_lo
	s_or_b32 s13, s13, vcc_lo
	s_or_b32 exec_lo, exec_lo, s38
	s_and_saveexec_b32 s37, s13
	s_cbranch_execnz .LBB2_1883
	s_branch .LBB2_1884
.LBB2_2100:                             ;   in Loop: Header=BB2_1850 Depth=4
	s_mov_b32 s13, -1
	s_mov_b32 s39, exec_lo
                                        ; implicit-def: $sgpr37
	v_cmpx_eq_u16_e64 0x80, v161
; %bb.2101:                             ;   in Loop: Header=BB2_1850 Depth=4
	s_mov_b32 s37, 0x7f800001
	s_xor_b32 s13, exec_lo, -1
; %bb.2102:                             ;   in Loop: Header=BB2_1850 Depth=4
	s_or_b32 exec_lo, exec_lo, s39
	s_delay_alu instid0(SALU_CYCLE_1)
	s_and_b32 s13, s13, exec_lo
                                        ; implicit-def: $vgpr161
	s_or_saveexec_b32 s38, s38
	v_mov_b32_e32 v160, s37
	s_xor_b32 exec_lo, exec_lo, s38
	s_cbranch_execz .LBB2_1886
.LBB2_2103:                             ;   in Loop: Header=BB2_1850 Depth=4
	v_cmp_ne_u16_e64 vcc_lo, 0, v161
	v_mov_b32_e32 v160, 0
	s_and_not1_b32 s13, s13, exec_lo
	s_delay_alu instid0(VALU_DEP_2) | instskip(NEXT) | instid1(SALU_CYCLE_1)
	s_and_b32 vcc_lo, vcc_lo, exec_lo
	s_or_b32 s13, s13, vcc_lo
	s_or_b32 exec_lo, exec_lo, s38
	s_and_saveexec_b32 s37, s13
	s_cbranch_execnz .LBB2_1887
	s_branch .LBB2_1888
.LBB2_2104:                             ;   in Loop: Header=BB2_1850 Depth=4
	s_mov_b32 s13, -1
	s_mov_b32 s39, exec_lo
                                        ; implicit-def: $sgpr37
	v_cmpx_eq_u16_e64 0x80, v160
; %bb.2105:                             ;   in Loop: Header=BB2_1850 Depth=4
	s_mov_b32 s37, 0x7f800001
	s_xor_b32 s13, exec_lo, -1
; %bb.2106:                             ;   in Loop: Header=BB2_1850 Depth=4
	s_or_b32 exec_lo, exec_lo, s39
	s_delay_alu instid0(SALU_CYCLE_1)
	s_and_b32 s13, s13, exec_lo
                                        ; implicit-def: $vgpr160
	s_or_saveexec_b32 s38, s38
	v_mov_b32_e32 v151, s37
	s_xor_b32 exec_lo, exec_lo, s38
	s_cbranch_execz .LBB2_1893
.LBB2_2107:                             ;   in Loop: Header=BB2_1850 Depth=4
	v_cmp_ne_u16_e64 vcc_lo, 0, v160
	v_mov_b32_e32 v151, 0
	s_and_not1_b32 s13, s13, exec_lo
	s_delay_alu instid0(VALU_DEP_2) | instskip(NEXT) | instid1(SALU_CYCLE_1)
	s_and_b32 vcc_lo, vcc_lo, exec_lo
	s_or_b32 s13, s13, vcc_lo
	s_or_b32 exec_lo, exec_lo, s38
	s_and_saveexec_b32 s37, s13
	s_cbranch_execnz .LBB2_1894
	s_branch .LBB2_1895
.LBB2_2108:                             ;   in Loop: Header=BB2_1850 Depth=4
	s_mov_b32 s13, -1
	s_mov_b32 s39, exec_lo
                                        ; implicit-def: $sgpr37
	v_cmpx_eq_u16_e64 0x80, v160
; %bb.2109:                             ;   in Loop: Header=BB2_1850 Depth=4
	s_mov_b32 s37, 0x7f800001
	s_xor_b32 s13, exec_lo, -1
; %bb.2110:                             ;   in Loop: Header=BB2_1850 Depth=4
	s_or_b32 exec_lo, exec_lo, s39
	s_delay_alu instid0(SALU_CYCLE_1)
	s_and_b32 s13, s13, exec_lo
                                        ; implicit-def: $vgpr160
	s_or_saveexec_b32 s38, s38
	v_mov_b32_e32 v150, s37
	s_xor_b32 exec_lo, exec_lo, s38
	s_cbranch_execz .LBB2_1897
.LBB2_2111:                             ;   in Loop: Header=BB2_1850 Depth=4
	v_cmp_ne_u16_e64 vcc_lo, 0, v160
	v_mov_b32_e32 v150, 0
	s_and_not1_b32 s13, s13, exec_lo
	s_delay_alu instid0(VALU_DEP_2) | instskip(NEXT) | instid1(SALU_CYCLE_1)
	s_and_b32 vcc_lo, vcc_lo, exec_lo
	s_or_b32 s13, s13, vcc_lo
	s_or_b32 exec_lo, exec_lo, s38
	s_and_saveexec_b32 s37, s13
	s_cbranch_execnz .LBB2_1898
	s_branch .LBB2_1899
.LBB2_2112:                             ;   in Loop: Header=BB2_1850 Depth=4
	s_mov_b32 s13, -1
	s_mov_b32 s39, exec_lo
                                        ; implicit-def: $sgpr37
	v_cmpx_eq_u16_e64 0x80, v151
; %bb.2113:                             ;   in Loop: Header=BB2_1850 Depth=4
	s_mov_b32 s37, 0x7f800001
	s_xor_b32 s13, exec_lo, -1
; %bb.2114:                             ;   in Loop: Header=BB2_1850 Depth=4
	s_or_b32 exec_lo, exec_lo, s39
	s_delay_alu instid0(SALU_CYCLE_1)
	s_and_b32 s13, s13, exec_lo
                                        ; implicit-def: $vgpr151
	s_or_saveexec_b32 s38, s38
	v_mov_b32_e32 v150, s37
	s_xor_b32 exec_lo, exec_lo, s38
	s_cbranch_execz .LBB2_1911
.LBB2_2115:                             ;   in Loop: Header=BB2_1850 Depth=4
	v_cmp_ne_u16_e64 vcc_lo, 0, v151
	v_mov_b32_e32 v150, 0
	s_and_not1_b32 s13, s13, exec_lo
	s_delay_alu instid0(VALU_DEP_2) | instskip(NEXT) | instid1(SALU_CYCLE_1)
	s_and_b32 vcc_lo, vcc_lo, exec_lo
	s_or_b32 s13, s13, vcc_lo
	s_or_b32 exec_lo, exec_lo, s38
	s_and_saveexec_b32 s37, s13
	s_cbranch_execnz .LBB2_1912
	s_branch .LBB2_1913
.LBB2_2116:                             ;   in Loop: Header=BB2_1850 Depth=4
	s_mov_b32 s13, -1
	s_mov_b32 s39, exec_lo
                                        ; implicit-def: $sgpr37
	v_cmpx_eq_u16_e64 0x80, v160
; %bb.2117:                             ;   in Loop: Header=BB2_1850 Depth=4
	s_mov_b32 s37, 0x7f800001
	s_xor_b32 s13, exec_lo, -1
; %bb.2118:                             ;   in Loop: Header=BB2_1850 Depth=4
	s_or_b32 exec_lo, exec_lo, s39
	s_delay_alu instid0(SALU_CYCLE_1)
	s_and_b32 s13, s13, exec_lo
                                        ; implicit-def: $vgpr160
	s_or_saveexec_b32 s38, s38
	v_mov_b32_e32 v151, s37
	s_xor_b32 exec_lo, exec_lo, s38
	s_cbranch_execz .LBB2_1915
.LBB2_2119:                             ;   in Loop: Header=BB2_1850 Depth=4
	v_cmp_ne_u16_e64 vcc_lo, 0, v160
	v_mov_b32_e32 v151, 0
	s_and_not1_b32 s13, s13, exec_lo
	s_delay_alu instid0(VALU_DEP_2) | instskip(NEXT) | instid1(SALU_CYCLE_1)
	s_and_b32 vcc_lo, vcc_lo, exec_lo
	s_or_b32 s13, s13, vcc_lo
	s_or_b32 exec_lo, exec_lo, s38
	s_and_saveexec_b32 s37, s13
	s_cbranch_execnz .LBB2_1916
	s_branch .LBB2_1917
.LBB2_2120:                             ;   in Loop: Header=BB2_1850 Depth=4
	s_mov_b32 s13, -1
	s_mov_b32 s39, exec_lo
                                        ; implicit-def: $sgpr37
	v_cmpx_eq_u16_e64 0x80, v151
; %bb.2121:                             ;   in Loop: Header=BB2_1850 Depth=4
	s_mov_b32 s37, 0x7f800001
	s_xor_b32 s13, exec_lo, -1
; %bb.2122:                             ;   in Loop: Header=BB2_1850 Depth=4
	s_or_b32 exec_lo, exec_lo, s39
	s_delay_alu instid0(SALU_CYCLE_1)
	s_and_b32 s13, s13, exec_lo
                                        ; implicit-def: $vgpr151
	s_or_saveexec_b32 s38, s38
	v_mov_b32_e32 v150, s37
	s_xor_b32 exec_lo, exec_lo, s38
	s_cbranch_execz .LBB2_1922
.LBB2_2123:                             ;   in Loop: Header=BB2_1850 Depth=4
	v_cmp_ne_u16_e64 vcc_lo, 0, v151
	v_mov_b32_e32 v150, 0
	s_and_not1_b32 s13, s13, exec_lo
	s_delay_alu instid0(VALU_DEP_2) | instskip(NEXT) | instid1(SALU_CYCLE_1)
	s_and_b32 vcc_lo, vcc_lo, exec_lo
	s_or_b32 s13, s13, vcc_lo
	s_or_b32 exec_lo, exec_lo, s38
	s_and_saveexec_b32 s37, s13
	s_cbranch_execnz .LBB2_1923
	s_branch .LBB2_1924
.LBB2_2124:                             ;   in Loop: Header=BB2_1850 Depth=4
	s_mov_b32 s13, -1
	s_mov_b32 s39, exec_lo
                                        ; implicit-def: $sgpr37
	v_cmpx_eq_u16_e64 0x80, v151
; %bb.2125:                             ;   in Loop: Header=BB2_1850 Depth=4
	s_mov_b32 s37, 0x7f800001
	s_xor_b32 s13, exec_lo, -1
; %bb.2126:                             ;   in Loop: Header=BB2_1850 Depth=4
	s_or_b32 exec_lo, exec_lo, s39
	s_delay_alu instid0(SALU_CYCLE_1)
	s_and_b32 s13, s13, exec_lo
                                        ; implicit-def: $vgpr151
	s_or_saveexec_b32 s38, s38
	v_mov_b32_e32 v149, s37
	s_xor_b32 exec_lo, exec_lo, s38
	s_cbranch_execz .LBB2_1926
.LBB2_2127:                             ;   in Loop: Header=BB2_1850 Depth=4
	v_cmp_ne_u16_e64 vcc_lo, 0, v151
	v_mov_b32_e32 v149, 0
	s_and_not1_b32 s13, s13, exec_lo
	s_delay_alu instid0(VALU_DEP_2) | instskip(NEXT) | instid1(SALU_CYCLE_1)
	s_and_b32 vcc_lo, vcc_lo, exec_lo
	s_or_b32 s13, s13, vcc_lo
	s_or_b32 exec_lo, exec_lo, s38
	s_and_saveexec_b32 s37, s13
	s_cbranch_execnz .LBB2_1927
	s_branch .LBB2_1928
.LBB2_2128:                             ;   in Loop: Header=BB2_1850 Depth=4
	s_mov_b32 s13, -1
	s_mov_b32 s39, exec_lo
                                        ; implicit-def: $sgpr37
	v_cmpx_eq_u16_e64 0x80, v150
; %bb.2129:                             ;   in Loop: Header=BB2_1850 Depth=4
	s_mov_b32 s37, 0x7f800001
	s_xor_b32 s13, exec_lo, -1
; %bb.2130:                             ;   in Loop: Header=BB2_1850 Depth=4
	s_or_b32 exec_lo, exec_lo, s39
	s_delay_alu instid0(SALU_CYCLE_1)
	s_and_b32 s13, s13, exec_lo
                                        ; implicit-def: $vgpr150
	s_or_saveexec_b32 s38, s38
	v_mov_b32_e32 v149, s37
	s_xor_b32 exec_lo, exec_lo, s38
	s_cbranch_execz .LBB2_1940
.LBB2_2131:                             ;   in Loop: Header=BB2_1850 Depth=4
	v_cmp_ne_u16_e64 vcc_lo, 0, v150
	v_mov_b32_e32 v149, 0
	s_and_not1_b32 s13, s13, exec_lo
	s_delay_alu instid0(VALU_DEP_2) | instskip(NEXT) | instid1(SALU_CYCLE_1)
	s_and_b32 vcc_lo, vcc_lo, exec_lo
	s_or_b32 s13, s13, vcc_lo
	s_or_b32 exec_lo, exec_lo, s38
	s_and_saveexec_b32 s37, s13
	s_cbranch_execnz .LBB2_1941
	s_branch .LBB2_1942
.LBB2_2132:                             ;   in Loop: Header=BB2_1850 Depth=4
	s_mov_b32 s13, -1
	s_mov_b32 s39, exec_lo
                                        ; implicit-def: $sgpr37
	v_cmpx_eq_u16_e64 0x80, v151
; %bb.2133:                             ;   in Loop: Header=BB2_1850 Depth=4
	s_mov_b32 s37, 0x7f800001
	s_xor_b32 s13, exec_lo, -1
; %bb.2134:                             ;   in Loop: Header=BB2_1850 Depth=4
	s_or_b32 exec_lo, exec_lo, s39
	s_delay_alu instid0(SALU_CYCLE_1)
	s_and_b32 s13, s13, exec_lo
                                        ; implicit-def: $vgpr151
	s_or_saveexec_b32 s38, s38
	v_mov_b32_e32 v150, s37
	s_xor_b32 exec_lo, exec_lo, s38
	s_cbranch_execz .LBB2_1944
.LBB2_2135:                             ;   in Loop: Header=BB2_1850 Depth=4
	v_cmp_ne_u16_e64 vcc_lo, 0, v151
	v_mov_b32_e32 v150, 0
	s_and_not1_b32 s13, s13, exec_lo
	s_delay_alu instid0(VALU_DEP_2) | instskip(NEXT) | instid1(SALU_CYCLE_1)
	s_and_b32 vcc_lo, vcc_lo, exec_lo
	s_or_b32 s13, s13, vcc_lo
	s_or_b32 exec_lo, exec_lo, s38
	s_and_saveexec_b32 s37, s13
	s_cbranch_execnz .LBB2_1945
	s_branch .LBB2_1946
.LBB2_2136:                             ;   in Loop: Header=BB2_1850 Depth=4
	s_mov_b32 s13, -1
	s_mov_b32 s39, exec_lo
                                        ; implicit-def: $sgpr37
	v_cmpx_eq_u16_e64 0x80, v150
; %bb.2137:                             ;   in Loop: Header=BB2_1850 Depth=4
	s_mov_b32 s37, 0x7f800001
	s_xor_b32 s13, exec_lo, -1
; %bb.2138:                             ;   in Loop: Header=BB2_1850 Depth=4
	s_or_b32 exec_lo, exec_lo, s39
	s_delay_alu instid0(SALU_CYCLE_1)
	s_and_b32 s13, s13, exec_lo
                                        ; implicit-def: $vgpr150
	s_or_saveexec_b32 s38, s38
	v_mov_b32_e32 v149, s37
	s_xor_b32 exec_lo, exec_lo, s38
	s_cbranch_execz .LBB2_1951
.LBB2_2139:                             ;   in Loop: Header=BB2_1850 Depth=4
	v_cmp_ne_u16_e64 vcc_lo, 0, v150
	v_mov_b32_e32 v149, 0
	s_and_not1_b32 s13, s13, exec_lo
	s_delay_alu instid0(VALU_DEP_2) | instskip(NEXT) | instid1(SALU_CYCLE_1)
	s_and_b32 vcc_lo, vcc_lo, exec_lo
	s_or_b32 s13, s13, vcc_lo
	s_or_b32 exec_lo, exec_lo, s38
	s_and_saveexec_b32 s37, s13
	s_cbranch_execnz .LBB2_1952
	s_branch .LBB2_1953
.LBB2_2140:                             ;   in Loop: Header=BB2_1850 Depth=4
	s_mov_b32 s13, -1
	s_mov_b32 s39, exec_lo
                                        ; implicit-def: $sgpr37
	v_cmpx_eq_u16_e64 0x80, v150
; %bb.2141:                             ;   in Loop: Header=BB2_1850 Depth=4
	s_mov_b32 s37, 0x7f800001
	s_xor_b32 s13, exec_lo, -1
; %bb.2142:                             ;   in Loop: Header=BB2_1850 Depth=4
	s_or_b32 exec_lo, exec_lo, s39
	s_delay_alu instid0(SALU_CYCLE_1)
	s_and_b32 s13, s13, exec_lo
                                        ; implicit-def: $vgpr150
	s_or_saveexec_b32 s38, s38
	v_mov_b32_e32 v148, s37
	s_xor_b32 exec_lo, exec_lo, s38
	s_cbranch_execz .LBB2_1955
.LBB2_2143:                             ;   in Loop: Header=BB2_1850 Depth=4
	v_cmp_ne_u16_e64 vcc_lo, 0, v150
	v_mov_b32_e32 v148, 0
	s_and_not1_b32 s13, s13, exec_lo
	s_delay_alu instid0(VALU_DEP_2) | instskip(NEXT) | instid1(SALU_CYCLE_1)
	s_and_b32 vcc_lo, vcc_lo, exec_lo
	s_or_b32 s13, s13, vcc_lo
	s_or_b32 exec_lo, exec_lo, s38
	s_and_saveexec_b32 s37, s13
	s_cbranch_execnz .LBB2_1956
	s_branch .LBB2_1957
.LBB2_2144:                             ;   in Loop: Header=BB2_1850 Depth=4
	s_mov_b32 s13, -1
	s_mov_b32 s39, exec_lo
                                        ; implicit-def: $sgpr37
	v_cmpx_eq_u16_e64 0x80, v149
; %bb.2145:                             ;   in Loop: Header=BB2_1850 Depth=4
	s_mov_b32 s37, 0x7f800001
	s_xor_b32 s13, exec_lo, -1
; %bb.2146:                             ;   in Loop: Header=BB2_1850 Depth=4
	s_or_b32 exec_lo, exec_lo, s39
	s_delay_alu instid0(SALU_CYCLE_1)
	s_and_b32 s13, s13, exec_lo
                                        ; implicit-def: $vgpr149
	s_or_saveexec_b32 s38, s38
	v_mov_b32_e32 v148, s37
	s_xor_b32 exec_lo, exec_lo, s38
	s_cbranch_execz .LBB2_1969
.LBB2_2147:                             ;   in Loop: Header=BB2_1850 Depth=4
	v_cmp_ne_u16_e64 vcc_lo, 0, v149
	v_mov_b32_e32 v148, 0
	s_and_not1_b32 s13, s13, exec_lo
	s_delay_alu instid0(VALU_DEP_2) | instskip(NEXT) | instid1(SALU_CYCLE_1)
	s_and_b32 vcc_lo, vcc_lo, exec_lo
	s_or_b32 s13, s13, vcc_lo
	s_or_b32 exec_lo, exec_lo, s38
	s_and_saveexec_b32 s37, s13
	s_cbranch_execnz .LBB2_1970
	s_branch .LBB2_1971
.LBB2_2148:                             ;   in Loop: Header=BB2_1850 Depth=4
	s_mov_b32 s13, -1
	s_mov_b32 s39, exec_lo
                                        ; implicit-def: $sgpr37
	v_cmpx_eq_u16_e64 0x80, v150
; %bb.2149:                             ;   in Loop: Header=BB2_1850 Depth=4
	s_mov_b32 s37, 0x7f800001
	s_xor_b32 s13, exec_lo, -1
; %bb.2150:                             ;   in Loop: Header=BB2_1850 Depth=4
	s_or_b32 exec_lo, exec_lo, s39
	s_delay_alu instid0(SALU_CYCLE_1)
	s_and_b32 s13, s13, exec_lo
                                        ; implicit-def: $vgpr150
	s_or_saveexec_b32 s38, s38
	v_mov_b32_e32 v149, s37
	s_xor_b32 exec_lo, exec_lo, s38
	s_cbranch_execz .LBB2_1973
.LBB2_2151:                             ;   in Loop: Header=BB2_1850 Depth=4
	v_cmp_ne_u16_e64 vcc_lo, 0, v150
	v_mov_b32_e32 v149, 0
	s_and_not1_b32 s13, s13, exec_lo
	s_delay_alu instid0(VALU_DEP_2) | instskip(NEXT) | instid1(SALU_CYCLE_1)
	s_and_b32 vcc_lo, vcc_lo, exec_lo
	s_or_b32 s13, s13, vcc_lo
	s_or_b32 exec_lo, exec_lo, s38
	s_and_saveexec_b32 s37, s13
	s_cbranch_execnz .LBB2_1974
	s_branch .LBB2_1975
.LBB2_2152:                             ;   in Loop: Header=BB2_1850 Depth=4
	s_mov_b32 s13, -1
	s_mov_b32 s39, exec_lo
                                        ; implicit-def: $sgpr37
	v_cmpx_eq_u16_e64 0x80, v149
; %bb.2153:                             ;   in Loop: Header=BB2_1850 Depth=4
	s_mov_b32 s37, 0x7f800001
	s_xor_b32 s13, exec_lo, -1
; %bb.2154:                             ;   in Loop: Header=BB2_1850 Depth=4
	s_or_b32 exec_lo, exec_lo, s39
	s_delay_alu instid0(SALU_CYCLE_1)
	s_and_b32 s13, s13, exec_lo
                                        ; implicit-def: $vgpr149
	s_or_saveexec_b32 s38, s38
	v_mov_b32_e32 v148, s37
	s_xor_b32 exec_lo, exec_lo, s38
	s_cbranch_execz .LBB2_1980
.LBB2_2155:                             ;   in Loop: Header=BB2_1850 Depth=4
	v_cmp_ne_u16_e64 vcc_lo, 0, v149
	v_mov_b32_e32 v148, 0
	s_and_not1_b32 s13, s13, exec_lo
	s_delay_alu instid0(VALU_DEP_2) | instskip(NEXT) | instid1(SALU_CYCLE_1)
	s_and_b32 vcc_lo, vcc_lo, exec_lo
	s_or_b32 s13, s13, vcc_lo
	s_or_b32 exec_lo, exec_lo, s38
	s_and_saveexec_b32 s37, s13
	s_cbranch_execnz .LBB2_1981
	s_branch .LBB2_1982
.LBB2_2156:                             ;   in Loop: Header=BB2_1850 Depth=4
	s_mov_b32 s13, -1
	s_mov_b32 s39, exec_lo
                                        ; implicit-def: $sgpr37
	v_cmpx_eq_u16_e64 0x80, v149
; %bb.2157:                             ;   in Loop: Header=BB2_1850 Depth=4
	s_mov_b32 s37, 0x7f800001
	s_xor_b32 s13, exec_lo, -1
; %bb.2158:                             ;   in Loop: Header=BB2_1850 Depth=4
	s_or_b32 exec_lo, exec_lo, s39
	s_delay_alu instid0(SALU_CYCLE_1)
	s_and_b32 s13, s13, exec_lo
                                        ; implicit-def: $vgpr149
	s_or_saveexec_b32 s38, s38
	v_mov_b32_e32 v146, s37
	s_xor_b32 exec_lo, exec_lo, s38
	s_cbranch_execz .LBB2_1984
.LBB2_2159:                             ;   in Loop: Header=BB2_1850 Depth=4
	v_cmp_ne_u16_e64 vcc_lo, 0, v149
	v_mov_b32_e32 v146, 0
	s_and_not1_b32 s13, s13, exec_lo
	s_delay_alu instid0(VALU_DEP_2) | instskip(NEXT) | instid1(SALU_CYCLE_1)
	s_and_b32 vcc_lo, vcc_lo, exec_lo
	s_or_b32 s13, s13, vcc_lo
	s_or_b32 exec_lo, exec_lo, s38
	s_and_saveexec_b32 s37, s13
	s_cbranch_execnz .LBB2_1985
	s_branch .LBB2_1986
.LBB2_2160:                             ;   in Loop: Header=BB2_1850 Depth=4
	s_mov_b32 s13, -1
	s_mov_b32 s39, exec_lo
                                        ; implicit-def: $sgpr37
	v_cmpx_eq_u16_e64 0x80, v148
; %bb.2161:                             ;   in Loop: Header=BB2_1850 Depth=4
	s_mov_b32 s37, 0x7f800001
	s_xor_b32 s13, exec_lo, -1
; %bb.2162:                             ;   in Loop: Header=BB2_1850 Depth=4
	s_or_b32 exec_lo, exec_lo, s39
	s_delay_alu instid0(SALU_CYCLE_1)
	s_and_b32 s13, s13, exec_lo
                                        ; implicit-def: $vgpr148
	s_or_saveexec_b32 s38, s38
	v_mov_b32_e32 v146, s37
	s_xor_b32 exec_lo, exec_lo, s38
	s_cbranch_execz .LBB2_1998
.LBB2_2163:                             ;   in Loop: Header=BB2_1850 Depth=4
	v_cmp_ne_u16_e64 vcc_lo, 0, v148
	v_mov_b32_e32 v146, 0
	s_and_not1_b32 s13, s13, exec_lo
	s_delay_alu instid0(VALU_DEP_2) | instskip(NEXT) | instid1(SALU_CYCLE_1)
	s_and_b32 vcc_lo, vcc_lo, exec_lo
	s_or_b32 s13, s13, vcc_lo
	s_or_b32 exec_lo, exec_lo, s38
	s_and_saveexec_b32 s37, s13
	s_cbranch_execnz .LBB2_1999
	s_branch .LBB2_2000
.LBB2_2164:                             ;   in Loop: Header=BB2_1850 Depth=4
	s_mov_b32 s13, -1
	s_mov_b32 s39, exec_lo
                                        ; implicit-def: $sgpr37
	v_cmpx_eq_u16_e64 0x80, v149
; %bb.2165:                             ;   in Loop: Header=BB2_1850 Depth=4
	s_mov_b32 s37, 0x7f800001
	s_xor_b32 s13, exec_lo, -1
; %bb.2166:                             ;   in Loop: Header=BB2_1850 Depth=4
	s_or_b32 exec_lo, exec_lo, s39
	s_delay_alu instid0(SALU_CYCLE_1)
	s_and_b32 s13, s13, exec_lo
                                        ; implicit-def: $vgpr149
	s_or_saveexec_b32 s38, s38
	v_mov_b32_e32 v148, s37
	s_xor_b32 exec_lo, exec_lo, s38
	s_cbranch_execz .LBB2_2002
.LBB2_2167:                             ;   in Loop: Header=BB2_1850 Depth=4
	v_cmp_ne_u16_e64 vcc_lo, 0, v149
	v_mov_b32_e32 v148, 0
	s_and_not1_b32 s13, s13, exec_lo
	s_delay_alu instid0(VALU_DEP_2) | instskip(NEXT) | instid1(SALU_CYCLE_1)
	s_and_b32 vcc_lo, vcc_lo, exec_lo
	s_or_b32 s13, s13, vcc_lo
	s_or_b32 exec_lo, exec_lo, s38
	s_and_saveexec_b32 s37, s13
	s_cbranch_execnz .LBB2_2003
	s_branch .LBB2_2004
.LBB2_2168:                             ;   in Loop: Header=BB2_1850 Depth=4
	s_mov_b32 s13, -1
	s_mov_b32 s39, exec_lo
                                        ; implicit-def: $sgpr37
	v_cmpx_eq_u16_e64 0x80, v148
; %bb.2169:                             ;   in Loop: Header=BB2_1850 Depth=4
	s_mov_b32 s37, 0x7f800001
	s_xor_b32 s13, exec_lo, -1
; %bb.2170:                             ;   in Loop: Header=BB2_1850 Depth=4
	s_or_b32 exec_lo, exec_lo, s39
	s_delay_alu instid0(SALU_CYCLE_1)
	s_and_b32 s13, s13, exec_lo
                                        ; implicit-def: $vgpr148
	s_or_saveexec_b32 s38, s38
	v_mov_b32_e32 v146, s37
	s_xor_b32 exec_lo, exec_lo, s38
	s_cbranch_execz .LBB2_2009
.LBB2_2171:                             ;   in Loop: Header=BB2_1850 Depth=4
	v_cmp_ne_u16_e64 vcc_lo, 0, v148
	v_mov_b32_e32 v146, 0
	s_and_not1_b32 s13, s13, exec_lo
	s_delay_alu instid0(VALU_DEP_2) | instskip(NEXT) | instid1(SALU_CYCLE_1)
	s_and_b32 vcc_lo, vcc_lo, exec_lo
	s_or_b32 s13, s13, vcc_lo
	s_or_b32 exec_lo, exec_lo, s38
	s_and_saveexec_b32 s37, s13
	s_cbranch_execnz .LBB2_2010
	s_branch .LBB2_2011
.LBB2_2172:                             ;   in Loop: Header=BB2_1850 Depth=4
	s_mov_b32 s13, -1
	s_mov_b32 s39, exec_lo
                                        ; implicit-def: $sgpr37
	v_cmpx_eq_u16_e64 0x80, v148
; %bb.2173:                             ;   in Loop: Header=BB2_1850 Depth=4
	s_mov_b32 s37, 0x7f800001
	s_xor_b32 s13, exec_lo, -1
; %bb.2174:                             ;   in Loop: Header=BB2_1850 Depth=4
	s_or_b32 exec_lo, exec_lo, s39
	s_delay_alu instid0(SALU_CYCLE_1)
	s_and_b32 s13, s13, exec_lo
                                        ; implicit-def: $vgpr148
	s_or_saveexec_b32 s38, s38
	v_mov_b32_e32 v135, s37
	s_xor_b32 exec_lo, exec_lo, s38
	s_cbranch_execz .LBB2_2013
.LBB2_2175:                             ;   in Loop: Header=BB2_1850 Depth=4
	v_cmp_ne_u16_e64 vcc_lo, 0, v148
	v_mov_b32_e32 v135, 0
	s_and_not1_b32 s13, s13, exec_lo
	s_delay_alu instid0(VALU_DEP_2) | instskip(NEXT) | instid1(SALU_CYCLE_1)
	s_and_b32 vcc_lo, vcc_lo, exec_lo
	s_or_b32 s13, s13, vcc_lo
	s_or_b32 exec_lo, exec_lo, s38
	s_and_saveexec_b32 s37, s13
	s_cbranch_execnz .LBB2_2014
	s_branch .LBB2_2015
.LBB2_2176:                             ;   in Loop: Header=BB2_1850 Depth=4
	s_mov_b32 s13, -1
	s_mov_b32 s39, exec_lo
                                        ; implicit-def: $sgpr37
	v_cmpx_eq_u16_e64 0x80, v146
; %bb.2177:                             ;   in Loop: Header=BB2_1850 Depth=4
	s_mov_b32 s37, 0x7f800001
	s_xor_b32 s13, exec_lo, -1
; %bb.2178:                             ;   in Loop: Header=BB2_1850 Depth=4
	s_or_b32 exec_lo, exec_lo, s39
	s_delay_alu instid0(SALU_CYCLE_1)
	s_and_b32 s13, s13, exec_lo
                                        ; implicit-def: $vgpr146
	s_or_saveexec_b32 s38, s38
	v_mov_b32_e32 v135, s37
	s_xor_b32 exec_lo, exec_lo, s38
	s_cbranch_execz .LBB2_2027
.LBB2_2179:                             ;   in Loop: Header=BB2_1850 Depth=4
	v_cmp_ne_u16_e64 vcc_lo, 0, v146
	v_mov_b32_e32 v135, 0
	s_and_not1_b32 s13, s13, exec_lo
	s_delay_alu instid0(VALU_DEP_2) | instskip(NEXT) | instid1(SALU_CYCLE_1)
	s_and_b32 vcc_lo, vcc_lo, exec_lo
	s_or_b32 s13, s13, vcc_lo
	s_or_b32 exec_lo, exec_lo, s38
	s_and_saveexec_b32 s37, s13
	s_cbranch_execnz .LBB2_2028
	s_branch .LBB2_2029
.LBB2_2180:                             ;   in Loop: Header=BB2_1850 Depth=4
	s_mov_b32 s13, -1
	s_mov_b32 s39, exec_lo
                                        ; implicit-def: $sgpr37
	v_cmpx_eq_u16_e64 0x80, v148
; %bb.2181:                             ;   in Loop: Header=BB2_1850 Depth=4
	s_mov_b32 s37, 0x7f800001
	s_xor_b32 s13, exec_lo, -1
; %bb.2182:                             ;   in Loop: Header=BB2_1850 Depth=4
	s_or_b32 exec_lo, exec_lo, s39
	s_delay_alu instid0(SALU_CYCLE_1)
	s_and_b32 s13, s13, exec_lo
                                        ; implicit-def: $vgpr148
	s_or_saveexec_b32 s38, s38
	v_mov_b32_e32 v146, s37
	s_xor_b32 exec_lo, exec_lo, s38
	s_cbranch_execz .LBB2_2031
.LBB2_2183:                             ;   in Loop: Header=BB2_1850 Depth=4
	v_cmp_ne_u16_e64 vcc_lo, 0, v148
	v_mov_b32_e32 v146, 0
	s_and_not1_b32 s13, s13, exec_lo
	s_delay_alu instid0(VALU_DEP_2) | instskip(NEXT) | instid1(SALU_CYCLE_1)
	s_and_b32 vcc_lo, vcc_lo, exec_lo
	s_or_b32 s13, s13, vcc_lo
	s_or_b32 exec_lo, exec_lo, s38
	s_and_saveexec_b32 s37, s13
	s_cbranch_execnz .LBB2_2032
	s_branch .LBB2_2033
.LBB2_2184:                             ;   in Loop: Header=BB2_1850 Depth=4
	s_mov_b32 s13, -1
	s_mov_b32 s39, exec_lo
                                        ; implicit-def: $sgpr37
	v_cmpx_eq_u16_e64 0x80, v146
; %bb.2185:                             ;   in Loop: Header=BB2_1850 Depth=4
	s_mov_b32 s37, 0x7f800001
	s_xor_b32 s13, exec_lo, -1
; %bb.2186:                             ;   in Loop: Header=BB2_1850 Depth=4
	s_or_b32 exec_lo, exec_lo, s39
	s_delay_alu instid0(SALU_CYCLE_1)
	s_and_b32 s13, s13, exec_lo
                                        ; implicit-def: $vgpr146
	s_or_saveexec_b32 s38, s38
	v_mov_b32_e32 v135, s37
	s_xor_b32 exec_lo, exec_lo, s38
	s_cbranch_execz .LBB2_2038
.LBB2_2187:                             ;   in Loop: Header=BB2_1850 Depth=4
	v_cmp_ne_u16_e64 vcc_lo, 0, v146
	v_mov_b32_e32 v135, 0
	s_and_not1_b32 s13, s13, exec_lo
	s_delay_alu instid0(VALU_DEP_2) | instskip(NEXT) | instid1(SALU_CYCLE_1)
	s_and_b32 vcc_lo, vcc_lo, exec_lo
	s_or_b32 s13, s13, vcc_lo
	s_or_b32 exec_lo, exec_lo, s38
	s_and_saveexec_b32 s37, s13
	s_cbranch_execnz .LBB2_2039
	s_branch .LBB2_2040
.LBB2_2188:                             ;   in Loop: Header=BB2_1850 Depth=4
	s_mov_b32 s13, -1
	s_mov_b32 s39, exec_lo
                                        ; implicit-def: $sgpr37
	v_cmpx_eq_u16_e64 0x80, v146
; %bb.2189:                             ;   in Loop: Header=BB2_1850 Depth=4
	s_mov_b32 s37, 0x7f800001
	s_xor_b32 s13, exec_lo, -1
; %bb.2190:                             ;   in Loop: Header=BB2_1850 Depth=4
	s_or_b32 exec_lo, exec_lo, s39
	s_delay_alu instid0(SALU_CYCLE_1)
	s_and_b32 s13, s13, exec_lo
                                        ; implicit-def: $vgpr146
	s_or_saveexec_b32 s38, s38
	v_mov_b32_e32 v132, s37
	s_xor_b32 exec_lo, exec_lo, s38
	s_cbranch_execz .LBB2_2042
.LBB2_2191:                             ;   in Loop: Header=BB2_1850 Depth=4
	v_cmp_ne_u16_e64 vcc_lo, 0, v146
	v_mov_b32_e32 v132, 0
	s_and_not1_b32 s13, s13, exec_lo
	s_delay_alu instid0(VALU_DEP_2) | instskip(NEXT) | instid1(SALU_CYCLE_1)
	s_and_b32 vcc_lo, vcc_lo, exec_lo
	s_or_b32 s13, s13, vcc_lo
	s_or_b32 exec_lo, exec_lo, s38
	s_and_saveexec_b32 s37, s13
	s_cbranch_execnz .LBB2_2043
	s_branch .LBB2_2044
.LBB2_2192:                             ;   in Loop: Header=BB2_1850 Depth=4
	s_mov_b32 s13, -1
	s_mov_b32 s39, exec_lo
                                        ; implicit-def: $sgpr37
	v_cmpx_eq_u16_e64 0x80, v135
; %bb.2193:                             ;   in Loop: Header=BB2_1850 Depth=4
	s_mov_b32 s37, 0x7f800001
	s_xor_b32 s13, exec_lo, -1
; %bb.2194:                             ;   in Loop: Header=BB2_1850 Depth=4
	s_or_b32 exec_lo, exec_lo, s39
	s_delay_alu instid0(SALU_CYCLE_1)
	s_and_b32 s13, s13, exec_lo
                                        ; implicit-def: $vgpr135
	s_or_saveexec_b32 s38, s38
	v_mov_b32_e32 v132, s37
	s_xor_b32 exec_lo, exec_lo, s38
	s_cbranch_execz .LBB2_2056
.LBB2_2195:                             ;   in Loop: Header=BB2_1850 Depth=4
	v_cmp_ne_u16_e64 vcc_lo, 0, v135
	v_mov_b32_e32 v132, 0
	s_and_not1_b32 s13, s13, exec_lo
	s_delay_alu instid0(VALU_DEP_2) | instskip(NEXT) | instid1(SALU_CYCLE_1)
	s_and_b32 vcc_lo, vcc_lo, exec_lo
	s_or_b32 s13, s13, vcc_lo
	s_or_b32 exec_lo, exec_lo, s38
	s_and_saveexec_b32 s37, s13
	s_cbranch_execnz .LBB2_2057
	s_branch .LBB2_2058
.LBB2_2196:                             ;   in Loop: Header=BB2_1850 Depth=4
	s_mov_b32 s13, -1
	s_mov_b32 s39, exec_lo
                                        ; implicit-def: $sgpr37
	v_cmpx_eq_u16_e64 0x80, v146
; %bb.2197:                             ;   in Loop: Header=BB2_1850 Depth=4
	s_mov_b32 s37, 0x7f800001
	s_xor_b32 s13, exec_lo, -1
; %bb.2198:                             ;   in Loop: Header=BB2_1850 Depth=4
	s_or_b32 exec_lo, exec_lo, s39
	s_delay_alu instid0(SALU_CYCLE_1)
	s_and_b32 s13, s13, exec_lo
                                        ; implicit-def: $vgpr146
	s_or_saveexec_b32 s38, s38
	v_mov_b32_e32 v135, s37
	s_xor_b32 exec_lo, exec_lo, s38
	s_cbranch_execz .LBB2_2060
.LBB2_2199:                             ;   in Loop: Header=BB2_1850 Depth=4
	v_cmp_ne_u16_e64 vcc_lo, 0, v146
	v_mov_b32_e32 v135, 0
	s_and_not1_b32 s13, s13, exec_lo
	s_delay_alu instid0(VALU_DEP_2) | instskip(NEXT) | instid1(SALU_CYCLE_1)
	s_and_b32 vcc_lo, vcc_lo, exec_lo
	s_or_b32 s13, s13, vcc_lo
	s_or_b32 exec_lo, exec_lo, s38
	s_and_saveexec_b32 s37, s13
	s_cbranch_execnz .LBB2_2061
	s_branch .LBB2_2062
.LBB2_2200:                             ;   in Loop: Header=BB2_1850 Depth=4
	s_mov_b32 s13, -1
	s_mov_b32 s39, exec_lo
                                        ; implicit-def: $sgpr37
	v_cmpx_eq_u16_e64 0x80, v135
; %bb.2201:                             ;   in Loop: Header=BB2_1850 Depth=4
	s_mov_b32 s37, 0x7f800001
	s_xor_b32 s13, exec_lo, -1
; %bb.2202:                             ;   in Loop: Header=BB2_1850 Depth=4
	s_or_b32 exec_lo, exec_lo, s39
	s_delay_alu instid0(SALU_CYCLE_1)
	s_and_b32 s13, s13, exec_lo
                                        ; implicit-def: $vgpr135
	s_or_saveexec_b32 s38, s38
	v_mov_b32_e32 v132, s37
	s_xor_b32 exec_lo, exec_lo, s38
	s_cbranch_execz .LBB2_2067
.LBB2_2203:                             ;   in Loop: Header=BB2_1850 Depth=4
	v_cmp_ne_u16_e64 vcc_lo, 0, v135
	v_mov_b32_e32 v132, 0
	s_and_not1_b32 s13, s13, exec_lo
	s_delay_alu instid0(VALU_DEP_2) | instskip(NEXT) | instid1(SALU_CYCLE_1)
	s_and_b32 vcc_lo, vcc_lo, exec_lo
	s_or_b32 s13, s13, vcc_lo
	s_or_b32 exec_lo, exec_lo, s38
	s_and_saveexec_b32 s37, s13
	s_cbranch_execnz .LBB2_2068
	s_branch .LBB2_2069
.LBB2_2204:                             ;   in Loop: Header=BB2_1850 Depth=4
	s_mov_b32 s13, -1
	s_mov_b32 s39, exec_lo
                                        ; implicit-def: $sgpr37
	v_cmpx_eq_u16_e64 0x80, v135
; %bb.2205:                             ;   in Loop: Header=BB2_1850 Depth=4
	s_mov_b32 s37, 0x7f800001
	s_xor_b32 s13, exec_lo, -1
; %bb.2206:                             ;   in Loop: Header=BB2_1850 Depth=4
	s_or_b32 exec_lo, exec_lo, s39
	s_delay_alu instid0(SALU_CYCLE_1)
	s_and_b32 s13, s13, exec_lo
                                        ; implicit-def: $vgpr135
	s_or_saveexec_b32 s38, s38
	v_mov_b32_e32 v69, s37
	s_xor_b32 exec_lo, exec_lo, s38
	s_cbranch_execz .LBB2_2071
.LBB2_2207:                             ;   in Loop: Header=BB2_1850 Depth=4
	v_cmp_ne_u16_e64 vcc_lo, 0, v135
	v_mov_b32_e32 v69, 0
	s_and_not1_b32 s13, s13, exec_lo
	s_delay_alu instid0(VALU_DEP_2) | instskip(NEXT) | instid1(SALU_CYCLE_1)
	s_and_b32 vcc_lo, vcc_lo, exec_lo
	s_or_b32 s13, s13, vcc_lo
	s_or_b32 exec_lo, exec_lo, s38
	s_and_saveexec_b32 s37, s13
	s_cbranch_execnz .LBB2_2072
	s_branch .LBB2_2073
.LBB2_2208:                             ;   in Loop: Header=BB2_305 Depth=3
	s_or_b32 exec_lo, exec_lo, s36
.LBB2_2209:                             ;   in Loop: Header=BB2_305 Depth=3
	s_delay_alu instid0(SALU_CYCLE_1) | instskip(SKIP_2) | instid1(VALU_DEP_1)
	s_or_b32 exec_lo, exec_lo, s34
	v_lshlrev_b32_e32 v8, 8, v67
	s_mov_b32 s34, exec_lo
	v_cmpx_ne_u32_e64 v15, v8
	s_cbranch_execz .LBB2_2259
; %bb.2210:                             ;   in Loop: Header=BB2_305 Depth=3
	v_ashrrev_i32_e32 v9, 31, v66
	v_lshlrev_b32_e32 v2, 5, v2
	s_delay_alu instid0(VALU_DEP_2) | instskip(NEXT) | instid1(VALU_DEP_1)
	v_lshrrev_b32_e32 v9, 27, v9
	v_add_nc_u32_e32 v9, v66, v9
	s_delay_alu instid0(VALU_DEP_1) | instskip(NEXT) | instid1(VALU_DEP_1)
	v_and_b32_e32 v9, 0xffffffe0, v9
	v_sub_nc_u32_e32 v9, v66, v9
	s_delay_alu instid0(VALU_DEP_1) | instskip(NEXT) | instid1(VALU_DEP_1)
	v_sub_nc_u32_e32 v2, v9, v2
	v_add_nc_u32_e32 v8, v8, v2
	s_delay_alu instid0(VALU_DEP_1) | instskip(NEXT) | instid1(VALU_DEP_1)
	v_sub_nc_u32_e32 v2, v15, v8
	v_cmp_lt_i32_e32 vcc_lo, 0, v2
	s_and_b32 exec_lo, exec_lo, vcc_lo
	s_cbranch_execz .LBB2_2259
; %bb.2211:                             ;   in Loop: Header=BB2_305 Depth=3
	s_cbranch_execz .LBB2_2212
; %bb.7630:
	s_getpc_b64 s[48:49]
.Lpost_getpc79:
	s_add_u32 s48, s48, (.LBB2_7292-.Lpost_getpc79)&4294967295
	s_addc_u32 s49, s49, (.LBB2_7292-.Lpost_getpc79)>>32
	s_setpc_b64 s[48:49]
.LBB2_2212:                             ;   in Loop: Header=BB2_305 Depth=3
	ds_load_b128 v[9:12], v0
	ds_load_b64 v[66:67], v0
	v_add_nc_u32_e32 v13, v8, v14
	s_bitcmp1_b32 s31, 0
	s_mov_b32 s31, 0
	s_cselect_b32 s35, -1, 0
	s_delay_alu instid0(VALU_DEP_1) | instskip(SKIP_2) | instid1(VALU_DEP_2)
	v_ashrrev_i32_e32 v14, 31, v13
	s_waitcnt lgkmcnt(1)
	v_add_co_u32 v8, vcc_lo, v9, v13
	v_add_co_ci_u32_e32 v9, vcc_lo, v10, v14, vcc_lo
	v_add_co_u32 v10, vcc_lo, v11, v13
	v_add_co_ci_u32_e32 v11, vcc_lo, v12, v14, vcc_lo
	s_waitcnt lgkmcnt(0)
	v_add_co_u32 v12, vcc_lo, v66, v13
	v_add_co_ci_u32_e32 v13, vcc_lo, v67, v14, vcc_lo
	s_branch .LBB2_2216
.LBB2_2213:                             ;   in Loop: Header=BB2_2216 Depth=4
	s_or_b32 exec_lo, exec_lo, s13
	s_delay_alu instid0(VALU_DEP_1) | instskip(NEXT) | instid1(VALU_DEP_2)
	v_lshrrev_b32_e32 v15, 20, v15
	v_cmp_gt_i32_e32 vcc_lo, 16, v14
	v_lshrrev_b32_e32 v66, 24, v67
	v_min_i32_e32 v67, 15, v14
	s_delay_alu instid0(VALU_DEP_2) | instskip(NEXT) | instid1(VALU_DEP_2)
	v_dual_cndmask_b32 v15, 7, v15 :: v_dual_and_b32 v66, 0x80, v66
	v_lshlrev_b32_e32 v67, 3, v67
	s_delay_alu instid0(VALU_DEP_2) | instskip(SKIP_1) | instid1(VALU_DEP_2)
	v_and_b32_e32 v68, 7, v15
	v_or_b32_e32 v14, v14, v15
	v_or3_b32 v15, v67, v66, v68
	s_delay_alu instid0(VALU_DEP_2) | instskip(NEXT) | instid1(VALU_DEP_2)
	v_cmp_ne_u32_e32 vcc_lo, 0, v14
	v_cndmask_b32_e32 v14, 0, v15, vcc_lo
.LBB2_2214:                             ;   in Loop: Header=BB2_2216 Depth=4
	s_or_b32 exec_lo, exec_lo, s37
.LBB2_2215:                             ;   in Loop: Header=BB2_2216 Depth=4
	s_delay_alu instid0(SALU_CYCLE_1)
	s_or_b32 exec_lo, exec_lo, s36
	v_add_co_u32 v8, vcc_lo, v8, v114
	v_sub_nc_u32_e32 v2, v2, v99
	v_add_co_ci_u32_e32 v9, vcc_lo, v9, v115, vcc_lo
	v_add_co_u32 v10, vcc_lo, v10, v114
	v_add_co_ci_u32_e32 v11, vcc_lo, v11, v115, vcc_lo
	flat_store_b8 v[12:13], v14 glc slc dlc
	v_cmp_gt_i32_e32 vcc_lo, 1, v2
	v_add_co_u32 v12, s13, v12, v114
	s_delay_alu instid0(VALU_DEP_1) | instskip(SKIP_1) | instid1(SALU_CYCLE_1)
	v_add_co_ci_u32_e64 v13, s13, v13, v115, s13
	s_or_b32 s31, vcc_lo, s31
	s_and_not1_b32 exec_lo, exec_lo, s31
	s_cbranch_execz .LBB2_2259
.LBB2_2216:                             ;   Parent Loop BB2_51 Depth=1
                                        ;     Parent Loop BB2_303 Depth=2
                                        ;       Parent Loop BB2_305 Depth=3
                                        ; =>      This Inner Loop Header: Depth=4
	flat_load_u8 v15, v[10:11] slc dlc
	s_waitcnt vmcnt(1) lgkmcnt(2)
	flat_load_u8 v66, v[8:9] slc dlc
	s_waitcnt vmcnt(1) lgkmcnt(1)
	v_and_b32_e32 v14, 7, v15
	v_bfe_u32 v69, v15, 3, 4
	v_lshlrev_b32_e32 v70, 24, v15
	s_delay_alu instid0(VALU_DEP_3) | instskip(NEXT) | instid1(VALU_DEP_3)
	v_clz_i32_u32_e32 v67, v14
	v_cmp_eq_u32_e32 vcc_lo, 0, v69
	s_delay_alu instid0(VALU_DEP_2) | instskip(NEXT) | instid1(VALU_DEP_1)
	v_min_u32_e32 v67, 32, v67
	v_subrev_nc_u32_e32 v68, 28, v67
	v_sub_nc_u32_e32 v67, 29, v67
	s_delay_alu instid0(VALU_DEP_2) | instskip(NEXT) | instid1(VALU_DEP_1)
	v_lshlrev_b32_e32 v68, v68, v15
	v_dual_cndmask_b32 v67, v69, v67 :: v_dual_and_b32 v68, 7, v68
	s_delay_alu instid0(VALU_DEP_1) | instskip(NEXT) | instid1(VALU_DEP_2)
	v_lshl_add_u32 v67, v67, 23, 0x3b800000
	v_cndmask_b32_e32 v14, v14, v68, vcc_lo
	v_and_b32_e32 v68, 0x80000000, v70
	s_and_b32 vcc_lo, exec_lo, s35
	s_delay_alu instid0(VALU_DEP_2) | instskip(NEXT) | instid1(VALU_DEP_1)
	v_lshlrev_b32_e32 v14, 20, v14
	v_or3_b32 v14, v68, v67, v14
	s_cbranch_vccz .LBB2_2226
; %bb.2217:                             ;   in Loop: Header=BB2_2216 Depth=4
	s_waitcnt vmcnt(0) lgkmcnt(0)
	v_and_b32_e32 v68, 0xff, v66
	s_mov_b32 s13, 0
	s_mov_b32 s37, exec_lo
                                        ; implicit-def: $sgpr36
	s_delay_alu instid0(VALU_DEP_1)
	v_cmpx_lt_i16_e32 0x7f, v68
	s_xor_b32 s37, exec_lo, s37
	s_cbranch_execnz .LBB2_2243
; %bb.2218:                             ;   in Loop: Header=BB2_2216 Depth=4
	s_or_saveexec_b32 s37, s37
	v_mov_b32_e32 v67, s36
	s_xor_b32 exec_lo, exec_lo, s37
	s_cbranch_execnz .LBB2_2246
.LBB2_2219:                             ;   in Loop: Header=BB2_2216 Depth=4
	s_or_b32 exec_lo, exec_lo, s37
	s_and_saveexec_b32 s36, s13
	s_cbranch_execz .LBB2_2221
.LBB2_2220:                             ;   in Loop: Header=BB2_2216 Depth=4
	v_lshrrev_b16 v70, 3, v66
	v_lshlrev_b32_e32 v71, 24, v66
	s_delay_alu instid0(VALU_DEP_2) | instskip(NEXT) | instid1(VALU_DEP_1)
	v_and_b32_e32 v70, 15, v70
	v_cmp_eq_u32_e32 vcc_lo, 0, v70
	v_and_b32_e32 v67, 7, v66
	s_delay_alu instid0(VALU_DEP_1) | instskip(NEXT) | instid1(VALU_DEP_1)
	v_clz_i32_u32_e32 v68, v67
	v_min_u32_e32 v68, 32, v68
	s_delay_alu instid0(VALU_DEP_1) | instskip(SKIP_1) | instid1(VALU_DEP_1)
	v_subrev_nc_u32_e32 v69, 28, v68
	v_sub_nc_u32_e32 v68, 29, v68
	v_dual_cndmask_b32 v68, v70, v68 :: v_dual_lshlrev_b32 v69, v69, v66
	s_delay_alu instid0(VALU_DEP_1) | instskip(NEXT) | instid1(VALU_DEP_2)
	v_and_b32_e32 v69, 7, v69
	v_lshl_add_u32 v68, v68, 23, 0x3b800000
	s_delay_alu instid0(VALU_DEP_2) | instskip(SKIP_1) | instid1(VALU_DEP_2)
	v_cndmask_b32_e32 v67, v67, v69, vcc_lo
	v_and_b32_e32 v69, 0x80000000, v71
	v_lshlrev_b32_e32 v67, 20, v67
	s_delay_alu instid0(VALU_DEP_1)
	v_or3_b32 v67, v69, v68, v67
.LBB2_2221:                             ;   in Loop: Header=BB2_2216 Depth=4
	s_or_b32 exec_lo, exec_lo, s36
	v_and_b32_e32 v68, 0xff, v15
	s_mov_b32 s13, 0
	s_mov_b32 s37, exec_lo
                                        ; implicit-def: $sgpr36
	s_delay_alu instid0(VALU_DEP_1)
	v_cmpx_lt_i16_e32 0x7f, v68
	s_xor_b32 s37, exec_lo, s37
	s_cbranch_execnz .LBB2_2247
; %bb.2222:                             ;   in Loop: Header=BB2_2216 Depth=4
	s_or_saveexec_b32 s37, s37
	v_mov_b32_e32 v69, s36
	s_xor_b32 exec_lo, exec_lo, s37
	s_cbranch_execnz .LBB2_2250
.LBB2_2223:                             ;   in Loop: Header=BB2_2216 Depth=4
	s_or_b32 exec_lo, exec_lo, s37
	s_and_saveexec_b32 vcc_lo, s13
.LBB2_2224:                             ;   in Loop: Header=BB2_2216 Depth=4
	v_mov_b32_e32 v69, v14
.LBB2_2225:                             ;   in Loop: Header=BB2_2216 Depth=4
	s_or_b32 exec_lo, exec_lo, vcc_lo
	s_delay_alu instid0(VALU_DEP_1) | instskip(SKIP_1) | instid1(VALU_DEP_1)
	v_dual_max_f32 v68, v69, v69 :: v_dual_max_f32 v67, v67, v67
	s_mov_b32 s13, 0
	v_max_f32_e32 v67, v67, v68
	s_branch .LBB2_2227
.LBB2_2226:                             ;   in Loop: Header=BB2_2216 Depth=4
	s_mov_b32 s13, -1
                                        ; implicit-def: $vgpr67
.LBB2_2227:                             ;   in Loop: Header=BB2_2216 Depth=4
	s_delay_alu instid0(SALU_CYCLE_1)
	s_and_b32 vcc_lo, exec_lo, s13
	s_cbranch_vccz .LBB2_2237
; %bb.2228:                             ;   in Loop: Header=BB2_2216 Depth=4
	s_waitcnt vmcnt(0) lgkmcnt(0)
	v_and_b32_e32 v68, 0xff, v66
	s_mov_b32 s13, 0
	s_mov_b32 s37, exec_lo
                                        ; implicit-def: $sgpr36
	s_delay_alu instid0(VALU_DEP_1)
	v_cmpx_lt_i16_e32 0x7f, v68
	s_xor_b32 s37, exec_lo, s37
	s_cbranch_execnz .LBB2_2251
; %bb.2229:                             ;   in Loop: Header=BB2_2216 Depth=4
	s_or_saveexec_b32 s37, s37
	v_mov_b32_e32 v67, s36
	s_xor_b32 exec_lo, exec_lo, s37
	s_cbranch_execnz .LBB2_2254
.LBB2_2230:                             ;   in Loop: Header=BB2_2216 Depth=4
	s_or_b32 exec_lo, exec_lo, s37
	s_and_saveexec_b32 s36, s13
	s_cbranch_execz .LBB2_2232
.LBB2_2231:                             ;   in Loop: Header=BB2_2216 Depth=4
	v_lshrrev_b16 v70, 3, v66
	s_delay_alu instid0(VALU_DEP_1) | instskip(NEXT) | instid1(VALU_DEP_1)
	v_and_b32_e32 v70, 15, v70
	v_cmp_eq_u32_e32 vcc_lo, 0, v70
	v_and_b32_e32 v67, 7, v66
	s_delay_alu instid0(VALU_DEP_1) | instskip(NEXT) | instid1(VALU_DEP_1)
	v_clz_i32_u32_e32 v68, v67
	v_min_u32_e32 v68, 32, v68
	s_delay_alu instid0(VALU_DEP_1) | instskip(SKIP_1) | instid1(VALU_DEP_1)
	v_subrev_nc_u32_e32 v69, 28, v68
	v_sub_nc_u32_e32 v68, 29, v68
	v_dual_cndmask_b32 v68, v70, v68 :: v_dual_lshlrev_b32 v69, v69, v66
	v_lshlrev_b32_e32 v66, 24, v66
	s_delay_alu instid0(VALU_DEP_2) | instskip(NEXT) | instid1(VALU_DEP_3)
	v_and_b32_e32 v69, 7, v69
	v_lshl_add_u32 v68, v68, 23, 0x3b800000
	s_delay_alu instid0(VALU_DEP_2) | instskip(NEXT) | instid1(VALU_DEP_1)
	v_dual_cndmask_b32 v67, v67, v69 :: v_dual_and_b32 v66, 0x80000000, v66
	v_lshlrev_b32_e32 v67, 20, v67
	s_delay_alu instid0(VALU_DEP_1)
	v_or3_b32 v67, v66, v68, v67
.LBB2_2232:                             ;   in Loop: Header=BB2_2216 Depth=4
	s_or_b32 exec_lo, exec_lo, s36
	v_and_b32_e32 v15, 0xff, v15
	s_mov_b32 s13, 0
	s_mov_b32 s37, exec_lo
                                        ; implicit-def: $sgpr36
	s_delay_alu instid0(VALU_DEP_1)
	v_cmpx_lt_i16_e32 0x7f, v15
	s_xor_b32 s37, exec_lo, s37
	s_cbranch_execnz .LBB2_2255
; %bb.2233:                             ;   in Loop: Header=BB2_2216 Depth=4
	s_or_saveexec_b32 s37, s37
	v_mov_b32_e32 v66, s36
	s_xor_b32 exec_lo, exec_lo, s37
	s_cbranch_execnz .LBB2_2258
.LBB2_2234:                             ;   in Loop: Header=BB2_2216 Depth=4
	s_or_b32 exec_lo, exec_lo, s37
	s_and_saveexec_b32 vcc_lo, s13
.LBB2_2235:                             ;   in Loop: Header=BB2_2216 Depth=4
	v_mov_b32_e32 v66, v14
.LBB2_2236:                             ;   in Loop: Header=BB2_2216 Depth=4
	s_or_b32 exec_lo, exec_lo, vcc_lo
	s_delay_alu instid0(VALU_DEP_1) | instskip(NEXT) | instid1(VALU_DEP_1)
	v_dual_max_f32 v14, v66, v66 :: v_dual_max_f32 v15, v67, v67
	v_min_f32_e32 v67, v15, v14
.LBB2_2237:                             ;   in Loop: Header=BB2_2216 Depth=4
	s_delay_alu instid0(VALU_DEP_1) | instskip(NEXT) | instid1(VALU_DEP_1)
	v_and_b32_e32 v14, 0x7f800000, v67
	v_cmp_ne_u32_e32 vcc_lo, 0x7f800000, v14
	v_mov_b32_e32 v14, 0x80
	s_and_saveexec_b32 s36, vcc_lo
	s_cbranch_execz .LBB2_2215
; %bb.2238:                             ;   in Loop: Header=BB2_2216 Depth=4
	v_mov_b32_e32 v14, 0
	s_mov_b32 s37, exec_lo
	v_cmpx_ne_u32_e32 0, v67
	s_cbranch_execz .LBB2_2214
; %bb.2239:                             ;   in Loop: Header=BB2_2216 Depth=4
	v_bfe_u32 v14, v67, 23, 8
	s_waitcnt vmcnt(0) lgkmcnt(0)
	s_delay_alu instid0(VALU_DEP_1) | instskip(SKIP_1) | instid1(VALU_DEP_2)
	v_sub_nc_u32_e32 v66, 0x78, v14
	v_cmp_gt_u32_e32 vcc_lo, 0x79, v14
	v_dual_cndmask_b32 v66, 0, v66 :: v_dual_and_b32 v15, 0x7fffff, v67
	s_delay_alu instid0(VALU_DEP_1) | instskip(SKIP_2) | instid1(VALU_DEP_4)
	v_or_b32_e32 v68, 0x800000, v15
	v_cmp_eq_u32_e32 vcc_lo, 0, v14
	v_add_nc_u32_e32 v14, 0xffffff89, v14
	v_cndmask_b32_e64 v66, v66, 0x77, vcc_lo
	s_delay_alu instid0(VALU_DEP_4) | instskip(NEXT) | instid1(VALU_DEP_3)
	v_cndmask_b32_e32 v15, v68, v15, vcc_lo
	v_cndmask_b32_e64 v14, v14, 0xffffff8a, vcc_lo
	s_delay_alu instid0(VALU_DEP_3) | instskip(NEXT) | instid1(VALU_DEP_3)
	v_lshl_add_u32 v68, 0x100000, v66, -1
	v_lshrrev_b32_e32 v69, v66, v15
	v_lshlrev_b32_e64 v71, v66, 0x80000
	s_delay_alu instid0(VALU_DEP_4) | instskip(NEXT) | instid1(VALU_DEP_4)
	v_add_nc_u32_e32 v66, v66, v14
	v_and_b32_e32 v15, v68, v15
	s_delay_alu instid0(VALU_DEP_4) | instskip(NEXT) | instid1(VALU_DEP_2)
	v_bfe_u32 v70, v69, 20, 1
	v_cmp_eq_u32_e64 s13, v15, v71
	s_delay_alu instid0(VALU_DEP_2) | instskip(NEXT) | instid1(VALU_DEP_1)
	v_add_nc_u32_e32 v68, -1, v70
	v_cndmask_b32_e64 v15, 0, v68, s13
	v_lshrrev_b32_e32 v68, 23, v69
	s_mov_b32 s13, exec_lo
	s_delay_alu instid0(VALU_DEP_2) | instskip(NEXT) | instid1(VALU_DEP_2)
	v_add_nc_u32_e32 v15, v15, v69
	v_xor_b32_e32 v68, 1, v68
	s_delay_alu instid0(VALU_DEP_2) | instskip(NEXT) | instid1(VALU_DEP_1)
	v_and_b32_e32 v14, 0xfffff, v15
	v_add_nc_u32_e32 v15, v14, v69
                                        ; implicit-def: $vgpr14
	s_delay_alu instid0(VALU_DEP_3)
	v_cmpx_ne_u32_e64 v66, v68
	s_xor_b32 s13, exec_lo, s13
; %bb.2240:                             ;   in Loop: Header=BB2_2216 Depth=4
	s_delay_alu instid0(VALU_DEP_2) | instskip(SKIP_2) | instid1(VALU_DEP_2)
	v_cmp_lt_u32_e32 vcc_lo, 0xffffff, v15
	v_sub_nc_u32_e32 v14, v66, v68
	v_cndmask_b32_e64 v66, 0, 1, vcc_lo
	v_add_co_ci_u32_e32 v14, vcc_lo, 0, v14, vcc_lo
	s_delay_alu instid0(VALU_DEP_2)
	v_lshrrev_b32_e32 v15, v66, v15
; %bb.2241:                             ;   in Loop: Header=BB2_2216 Depth=4
	s_and_not1_saveexec_b32 s13, s13
	s_cbranch_execz .LBB2_2213
; %bb.2242:                             ;   in Loop: Header=BB2_2216 Depth=4
	s_delay_alu instid0(VALU_DEP_1)
	v_bfe_u32 v14, v15, 23, 1
	s_branch .LBB2_2213
.LBB2_2243:                             ;   in Loop: Header=BB2_2216 Depth=4
	s_mov_b32 s13, -1
	s_mov_b32 s38, exec_lo
                                        ; implicit-def: $sgpr36
	v_cmpx_eq_u16_e32 0x80, v68
; %bb.2244:                             ;   in Loop: Header=BB2_2216 Depth=4
	s_mov_b32 s36, 0x7f800001
	s_xor_b32 s13, exec_lo, -1
; %bb.2245:                             ;   in Loop: Header=BB2_2216 Depth=4
	s_or_b32 exec_lo, exec_lo, s38
	s_delay_alu instid0(SALU_CYCLE_1)
	s_and_b32 s13, s13, exec_lo
                                        ; implicit-def: $vgpr68
	s_or_saveexec_b32 s37, s37
	v_mov_b32_e32 v67, s36
	s_xor_b32 exec_lo, exec_lo, s37
	s_cbranch_execz .LBB2_2219
.LBB2_2246:                             ;   in Loop: Header=BB2_2216 Depth=4
	v_cmp_ne_u16_e32 vcc_lo, 0, v68
	v_mov_b32_e32 v67, 0
	s_and_not1_b32 s13, s13, exec_lo
	s_and_b32 vcc_lo, vcc_lo, exec_lo
	s_delay_alu instid0(SALU_CYCLE_1)
	s_or_b32 s13, s13, vcc_lo
	s_or_b32 exec_lo, exec_lo, s37
	s_and_saveexec_b32 s36, s13
	s_cbranch_execnz .LBB2_2220
	s_branch .LBB2_2221
.LBB2_2247:                             ;   in Loop: Header=BB2_2216 Depth=4
	s_mov_b32 s13, -1
	s_mov_b32 s38, exec_lo
                                        ; implicit-def: $sgpr36
	v_cmpx_eq_u16_e32 0x80, v68
; %bb.2248:                             ;   in Loop: Header=BB2_2216 Depth=4
	s_mov_b32 s36, 0x7f800001
	s_xor_b32 s13, exec_lo, -1
; %bb.2249:                             ;   in Loop: Header=BB2_2216 Depth=4
	s_or_b32 exec_lo, exec_lo, s38
	s_delay_alu instid0(SALU_CYCLE_1)
	s_and_b32 s13, s13, exec_lo
                                        ; implicit-def: $vgpr68
	s_or_saveexec_b32 s37, s37
	v_mov_b32_e32 v69, s36
	s_xor_b32 exec_lo, exec_lo, s37
	s_cbranch_execz .LBB2_2223
.LBB2_2250:                             ;   in Loop: Header=BB2_2216 Depth=4
	v_cmp_ne_u16_e32 vcc_lo, 0, v68
	v_mov_b32_e32 v69, 0
	s_and_not1_b32 s13, s13, exec_lo
	s_and_b32 vcc_lo, vcc_lo, exec_lo
	s_delay_alu instid0(SALU_CYCLE_1)
	s_or_b32 s13, s13, vcc_lo
	s_or_b32 exec_lo, exec_lo, s37
	s_and_saveexec_b32 vcc_lo, s13
	s_cbranch_execnz .LBB2_2224
	s_branch .LBB2_2225
.LBB2_2251:                             ;   in Loop: Header=BB2_2216 Depth=4
	s_mov_b32 s13, -1
	s_mov_b32 s38, exec_lo
                                        ; implicit-def: $sgpr36
	v_cmpx_eq_u16_e32 0x80, v68
; %bb.2252:                             ;   in Loop: Header=BB2_2216 Depth=4
	s_mov_b32 s36, 0x7f800001
	s_xor_b32 s13, exec_lo, -1
; %bb.2253:                             ;   in Loop: Header=BB2_2216 Depth=4
	s_or_b32 exec_lo, exec_lo, s38
	s_delay_alu instid0(SALU_CYCLE_1)
	s_and_b32 s13, s13, exec_lo
                                        ; implicit-def: $vgpr68
	s_or_saveexec_b32 s37, s37
	v_mov_b32_e32 v67, s36
	s_xor_b32 exec_lo, exec_lo, s37
	s_cbranch_execz .LBB2_2230
.LBB2_2254:                             ;   in Loop: Header=BB2_2216 Depth=4
	v_cmp_ne_u16_e32 vcc_lo, 0, v68
	v_mov_b32_e32 v67, 0
	s_and_not1_b32 s13, s13, exec_lo
	s_and_b32 vcc_lo, vcc_lo, exec_lo
	s_delay_alu instid0(SALU_CYCLE_1)
	s_or_b32 s13, s13, vcc_lo
	s_or_b32 exec_lo, exec_lo, s37
	s_and_saveexec_b32 s36, s13
	s_cbranch_execnz .LBB2_2231
	s_branch .LBB2_2232
.LBB2_2255:                             ;   in Loop: Header=BB2_2216 Depth=4
	s_mov_b32 s13, -1
	s_mov_b32 s38, exec_lo
                                        ; implicit-def: $sgpr36
	v_cmpx_eq_u16_e32 0x80, v15
; %bb.2256:                             ;   in Loop: Header=BB2_2216 Depth=4
	s_mov_b32 s36, 0x7f800001
	s_xor_b32 s13, exec_lo, -1
; %bb.2257:                             ;   in Loop: Header=BB2_2216 Depth=4
	s_or_b32 exec_lo, exec_lo, s38
	s_delay_alu instid0(SALU_CYCLE_1)
	s_and_b32 s13, s13, exec_lo
                                        ; implicit-def: $vgpr15
	s_or_saveexec_b32 s37, s37
	v_mov_b32_e32 v66, s36
	s_xor_b32 exec_lo, exec_lo, s37
	s_cbranch_execz .LBB2_2234
.LBB2_2258:                             ;   in Loop: Header=BB2_2216 Depth=4
	v_cmp_ne_u16_e32 vcc_lo, 0, v15
	v_mov_b32_e32 v66, 0
	s_and_not1_b32 s13, s13, exec_lo
	s_and_b32 vcc_lo, vcc_lo, exec_lo
	s_delay_alu instid0(SALU_CYCLE_1)
	s_or_b32 s13, s13, vcc_lo
	s_or_b32 exec_lo, exec_lo, s37
	s_and_saveexec_b32 vcc_lo, s13
	s_cbranch_execnz .LBB2_2235
	s_branch .LBB2_2236
.LBB2_2259:                             ;   in Loop: Header=BB2_305 Depth=3
	s_or_b32 exec_lo, exec_lo, s34
.LBB2_2260:                             ;   in Loop: Header=BB2_305 Depth=3
	s_delay_alu instid0(SALU_CYCLE_1)
	s_or_b32 exec_lo, exec_lo, s14
.LBB2_2261:                             ;   in Loop: Header=BB2_305 Depth=3
	s_and_saveexec_b32 s13, s3
	s_cbranch_execz .LBB2_2283
; %bb.2262:                             ;   in Loop: Header=BB2_305 Depth=3
	s_and_saveexec_b32 s14, s4
	s_delay_alu instid0(SALU_CYCLE_1)
	s_xor_b32 s14, exec_lo, s14
	s_cbranch_execz .LBB2_2280
; %bb.2263:                             ;   in Loop: Header=BB2_305 Depth=3
	s_and_saveexec_b32 s31, s1
	s_cbranch_execz .LBB2_2279
; %bb.2264:                             ;   in Loop: Header=BB2_305 Depth=3
	s_mov_b32 s35, exec_lo
	s_mov_b32 s34, exec_lo
	v_mbcnt_lo_u32_b32 v2, s35, 0
	s_waitcnt vmcnt(0) lgkmcnt(0)
	s_waitcnt_vscnt null, 0x0
	buffer_gl1_inv
	buffer_gl0_inv
	v_cmpx_eq_u32_e32 0, v2
	s_cbranch_execz .LBB2_2266
; %bb.2265:                             ;   in Loop: Header=BB2_305 Depth=3
	s_bcnt1_i32_b32 vcc_lo, s35
	s_delay_alu instid0(SALU_CYCLE_1)
	v_mov_b32_e32 v2, vcc_lo
	ds_add_u64 v0, v[2:3]
	s_cbranch_execz .LBB2_2266
; %bb.7632:
	s_getpc_b64 s[48:49]
.Lpost_getpc80:
	s_add_u32 s48, s48, (.LBB2_7254-.Lpost_getpc80)&4294967295
	s_addc_u32 s49, s49, (.LBB2_7254-.Lpost_getpc80)>>32
	s_setpc_b64 s[48:49]
.LBB2_2266:                             ;   in Loop: Header=BB2_305 Depth=3
	s_or_b32 exec_lo, exec_lo, s34
	s_cbranch_execz .LBB2_2267
; %bb.7634:
	s_getpc_b64 s[48:49]
.Lpost_getpc81:
	s_add_u32 s48, s48, (.LBB2_7224-.Lpost_getpc81)&4294967295
	s_addc_u32 s49, s49, (.LBB2_7224-.Lpost_getpc81)>>32
	s_setpc_b64 s[48:49]
.LBB2_2267:                             ;   in Loop: Header=BB2_305 Depth=3
	ds_load_b64 v[8:9], v0
	v_add_co_u32 v32, vcc_lo, v32, v83
	v_add_co_ci_u32_e32 v33, vcc_lo, 0, v33, vcc_lo
	s_mov_b32 s34, exec_lo
	s_waitcnt lgkmcnt(0)
	s_delay_alu instid0(VALU_DEP_1)
	v_cmpx_lt_u64_e64 v[8:9], v[32:33]
	s_cbranch_execz .LBB2_2278
; %bb.2268:                             ;   in Loop: Header=BB2_305 Depth=3
	s_mov_b32 s35, 0
	s_mov_b32 s38, 0
                                        ; implicit-def: $sgpr36
                                        ; implicit-def: $sgpr37
	s_branch .LBB2_2270
.LBB2_2269:                             ;   in Loop: Header=BB2_2270 Depth=4
	s_or_b32 exec_lo, exec_lo, s40
	s_delay_alu instid0(SALU_CYCLE_1) | instskip(NEXT) | instid1(SALU_CYCLE_1)
	s_and_b32 vcc_lo, exec_lo, vcc_lo
	s_or_b32 s35, vcc_lo, s35
	s_and_not1_b32 vcc_lo, s36, exec_lo
	s_and_b32 s36, s37, exec_lo
	s_delay_alu instid0(SALU_CYCLE_1)
	s_or_b32 s36, vcc_lo, s36
	s_and_not1_b32 exec_lo, exec_lo, s35
	s_cbranch_execz .LBB2_2276
.LBB2_2270:                             ;   Parent Loop BB2_51 Depth=1
                                        ;     Parent Loop BB2_303 Depth=2
                                        ;       Parent Loop BB2_305 Depth=3
                                        ; =>      This Inner Loop Header: Depth=4
	s_add_i32 s38, s38, 1
                                        ; implicit-def: $sgpr40
	s_delay_alu instid0(SALU_CYCLE_1) | instskip(SKIP_1) | instid1(SALU_CYCLE_1)
	s_cmpk_lg_i32 s38, 0x2710
	s_cselect_b32 s39, -1, 0
	s_and_b32 vcc_lo, exec_lo, s39
	s_cbranch_vccz .LBB2_2274
.LBB2_2271:                             ;   in Loop: Header=BB2_2270 Depth=4
	s_and_not1_b32 s37, s37, exec_lo
	s_and_b32 s40, s40, exec_lo
	s_mov_b32 vcc_lo, -1
	s_or_b32 s37, s37, s40
	s_and_saveexec_b32 s40, s39
	s_cbranch_execz .LBB2_2269
; %bb.2272:                             ;   in Loop: Header=BB2_2270 Depth=4
	s_sleep 1
	s_cbranch_execz .LBB2_2273
; %bb.7636:
	s_getpc_b64 s[48:49]
.Lpost_getpc82:
	s_add_u32 s48, s48, (.LBB2_7306-.Lpost_getpc82)&4294967295
	s_addc_u32 s49, s49, (.LBB2_7306-.Lpost_getpc82)>>32
	s_setpc_b64 s[48:49]
.LBB2_2273:                             ;   in Loop: Header=BB2_2270 Depth=4
	ds_load_b64 v[8:9], v0
	s_and_not1_b32 s37, s37, exec_lo
	s_waitcnt lgkmcnt(0)
	v_cmp_ge_u64_e32 vcc_lo, v[8:9], v[32:33]
	s_or_not1_b32 vcc_lo, vcc_lo, exec_lo
	s_branch .LBB2_2269
.LBB2_2274:                             ;   in Loop: Header=BB2_2270 Depth=4
	s_cbranch_execz .LBB2_2275
; %bb.7638:
	s_getpc_b64 s[48:49]
.Lpost_getpc83:
	s_add_u32 s48, s48, (.LBB2_7322-.Lpost_getpc83)&4294967295
	s_addc_u32 s49, s49, (.LBB2_7322-.Lpost_getpc83)>>32
	s_setpc_b64 s[48:49]
.LBB2_2275:                             ;   in Loop: Header=BB2_2270 Depth=4
	ds_load_b64 v[8:9], v0
	s_and_not1_b32 s39, s39, exec_lo
	s_mov_b32 s38, 0
	s_mov_b32 s40, -1
	s_waitcnt lgkmcnt(0)
	flat_load_b32 v2, v[8:9] glc
	s_waitcnt vmcnt(0) lgkmcnt(0)
	buffer_gl1_inv
	buffer_gl0_inv
	v_cmp_eq_u32_e32 vcc_lo, 0, v2
	s_and_b32 vcc_lo, vcc_lo, exec_lo
	s_delay_alu instid0(SALU_CYCLE_1)
	s_or_b32 s39, s39, vcc_lo
	s_branch .LBB2_2271
.LBB2_2276:                             ;   in Loop: Header=BB2_305 Depth=3
	s_or_b32 exec_lo, exec_lo, s35
	s_and_saveexec_b32 vcc_lo, s36
	s_delay_alu instid0(SALU_CYCLE_1)
	s_xor_b32 vcc_lo, exec_lo, vcc_lo
	s_cbranch_execz .LBB2_2278
; %bb.2277:                             ;   in Loop: Header=BB2_305 Depth=3
	ds_store_b32 v0, v119
	s_cbranch_execz .LBB2_2278
; %bb.7640:
	s_getpc_b64 s[48:49]
.Lpost_getpc84:
	s_add_u32 s48, s48, (.LBB2_7442-.Lpost_getpc84)&4294967295
	s_addc_u32 s49, s49, (.LBB2_7442-.Lpost_getpc84)>>32
	s_setpc_b64 s[48:49]
.LBB2_2278:                             ;   in Loop: Header=BB2_305 Depth=3
	s_or_b32 exec_lo, exec_lo, s34
	;;#ASMSTART
	s_wakeup
	;;#ASMEND
.LBB2_2279:                             ;   in Loop: Header=BB2_305 Depth=3
	s_or_b32 exec_lo, exec_lo, s31
.LBB2_2280:                             ;   in Loop: Header=BB2_305 Depth=3
	s_and_not1_saveexec_b32 s14, s14
	s_cbranch_execz .LBB2_2282
; %bb.2281:                             ;   in Loop: Header=BB2_305 Depth=3
	s_waitcnt vmcnt(0) lgkmcnt(0)
	s_waitcnt_vscnt null, 0x0
	buffer_gl1_inv
	buffer_gl0_inv
	s_barrier
.LBB2_2282:                             ;   in Loop: Header=BB2_305 Depth=3
	s_or_b32 exec_lo, exec_lo, s14
.LBB2_2283:                             ;   in Loop: Header=BB2_305 Depth=3
	s_delay_alu instid0(SALU_CYCLE_1) | instskip(SKIP_1) | instid1(SALU_CYCLE_1)
	s_or_b32 exec_lo, exec_lo, s13
                                        ; implicit-def: $vgpr2
	s_and_saveexec_b32 s13, s7
	s_xor_b32 s14, exec_lo, s13
	s_cbranch_execz .LBB2_2287
; %bb.2284:                             ;   in Loop: Header=BB2_305 Depth=3
	v_and_b32_e32 v2, 16, v30
	v_cmp_lt_i32_e32 vcc_lo, 0, v55
	s_delay_alu instid0(VALU_DEP_2) | instskip(SKIP_1) | instid1(VALU_DEP_2)
	v_cmp_ne_u32_e64 s13, 0, v2
	v_and_b32_e32 v2, 16, v30
	s_and_b32 vcc_lo, s13, vcc_lo
	s_delay_alu instid0(SALU_CYCLE_1)
	s_and_saveexec_b32 s13, vcc_lo
	s_cbranch_execz .LBB2_2286
; %bb.2285:                             ;   in Loop: Header=BB2_305 Depth=3
	v_mov_b32_e32 v2, 1
	s_waitcnt vmcnt(0) lgkmcnt(0)
	s_waitcnt_vscnt null, 0x0
	buffer_gl1_inv
	buffer_gl0_inv
.LBB2_2286:                             ;   in Loop: Header=BB2_305 Depth=3
	s_or_b32 exec_lo, exec_lo, s13
.LBB2_2287:                             ;   in Loop: Header=BB2_305 Depth=3
	s_and_not1_saveexec_b32 s13, s14
	s_cbranch_execz .LBB2_2309
; %bb.2288:                             ;   in Loop: Header=BB2_305 Depth=3
	s_and_saveexec_b32 s14, s4
	s_delay_alu instid0(SALU_CYCLE_1)
	s_xor_b32 s14, exec_lo, s14
	s_cbranch_execz .LBB2_2306
; %bb.2289:                             ;   in Loop: Header=BB2_305 Depth=3
	s_and_saveexec_b32 s31, s1
	s_cbranch_execz .LBB2_2305
; %bb.2290:                             ;   in Loop: Header=BB2_305 Depth=3
	s_mov_b32 s35, exec_lo
	s_mov_b32 s34, exec_lo
	v_mbcnt_lo_u32_b32 v2, s35, 0
	;;#ASMSTART
	s_waitcnt lgkmcnt(0) vmcnt(0)
	;;#ASMEND
	s_delay_alu instid0(VALU_DEP_1)
	v_cmpx_eq_u32_e32 0, v2
	s_cbranch_execz .LBB2_2292
; %bb.2291:                             ;   in Loop: Header=BB2_305 Depth=3
	s_bcnt1_i32_b32 vcc_lo, s35
	s_delay_alu instid0(SALU_CYCLE_1)
	v_mov_b32_e32 v2, vcc_lo
	ds_add_u64 v0, v[2:3]
	s_cbranch_execz .LBB2_2292
; %bb.7642:
	s_getpc_b64 s[48:49]
.Lpost_getpc85:
	s_add_u32 s48, s48, (.LBB2_7266-.Lpost_getpc85)&4294967295
	s_addc_u32 s49, s49, (.LBB2_7266-.Lpost_getpc85)>>32
	s_setpc_b64 s[48:49]
.LBB2_2292:                             ;   in Loop: Header=BB2_305 Depth=3
	s_or_b32 exec_lo, exec_lo, s34
	s_cbranch_execz .LBB2_2293
; %bb.7644:
	s_getpc_b64 s[48:49]
.Lpost_getpc86:
	s_add_u32 s48, s48, (.LBB2_7234-.Lpost_getpc86)&4294967295
	s_addc_u32 s49, s49, (.LBB2_7234-.Lpost_getpc86)>>32
	s_setpc_b64 s[48:49]
.LBB2_2293:                             ;   in Loop: Header=BB2_305 Depth=3
	ds_load_b64 v[8:9], v0
	v_add_co_u32 v32, vcc_lo, v32, v83
	v_add_co_ci_u32_e32 v33, vcc_lo, 0, v33, vcc_lo
	s_mov_b32 s34, exec_lo
	s_waitcnt lgkmcnt(0)
	s_delay_alu instid0(VALU_DEP_1)
	v_cmpx_lt_u64_e64 v[8:9], v[32:33]
	s_cbranch_execz .LBB2_2304
; %bb.2294:                             ;   in Loop: Header=BB2_305 Depth=3
	s_mov_b32 s35, 0
	s_mov_b32 s38, 0
                                        ; implicit-def: $sgpr36
                                        ; implicit-def: $sgpr37
	s_branch .LBB2_2296
.LBB2_2295:                             ;   in Loop: Header=BB2_2296 Depth=4
	s_or_b32 exec_lo, exec_lo, s40
	s_delay_alu instid0(SALU_CYCLE_1) | instskip(NEXT) | instid1(SALU_CYCLE_1)
	s_and_b32 vcc_lo, exec_lo, vcc_lo
	s_or_b32 s35, vcc_lo, s35
	s_and_not1_b32 vcc_lo, s36, exec_lo
	s_and_b32 s36, s37, exec_lo
	s_delay_alu instid0(SALU_CYCLE_1)
	s_or_b32 s36, vcc_lo, s36
	s_and_not1_b32 exec_lo, exec_lo, s35
	s_cbranch_execz .LBB2_2302
.LBB2_2296:                             ;   Parent Loop BB2_51 Depth=1
                                        ;     Parent Loop BB2_303 Depth=2
                                        ;       Parent Loop BB2_305 Depth=3
                                        ; =>      This Inner Loop Header: Depth=4
	s_add_i32 s38, s38, 1
                                        ; implicit-def: $sgpr40
	s_delay_alu instid0(SALU_CYCLE_1) | instskip(SKIP_1) | instid1(SALU_CYCLE_1)
	s_cmpk_lg_i32 s38, 0x2710
	s_cselect_b32 s39, -1, 0
	s_and_b32 vcc_lo, exec_lo, s39
	s_cbranch_vccz .LBB2_2300
.LBB2_2297:                             ;   in Loop: Header=BB2_2296 Depth=4
	s_and_not1_b32 s37, s37, exec_lo
	s_and_b32 s40, s40, exec_lo
	s_mov_b32 vcc_lo, -1
	s_or_b32 s37, s37, s40
	s_and_saveexec_b32 s40, s39
	s_cbranch_execz .LBB2_2295
; %bb.2298:                             ;   in Loop: Header=BB2_2296 Depth=4
	s_sleep 1
	s_cbranch_execz .LBB2_2299
; %bb.7646:
	s_getpc_b64 s[48:49]
.Lpost_getpc87:
	s_add_u32 s48, s48, (.LBB2_7314-.Lpost_getpc87)&4294967295
	s_addc_u32 s49, s49, (.LBB2_7314-.Lpost_getpc87)>>32
	s_setpc_b64 s[48:49]
.LBB2_2299:                             ;   in Loop: Header=BB2_2296 Depth=4
	ds_load_b64 v[8:9], v0
	s_and_not1_b32 s37, s37, exec_lo
	s_waitcnt lgkmcnt(0)
	v_cmp_ge_u64_e32 vcc_lo, v[8:9], v[32:33]
	s_or_not1_b32 vcc_lo, vcc_lo, exec_lo
	s_branch .LBB2_2295
.LBB2_2300:                             ;   in Loop: Header=BB2_2296 Depth=4
	s_cbranch_execz .LBB2_2301
; %bb.7648:
	s_getpc_b64 s[48:49]
.Lpost_getpc88:
	s_add_u32 s48, s48, (.LBB2_7336-.Lpost_getpc88)&4294967295
	s_addc_u32 s49, s49, (.LBB2_7336-.Lpost_getpc88)>>32
	s_setpc_b64 s[48:49]
.LBB2_2301:                             ;   in Loop: Header=BB2_2296 Depth=4
	ds_load_b64 v[8:9], v0
	s_and_not1_b32 s39, s39, exec_lo
	s_mov_b32 s38, 0
	s_mov_b32 s40, -1
	s_waitcnt vmcnt(0) lgkmcnt(0)
	s_waitcnt_vscnt null, 0x0
	flat_load_b32 v2, v[8:9] glc
	s_waitcnt vmcnt(0) lgkmcnt(0)
	buffer_gl1_inv
	buffer_gl0_inv
	v_cmp_eq_u32_e32 vcc_lo, 0, v2
	s_and_b32 vcc_lo, vcc_lo, exec_lo
	s_delay_alu instid0(SALU_CYCLE_1)
	s_or_b32 s39, s39, vcc_lo
	s_branch .LBB2_2297
.LBB2_2302:                             ;   in Loop: Header=BB2_305 Depth=3
	s_or_b32 exec_lo, exec_lo, s35
	s_and_saveexec_b32 vcc_lo, s36
	s_delay_alu instid0(SALU_CYCLE_1)
	s_xor_b32 vcc_lo, exec_lo, vcc_lo
	s_cbranch_execz .LBB2_2304
; %bb.2303:                             ;   in Loop: Header=BB2_305 Depth=3
	ds_store_b32 v0, v119
	s_cbranch_execz .LBB2_2304
; %bb.7650:
	s_getpc_b64 s[48:49]
.Lpost_getpc89:
	s_add_u32 s48, s48, (.LBB2_7450-.Lpost_getpc89)&4294967295
	s_addc_u32 s49, s49, (.LBB2_7450-.Lpost_getpc89)>>32
	s_setpc_b64 s[48:49]
.LBB2_2304:                             ;   in Loop: Header=BB2_305 Depth=3
	s_or_b32 exec_lo, exec_lo, s34
	;;#ASMSTART
	s_wakeup
	;;#ASMEND
.LBB2_2305:                             ;   in Loop: Header=BB2_305 Depth=3
	s_or_b32 exec_lo, exec_lo, s31
.LBB2_2306:                             ;   in Loop: Header=BB2_305 Depth=3
	s_and_not1_saveexec_b32 s14, s14
	s_cbranch_execz .LBB2_2308
; %bb.2307:                             ;   in Loop: Header=BB2_305 Depth=3
	;;#ASMSTART
	s_waitcnt lgkmcnt(0) vmcnt(0)
	;;#ASMEND
	s_waitcnt vmcnt(0) lgkmcnt(0)
	s_waitcnt_vscnt null, 0x0
	s_barrier
.LBB2_2308:                             ;   in Loop: Header=BB2_305 Depth=3
	s_or_b32 exec_lo, exec_lo, s14
	v_and_b32_e32 v2, 16, v30
.LBB2_2309:                             ;   in Loop: Header=BB2_305 Depth=3
	s_or_b32 exec_lo, exec_lo, s13
	s_delay_alu instid0(VALU_DEP_1) | instskip(SKIP_1) | instid1(SALU_CYCLE_1)
	v_cmp_ne_u32_e32 vcc_lo, 0, v2
	s_xor_b32 s13, s10, -1
	s_and_b32 s14, vcc_lo, s13
	s_delay_alu instid0(SALU_CYCLE_1)
	s_and_saveexec_b32 s13, s14
	s_cbranch_execz .LBB2_2311
; %bb.2310:                             ;   in Loop: Header=BB2_305 Depth=3
	s_waitcnt vmcnt(0) lgkmcnt(0)
	s_waitcnt_vscnt null, 0x0
	flat_store_b32 v[28:29], v119
.LBB2_2311:                             ;   in Loop: Header=BB2_305 Depth=3
	s_or_b32 exec_lo, exec_lo, s13
	v_and_b32_e32 v2, 48, v30
	s_mov_b32 s13, exec_lo
	s_delay_alu instid0(VALU_DEP_1)
	v_cmpx_ne_u32_e32 0, v2
	s_cbranch_execz .LBB2_2313
; %bb.2312:                             ;   in Loop: Header=BB2_305 Depth=3
	v_add_co_u32 v24, vcc_lo, v24, 2
	v_add_co_ci_u32_e32 v25, vcc_lo, 0, v25, vcc_lo
	s_waitcnt vmcnt(0) lgkmcnt(0)
	s_waitcnt_vscnt null, 0x0
	flat_store_b64 v[22:23], v[24:25]
.LBB2_2313:                             ;   in Loop: Header=BB2_305 Depth=3
	s_or_b32 exec_lo, exec_lo, s13
	v_add_nc_u32_e32 v131, v54, v131
	v_readlane_b32 s13, v42, 10
	s_mov_b32 s36, s30
	v_readlane_b32 s34, v42, 5
	v_readlane_b32 s31, v42, 6
	v_cmp_ge_i32_e32 vcc_lo, v131, v130
	s_xor_b32 s13, s13, -1
	v_readlane_b32 s30, v42, 8
	v_readlane_b32 s35, v42, 7
	s_mov_b32 s37, 0
	s_or_b32 s13, s13, vcc_lo
	s_delay_alu instid0(SALU_CYCLE_1) | instskip(SKIP_3) | instid1(VALU_DEP_1)
	s_and_b32 s14, exec_lo, s13
	v_readlane_b32 s13, v42, 9
	s_or_b32 s17, s14, s17
	s_mov_b32 s14, 2
	v_mov_b32_e32 v2, s13
	s_and_not1_b32 exec_lo, exec_lo, s17
	s_cbranch_execnz .LBB2_305
; %bb.2314:                             ;   in Loop: Header=BB2_303 Depth=2
	s_or_b32 exec_lo, exec_lo, s17
.LBB2_2315:                             ;   in Loop: Header=BB2_303 Depth=2
	s_delay_alu instid0(SALU_CYCLE_1) | instskip(NEXT) | instid1(SALU_CYCLE_1)
	s_or_b32 exec_lo, exec_lo, s16
	s_mov_b32 s14, exec_lo
	v_cmpx_gt_i32_e32 2, v2
	s_cbranch_execz .LBB2_2401
; %bb.2316:                             ;   in Loop: Header=BB2_303 Depth=2
	v_cmp_eq_u32_e64 s13, 0, v2
	s_mov_b32 s16, 0
.LBB2_2317:                             ;   Parent Loop BB2_51 Depth=1
                                        ;     Parent Loop BB2_303 Depth=2
                                        ; =>    This Loop Header: Depth=3
                                        ;         Child Loop BB2_2323 Depth 4
                                        ;         Child Loop BB2_2355 Depth 4
                                        ;         Child Loop BB2_2377 Depth 4
	v_and_b32_e32 v2, 12, v30
	s_mov_b32 s37, -1
	s_mov_b32 s17, exec_lo
	s_delay_alu instid0(VALU_DEP_1)
	v_cmpx_ne_u32_e32 0, v2
	s_cbranch_execz .LBB2_2331
; %bb.2318:                             ;   in Loop: Header=BB2_2317 Depth=3
	v_and_b32_e32 v2, 8, v30
	s_delay_alu instid0(VALU_DEP_1) | instskip(SKIP_3) | instid1(VALU_DEP_1)
	v_add_co_u32 v10, vcc_lo, v34, v2
	v_add_co_ci_u32_e32 v11, vcc_lo, 0, v35, vcc_lo
	v_add_co_u32 v8, vcc_lo, v24, 2
	v_add_co_ci_u32_e32 v9, vcc_lo, 0, v25, vcc_lo
	v_cmp_lt_u64_e32 vcc_lo, v[10:11], v[8:9]
	v_mov_b32_e32 v10, 1
	s_and_saveexec_b32 s37, vcc_lo
	s_cbranch_execz .LBB2_2330
; %bb.2319:                             ;   in Loop: Header=BB2_2317 Depth=3
	v_mov_b32_e32 v10, 0
	s_mov_b32 s38, 0
                                        ; implicit-def: $sgpr39
	s_branch .LBB2_2323
.LBB2_2320:                             ;   in Loop: Header=BB2_2323 Depth=4
	s_or_b32 exec_lo, exec_lo, s43
	v_mov_b32_e32 v11, 0
	s_or_not1_b32 s42, s42, exec_lo
.LBB2_2321:                             ;   in Loop: Header=BB2_2323 Depth=4
	s_or_b32 exec_lo, exec_lo, s41
	s_delay_alu instid0(VALU_DEP_1) | instskip(SKIP_2) | instid1(SALU_CYCLE_1)
	v_mov_b32_e32 v10, v11
	s_and_not1_b32 vcc_lo, s39, exec_lo
	s_and_b32 s39, s42, exec_lo
	s_or_b32 s39, vcc_lo, s39
.LBB2_2322:                             ;   in Loop: Header=BB2_2323 Depth=4
	s_or_b32 exec_lo, exec_lo, s40
	s_waitcnt vmcnt(0) lgkmcnt(0)
	v_add_co_u32 v11, vcc_lo, v34, v2
	v_add_co_ci_u32_e32 v12, vcc_lo, 0, v35, vcc_lo
	s_xor_b32 s40, s39, -1
	s_delay_alu instid0(VALU_DEP_1) | instskip(SKIP_1) | instid1(SALU_CYCLE_1)
	v_cmp_ge_u64_e32 vcc_lo, v[11:12], v[8:9]
	s_or_b32 vcc_lo, s40, vcc_lo
	s_and_b32 vcc_lo, exec_lo, vcc_lo
	s_delay_alu instid0(SALU_CYCLE_1) | instskip(NEXT) | instid1(SALU_CYCLE_1)
	s_or_b32 s38, vcc_lo, s38
	s_and_not1_b32 exec_lo, exec_lo, s38
	s_cbranch_execz .LBB2_2329
.LBB2_2323:                             ;   Parent Loop BB2_51 Depth=1
                                        ;     Parent Loop BB2_303 Depth=2
                                        ;       Parent Loop BB2_2317 Depth=3
                                        ; =>      This Inner Loop Header: Depth=4
	s_sleep 1
	flat_load_b64 v[34:35], v[22:23] glc
	v_and_b32_e32 v11, 64, v30
	s_and_not1_b32 s39, s39, exec_lo
	s_mov_b32 s40, exec_lo
	s_delay_alu instid0(VALU_DEP_1)
	v_cmpx_eq_u32_e32 0, v11
	s_cbranch_execz .LBB2_2322
; %bb.2324:                             ;   in Loop: Header=BB2_2323 Depth=4
	v_add_nc_u32_e32 v11, 1, v10
	s_mov_b32 s42, -1
	s_mov_b32 s41, exec_lo
	v_cmpx_lt_i32_e32 0x270e, v10
	s_cbranch_execz .LBB2_2321
; %bb.2325:                             ;   in Loop: Header=BB2_2323 Depth=4
	s_cbranch_execz .LBB2_2326
; %bb.7652:
	s_getpc_b64 s[48:49]
.Lpost_getpc90:
	s_add_u32 s48, s48, (.LBB2_7040-.Lpost_getpc90)&4294967295
	s_addc_u32 s49, s49, (.LBB2_7040-.Lpost_getpc90)>>32
	s_setpc_b64 s[48:49]
.LBB2_2326:                             ;   in Loop: Header=BB2_2323 Depth=4
	ds_load_b64 v[10:11], v0
	s_mov_b32 s43, exec_lo
	s_waitcnt vmcnt(0) lgkmcnt(0)
	s_waitcnt_vscnt null, 0x0
	flat_load_b32 v10, v[10:11] glc
	s_waitcnt vmcnt(0) lgkmcnt(0)
	buffer_gl1_inv
	buffer_gl0_inv
	v_cmpx_ne_u32_e32 0, v10
	s_cbranch_execz .LBB2_2320
; %bb.2327:                             ;   in Loop: Header=BB2_2323 Depth=4
	ds_store_b32 v0, v10
	s_cbranch_execz .LBB2_2328
; %bb.7654:
	s_getpc_b64 s[48:49]
.Lpost_getpc91:
	s_add_u32 s48, s48, (.LBB2_7088-.Lpost_getpc91)&4294967295
	s_addc_u32 s49, s49, (.LBB2_7088-.Lpost_getpc91)>>32
	s_setpc_b64 s[48:49]
.LBB2_2328:                             ;   in Loop: Header=BB2_2323 Depth=4
	v_or_b32_e32 v30, 64, v30
	s_xor_b32 s42, exec_lo, -1
	s_branch .LBB2_2320
.LBB2_2329:                             ;   in Loop: Header=BB2_2317 Depth=3
	s_or_b32 exec_lo, exec_lo, s38
	v_and_b32_e32 v10, 12, v30
.LBB2_2330:                             ;   in Loop: Header=BB2_2317 Depth=3
	s_or_b32 exec_lo, exec_lo, s37
	s_delay_alu instid0(VALU_DEP_1)
	v_cmp_eq_u32_e32 vcc_lo, 0, v10
	;;#ASMSTART
	s_wakeup
	;;#ASMEND
	s_or_not1_b32 s37, vcc_lo, exec_lo
.LBB2_2331:                             ;   in Loop: Header=BB2_2317 Depth=3
	s_or_b32 exec_lo, exec_lo, s17
	v_sub_nc_u32_e32 v2, v130, v131
	s_xor_b32 s13, s13, -1
	s_delay_alu instid0(SALU_CYCLE_1) | instskip(NEXT) | instid1(SALU_CYCLE_1)
	s_and_b32 s13, exec_lo, s13
	s_or_b32 s16, s13, s16
	s_delay_alu instid0(VALU_DEP_1) | instskip(SKIP_1) | instid1(SALU_CYCLE_1)
	v_min_i32_e32 v54, v54, v2
	s_xor_b32 s13, s37, -1
	s_and_saveexec_b32 s17, s13
	s_cbranch_execz .LBB2_2346
; %bb.2332:                             ;   in Loop: Header=BB2_2317 Depth=3
	v_and_b32_e32 v2, 0x108, v30
	s_mov_b32 s13, exec_lo
	s_delay_alu instid0(VALU_DEP_1)
	v_cmpx_ne_u32_e32 0x108, v2
	s_xor_b32 s13, exec_lo, s13
                                        ; implicit-def: $vgpr8_vgpr9
; %bb.2333:                             ;   in Loop: Header=BB2_2317 Depth=3
	v_and_b32_e32 v8, 7, v24
; %bb.2334:                             ;   in Loop: Header=BB2_2317 Depth=3
	s_and_not1_saveexec_b32 s13, s13
	s_cbranch_execz .LBB2_2336
; %bb.2335:                             ;   in Loop: Header=BB2_2317 Depth=3
	v_and_b32_e32 v8, 7, v24
	v_ashrrev_i32_e32 v55, 31, v54
	s_delay_alu instid0(VALU_DEP_2)
	v_mad_u64_u32 v[9:10], null, v8, 24, v[6:7]
	flat_store_b64 v[9:10], v[54:55] offset:8
.LBB2_2336:                             ;   in Loop: Header=BB2_2317 Depth=3
	s_or_b32 exec_lo, exec_lo, s13
	v_and_b32_e32 v2, 0x100, v30
	s_mov_b32 s13, -1
	s_mov_b32 s37, exec_lo
                                        ; implicit-def: $vgpr9_vgpr10
	s_delay_alu instid0(VALU_DEP_1)
	v_cmpx_ne_u32_e32 0, v2
	s_cbranch_execnz .LBB2_2339
; %bb.2337:                             ;   in Loop: Header=BB2_2317 Depth=3
	s_or_b32 exec_lo, exec_lo, s37
	s_and_saveexec_b32 vcc_lo, s13
	s_cbranch_execnz .LBB2_2342
.LBB2_2338:                             ;   in Loop: Header=BB2_2317 Depth=3
	s_or_b32 exec_lo, exec_lo, vcc_lo
	s_cbranch_execz .LBB2_2343
; %bb.7656:
	s_getpc_b64 s[48:49]
.Lpost_getpc92:
	s_add_u32 s48, s48, (.LBB2_7032-.Lpost_getpc92)&4294967295
	s_addc_u32 s49, s49, (.LBB2_7032-.Lpost_getpc92)>>32
	s_setpc_b64 s[48:49]
.LBB2_2339:                             ;   in Loop: Header=BB2_2317 Depth=3
	v_mad_u64_u32 v[11:12], null, v8, 24, v[6:7]
	s_mov_b32 s38, exec_lo
	s_delay_alu instid0(VALU_DEP_1) | instskip(NEXT) | instid1(VALU_DEP_1)
	v_mov_b32_e32 v2, v12
	v_mad_u64_u32 v[9:10], null, v3, 24, v[2:3]
	s_delay_alu instid0(VALU_DEP_1)
	v_mov_b32_e32 v12, v9
                                        ; implicit-def: $vgpr9_vgpr10
	flat_load_b32 v2, v[11:12]
	s_waitcnt vmcnt(0) lgkmcnt(0)
	v_cmp_ne_u32_e32 vcc_lo, 1, v2
	v_cmpx_eq_u32_e32 1, v2
	s_cbranch_execz .LBB2_2341
; %bb.2340:                             ;   in Loop: Header=BB2_2317 Depth=3
	flat_load_b32 v9, v[11:12] offset:4 glc
	s_waitcnt vmcnt(0) lgkmcnt(0)
	v_ashrrev_i32_e32 v10, 31, v9
.LBB2_2341:                             ;   in Loop: Header=BB2_2317 Depth=3
	s_or_b32 exec_lo, exec_lo, s38
	s_delay_alu instid0(SALU_CYCLE_1)
	s_or_not1_b32 s13, vcc_lo, exec_lo
	s_or_b32 exec_lo, exec_lo, s37
	s_and_saveexec_b32 vcc_lo, s13
	s_cbranch_execz .LBB2_2338
.LBB2_2342:                             ;   in Loop: Header=BB2_2317 Depth=3
	v_mul_lo_u32 v2, v3, v80
	v_mul_lo_u32 v11, v8, v82
	v_mad_u64_u32 v[9:10], null, v8, v80, 0
	s_delay_alu instid0(VALU_DEP_1)
	v_add3_u32 v10, v10, v11, v2
	s_or_b32 exec_lo, exec_lo, vcc_lo
	s_cbranch_execz .LBB2_2343
; %bb.7658:
	s_getpc_b64 s[48:49]
.Lpost_getpc93:
	s_add_u32 s48, s48, (.LBB2_7032-.Lpost_getpc93)&4294967295
	s_addc_u32 s49, s49, (.LBB2_7032-.Lpost_getpc93)>>32
	s_setpc_b64 s[48:49]
.LBB2_2343:                             ;   in Loop: Header=BB2_2317 Depth=3
	s_delay_alu instid0(VALU_DEP_2)
	v_add_co_u32 v8, vcc_lo, v26, v9
	v_and_b32_e32 v2, 0x2000, v30
	v_add_co_ci_u32_e32 v9, vcc_lo, v27, v10, vcc_lo
	s_mov_b32 s13, exec_lo
	ds_store_b64 v0, v[8:9]
	v_cmpx_ne_u32_e32 0, v2
	s_cbranch_execz .LBB2_2345
; %bb.2344:                             ;   in Loop: Header=BB2_2317 Depth=3
	ds_load_b64 v[8:9], v0 offset:584
	s_waitcnt lgkmcnt(0)
	v_add_co_u32 v8, vcc_lo, v8, 1
	v_add_co_ci_u32_e32 v9, vcc_lo, 0, v9, vcc_lo
	ds_store_b64 v0, v[8:9] offset:584
.LBB2_2345:                             ;   in Loop: Header=BB2_2317 Depth=3
	s_or_b32 exec_lo, exec_lo, s13
	v_add_co_u32 v24, vcc_lo, v24, 2
	v_add_co_ci_u32_e32 v25, vcc_lo, 0, v25, vcc_lo
.LBB2_2346:                             ;   in Loop: Header=BB2_2317 Depth=3
	s_or_b32 exec_lo, exec_lo, s17
	s_and_saveexec_b32 s13, s3
	s_cbranch_execz .LBB2_2368
; %bb.2347:                             ;   in Loop: Header=BB2_2317 Depth=3
	s_and_saveexec_b32 s17, s4
	s_delay_alu instid0(SALU_CYCLE_1)
	s_xor_b32 s17, exec_lo, s17
	s_cbranch_execz .LBB2_2365
; %bb.2348:                             ;   in Loop: Header=BB2_2317 Depth=3
	s_and_saveexec_b32 s37, s1
	s_cbranch_execz .LBB2_2364
; %bb.2349:                             ;   in Loop: Header=BB2_2317 Depth=3
	s_mov_b32 s39, exec_lo
	s_mov_b32 s38, exec_lo
	v_mbcnt_lo_u32_b32 v2, s39, 0
	s_waitcnt vmcnt(0) lgkmcnt(0)
	s_waitcnt_vscnt null, 0x0
	buffer_gl1_inv
	buffer_gl0_inv
	v_cmpx_eq_u32_e32 0, v2
	s_cbranch_execz .LBB2_2351
; %bb.2350:                             ;   in Loop: Header=BB2_2317 Depth=3
	s_bcnt1_i32_b32 vcc_lo, s39
	s_delay_alu instid0(SALU_CYCLE_1)
	v_mov_b32_e32 v2, vcc_lo
	ds_add_u64 v0, v[2:3]
	s_cbranch_execz .LBB2_2351
; %bb.7660:
	s_getpc_b64 s[48:49]
.Lpost_getpc94:
	s_add_u32 s48, s48, (.LBB2_7144-.Lpost_getpc94)&4294967295
	s_addc_u32 s49, s49, (.LBB2_7144-.Lpost_getpc94)>>32
	s_setpc_b64 s[48:49]
.LBB2_2351:                             ;   in Loop: Header=BB2_2317 Depth=3
	s_or_b32 exec_lo, exec_lo, s38
	s_cbranch_execz .LBB2_2352
; %bb.7662:
	s_getpc_b64 s[48:49]
.Lpost_getpc95:
	s_add_u32 s48, s48, (.LBB2_7110-.Lpost_getpc95)&4294967295
	s_addc_u32 s49, s49, (.LBB2_7110-.Lpost_getpc95)>>32
	s_setpc_b64 s[48:49]
.LBB2_2352:                             ;   in Loop: Header=BB2_2317 Depth=3
	ds_load_b64 v[8:9], v0
	v_add_co_u32 v32, vcc_lo, v32, v83
	v_add_co_ci_u32_e32 v33, vcc_lo, 0, v33, vcc_lo
	s_mov_b32 s38, exec_lo
	s_waitcnt lgkmcnt(0)
	s_delay_alu instid0(VALU_DEP_1)
	v_cmpx_lt_u64_e64 v[8:9], v[32:33]
	s_cbranch_execz .LBB2_2363
; %bb.2353:                             ;   in Loop: Header=BB2_2317 Depth=3
	s_mov_b32 s39, 0
	s_mov_b32 s42, 0
                                        ; implicit-def: $sgpr40
                                        ; implicit-def: $sgpr41
	s_branch .LBB2_2355
.LBB2_2354:                             ;   in Loop: Header=BB2_2355 Depth=4
	s_or_b32 exec_lo, exec_lo, s44
	s_delay_alu instid0(SALU_CYCLE_1) | instskip(NEXT) | instid1(SALU_CYCLE_1)
	s_and_b32 vcc_lo, exec_lo, vcc_lo
	s_or_b32 s39, vcc_lo, s39
	s_and_not1_b32 vcc_lo, s40, exec_lo
	s_and_b32 s40, s41, exec_lo
	s_delay_alu instid0(SALU_CYCLE_1)
	s_or_b32 s40, vcc_lo, s40
	s_and_not1_b32 exec_lo, exec_lo, s39
	s_cbranch_execz .LBB2_2361
.LBB2_2355:                             ;   Parent Loop BB2_51 Depth=1
                                        ;     Parent Loop BB2_303 Depth=2
                                        ;       Parent Loop BB2_2317 Depth=3
                                        ; =>      This Inner Loop Header: Depth=4
	s_add_i32 s42, s42, 1
                                        ; implicit-def: $sgpr44
	s_delay_alu instid0(SALU_CYCLE_1) | instskip(SKIP_1) | instid1(SALU_CYCLE_1)
	s_cmpk_lg_i32 s42, 0x2710
	s_cselect_b32 s43, -1, 0
	s_and_b32 vcc_lo, exec_lo, s43
	s_cbranch_vccz .LBB2_2359
.LBB2_2356:                             ;   in Loop: Header=BB2_2355 Depth=4
	s_and_not1_b32 s41, s41, exec_lo
	s_and_b32 s44, s44, exec_lo
	s_mov_b32 vcc_lo, -1
	s_or_b32 s41, s41, s44
	s_and_saveexec_b32 s44, s43
	s_cbranch_execz .LBB2_2354
; %bb.2357:                             ;   in Loop: Header=BB2_2355 Depth=4
	s_sleep 1
	s_cbranch_execz .LBB2_2358
; %bb.7664:
	s_getpc_b64 s[48:49]
.Lpost_getpc96:
	s_add_u32 s48, s48, (.LBB2_7192-.Lpost_getpc96)&4294967295
	s_addc_u32 s49, s49, (.LBB2_7192-.Lpost_getpc96)>>32
	s_setpc_b64 s[48:49]
.LBB2_2358:                             ;   in Loop: Header=BB2_2355 Depth=4
	ds_load_b64 v[8:9], v0
	s_and_not1_b32 s41, s41, exec_lo
	s_waitcnt lgkmcnt(0)
	v_cmp_ge_u64_e32 vcc_lo, v[8:9], v[32:33]
	s_or_not1_b32 vcc_lo, vcc_lo, exec_lo
	s_branch .LBB2_2354
.LBB2_2359:                             ;   in Loop: Header=BB2_2355 Depth=4
	s_cbranch_execz .LBB2_2360
; %bb.7666:
	s_getpc_b64 s[48:49]
.Lpost_getpc97:
	s_add_u32 s48, s48, (.LBB2_7200-.Lpost_getpc97)&4294967295
	s_addc_u32 s49, s49, (.LBB2_7200-.Lpost_getpc97)>>32
	s_setpc_b64 s[48:49]
.LBB2_2360:                             ;   in Loop: Header=BB2_2355 Depth=4
	ds_load_b64 v[8:9], v0
	s_and_not1_b32 s43, s43, exec_lo
	s_mov_b32 s42, 0
	s_mov_b32 s44, -1
	s_waitcnt lgkmcnt(0)
	flat_load_b32 v2, v[8:9] glc
	s_waitcnt vmcnt(0) lgkmcnt(0)
	buffer_gl1_inv
	buffer_gl0_inv
	v_cmp_eq_u32_e32 vcc_lo, 0, v2
	s_and_b32 vcc_lo, vcc_lo, exec_lo
	s_delay_alu instid0(SALU_CYCLE_1)
	s_or_b32 s43, s43, vcc_lo
	s_branch .LBB2_2356
.LBB2_2361:                             ;   in Loop: Header=BB2_2317 Depth=3
	s_or_b32 exec_lo, exec_lo, s39
	s_and_saveexec_b32 vcc_lo, s40
	s_delay_alu instid0(SALU_CYCLE_1)
	s_xor_b32 vcc_lo, exec_lo, vcc_lo
	s_cbranch_execz .LBB2_2363
; %bb.2362:                             ;   in Loop: Header=BB2_2317 Depth=3
	ds_store_b32 v0, v119
	s_cbranch_execz .LBB2_2363
; %bb.7668:
	s_getpc_b64 s[48:49]
.Lpost_getpc98:
	s_add_u32 s48, s48, (.LBB2_7402-.Lpost_getpc98)&4294967295
	s_addc_u32 s49, s49, (.LBB2_7402-.Lpost_getpc98)>>32
	s_setpc_b64 s[48:49]
.LBB2_2363:                             ;   in Loop: Header=BB2_2317 Depth=3
	s_or_b32 exec_lo, exec_lo, s38
	;;#ASMSTART
	s_wakeup
	;;#ASMEND
.LBB2_2364:                             ;   in Loop: Header=BB2_2317 Depth=3
	s_or_b32 exec_lo, exec_lo, s37
.LBB2_2365:                             ;   in Loop: Header=BB2_2317 Depth=3
	s_and_not1_saveexec_b32 s17, s17
	s_cbranch_execz .LBB2_2367
; %bb.2366:                             ;   in Loop: Header=BB2_2317 Depth=3
	s_waitcnt vmcnt(0) lgkmcnt(0)
	s_waitcnt_vscnt null, 0x0
	buffer_gl1_inv
	buffer_gl0_inv
	s_barrier
.LBB2_2367:                             ;   in Loop: Header=BB2_2317 Depth=3
	s_or_b32 exec_lo, exec_lo, s17
.LBB2_2368:                             ;   in Loop: Header=BB2_2317 Depth=3
	s_delay_alu instid0(SALU_CYCLE_1) | instskip(SKIP_1) | instid1(SALU_CYCLE_1)
	s_or_b32 exec_lo, exec_lo, s13
                                        ; implicit-def: $vgpr2
	s_and_saveexec_b32 s13, vcc_hi
	s_xor_b32 s13, exec_lo, s13
	s_cbranch_execz .LBB2_2390
; %bb.2369:                             ;   in Loop: Header=BB2_2317 Depth=3
	s_and_saveexec_b32 s17, s4
	s_delay_alu instid0(SALU_CYCLE_1)
	s_xor_b32 s17, exec_lo, s17
	s_cbranch_execz .LBB2_2387
; %bb.2370:                             ;   in Loop: Header=BB2_2317 Depth=3
	s_and_saveexec_b32 s37, s1
	s_cbranch_execz .LBB2_2386
; %bb.2371:                             ;   in Loop: Header=BB2_2317 Depth=3
	s_mov_b32 s39, exec_lo
	s_mov_b32 s38, exec_lo
	v_mbcnt_lo_u32_b32 v2, s39, 0
	;;#ASMSTART
	s_waitcnt lgkmcnt(0) vmcnt(0)
	;;#ASMEND
	s_delay_alu instid0(VALU_DEP_1)
	v_cmpx_eq_u32_e32 0, v2
	s_cbranch_execz .LBB2_2373
; %bb.2372:                             ;   in Loop: Header=BB2_2317 Depth=3
	s_bcnt1_i32_b32 vcc_lo, s39
	s_delay_alu instid0(SALU_CYCLE_1)
	v_mov_b32_e32 v2, vcc_lo
	ds_add_u64 v0, v[2:3]
	s_cbranch_execz .LBB2_2373
; %bb.7670:
	s_getpc_b64 s[48:49]
.Lpost_getpc99:
	s_add_u32 s48, s48, (.LBB2_7154-.Lpost_getpc99)&4294967295
	s_addc_u32 s49, s49, (.LBB2_7154-.Lpost_getpc99)>>32
	s_setpc_b64 s[48:49]
.LBB2_2373:                             ;   in Loop: Header=BB2_2317 Depth=3
	s_or_b32 exec_lo, exec_lo, s38
	s_cbranch_execz .LBB2_2374
; %bb.7672:
	s_getpc_b64 s[48:49]
.Lpost_getpc100:
	s_add_u32 s48, s48, (.LBB2_7120-.Lpost_getpc100)&4294967295
	s_addc_u32 s49, s49, (.LBB2_7120-.Lpost_getpc100)>>32
	s_setpc_b64 s[48:49]
.LBB2_2374:                             ;   in Loop: Header=BB2_2317 Depth=3
	ds_load_b64 v[8:9], v0
	v_add_co_u32 v32, vcc_lo, v32, v83
	v_add_co_ci_u32_e32 v33, vcc_lo, 0, v33, vcc_lo
	s_mov_b32 s38, exec_lo
	s_waitcnt lgkmcnt(0)
	s_delay_alu instid0(VALU_DEP_1)
	v_cmpx_lt_u64_e64 v[8:9], v[32:33]
	s_cbranch_execz .LBB2_2385
; %bb.2375:                             ;   in Loop: Header=BB2_2317 Depth=3
	s_mov_b32 s39, 0
	s_mov_b32 s42, 0
                                        ; implicit-def: $sgpr40
                                        ; implicit-def: $sgpr41
	s_branch .LBB2_2377
.LBB2_2376:                             ;   in Loop: Header=BB2_2377 Depth=4
	s_or_b32 exec_lo, exec_lo, s44
	s_delay_alu instid0(SALU_CYCLE_1) | instskip(NEXT) | instid1(SALU_CYCLE_1)
	s_and_b32 vcc_lo, exec_lo, vcc_lo
	s_or_b32 s39, vcc_lo, s39
	s_and_not1_b32 vcc_lo, s40, exec_lo
	s_and_b32 s40, s41, exec_lo
	s_delay_alu instid0(SALU_CYCLE_1)
	s_or_b32 s40, vcc_lo, s40
	s_and_not1_b32 exec_lo, exec_lo, s39
	s_cbranch_execz .LBB2_2383
.LBB2_2377:                             ;   Parent Loop BB2_51 Depth=1
                                        ;     Parent Loop BB2_303 Depth=2
                                        ;       Parent Loop BB2_2317 Depth=3
                                        ; =>      This Inner Loop Header: Depth=4
	s_add_i32 s42, s42, 1
                                        ; implicit-def: $sgpr44
	s_delay_alu instid0(SALU_CYCLE_1) | instskip(SKIP_1) | instid1(SALU_CYCLE_1)
	s_cmpk_lg_i32 s42, 0x2710
	s_cselect_b32 s43, -1, 0
	s_and_b32 vcc_lo, exec_lo, s43
	s_cbranch_vccz .LBB2_2381
.LBB2_2378:                             ;   in Loop: Header=BB2_2377 Depth=4
	s_and_not1_b32 s41, s41, exec_lo
	s_and_b32 s44, s44, exec_lo
	s_mov_b32 vcc_lo, -1
	s_or_b32 s41, s41, s44
	s_and_saveexec_b32 s44, s43
	s_cbranch_execz .LBB2_2376
; %bb.2379:                             ;   in Loop: Header=BB2_2377 Depth=4
	s_sleep 1
	s_cbranch_execz .LBB2_2380
; %bb.7674:
	s_getpc_b64 s[48:49]
.Lpost_getpc101:
	s_add_u32 s48, s48, (.LBB2_7194-.Lpost_getpc101)&4294967295
	s_addc_u32 s49, s49, (.LBB2_7194-.Lpost_getpc101)>>32
	s_setpc_b64 s[48:49]
.LBB2_2380:                             ;   in Loop: Header=BB2_2377 Depth=4
	ds_load_b64 v[8:9], v0
	s_and_not1_b32 s41, s41, exec_lo
	s_waitcnt lgkmcnt(0)
	v_cmp_ge_u64_e32 vcc_lo, v[8:9], v[32:33]
	s_or_not1_b32 vcc_lo, vcc_lo, exec_lo
	s_branch .LBB2_2376
.LBB2_2381:                             ;   in Loop: Header=BB2_2377 Depth=4
	s_cbranch_execz .LBB2_2382
; %bb.7676:
	s_getpc_b64 s[48:49]
.Lpost_getpc102:
	s_add_u32 s48, s48, (.LBB2_7210-.Lpost_getpc102)&4294967295
	s_addc_u32 s49, s49, (.LBB2_7210-.Lpost_getpc102)>>32
	s_setpc_b64 s[48:49]
.LBB2_2382:                             ;   in Loop: Header=BB2_2377 Depth=4
	ds_load_b64 v[8:9], v0
	s_and_not1_b32 s43, s43, exec_lo
	s_mov_b32 s42, 0
	s_mov_b32 s44, -1
	s_waitcnt vmcnt(0) lgkmcnt(0)
	s_waitcnt_vscnt null, 0x0
	flat_load_b32 v2, v[8:9] glc
	s_waitcnt vmcnt(0) lgkmcnt(0)
	buffer_gl1_inv
	buffer_gl0_inv
	v_cmp_eq_u32_e32 vcc_lo, 0, v2
	s_and_b32 vcc_lo, vcc_lo, exec_lo
	s_delay_alu instid0(SALU_CYCLE_1)
	s_or_b32 s43, s43, vcc_lo
	s_branch .LBB2_2378
.LBB2_2383:                             ;   in Loop: Header=BB2_2317 Depth=3
	s_or_b32 exec_lo, exec_lo, s39
	s_and_saveexec_b32 vcc_lo, s40
	s_delay_alu instid0(SALU_CYCLE_1)
	s_xor_b32 vcc_lo, exec_lo, vcc_lo
	s_cbranch_execz .LBB2_2385
; %bb.2384:                             ;   in Loop: Header=BB2_2317 Depth=3
	ds_store_b32 v0, v119
	s_cbranch_execz .LBB2_2385
; %bb.7678:
	s_getpc_b64 s[48:49]
.Lpost_getpc103:
	s_add_u32 s48, s48, (.LBB2_7406-.Lpost_getpc103)&4294967295
	s_addc_u32 s49, s49, (.LBB2_7406-.Lpost_getpc103)>>32
	s_setpc_b64 s[48:49]
.LBB2_2385:                             ;   in Loop: Header=BB2_2317 Depth=3
	s_or_b32 exec_lo, exec_lo, s38
	;;#ASMSTART
	s_wakeup
	;;#ASMEND
.LBB2_2386:                             ;   in Loop: Header=BB2_2317 Depth=3
	s_or_b32 exec_lo, exec_lo, s37
.LBB2_2387:                             ;   in Loop: Header=BB2_2317 Depth=3
	s_and_not1_saveexec_b32 s17, s17
	s_cbranch_execz .LBB2_2389
; %bb.2388:                             ;   in Loop: Header=BB2_2317 Depth=3
	;;#ASMSTART
	s_waitcnt lgkmcnt(0) vmcnt(0)
	;;#ASMEND
	s_waitcnt vmcnt(0) lgkmcnt(0)
	s_waitcnt_vscnt null, 0x0
	s_barrier
.LBB2_2389:                             ;   in Loop: Header=BB2_2317 Depth=3
	s_or_b32 exec_lo, exec_lo, s17
	v_and_b32_e32 v2, 16, v30
.LBB2_2390:                             ;   in Loop: Header=BB2_2317 Depth=3
	s_and_not1_saveexec_b32 s17, s13
	s_cbranch_execz .LBB2_2395
; %bb.2391:                             ;   in Loop: Header=BB2_2317 Depth=3
	s_cbranch_execz .LBB2_2392
; %bb.7680:
	s_getpc_b64 s[48:49]
.Lpost_getpc104:
	s_add_u32 s48, s48, (.LBB2_7054-.Lpost_getpc104)&4294967295
	s_addc_u32 s49, s49, (.LBB2_7054-.Lpost_getpc104)>>32
	s_setpc_b64 s[48:49]
.LBB2_2392:                             ;   in Loop: Header=BB2_2317 Depth=3
	ds_load_b32 v2, v0
	v_cmp_lt_i32_e32 vcc_lo, 0, v54
	s_waitcnt lgkmcnt(0)
	v_readfirstlane_b32 s13, v2
	v_and_b32_e32 v2, 16, v30
	s_delay_alu instid0(VALU_DEP_2) | instskip(NEXT) | instid1(VALU_DEP_1)
	s_cmp_eq_u32 s13, 0
	v_cmp_ne_u32_e64 s13, 0, v2
	s_cselect_b32 s37, -1, 0
	v_and_b32_e32 v2, 16, v30
	s_and_b32 vcc_lo, vcc_lo, s37
	s_delay_alu instid0(VALU_DEP_2) | instid1(SALU_CYCLE_1)
	s_and_b32 vcc_lo, s13, vcc_lo
	s_delay_alu instid0(SALU_CYCLE_1)
	s_and_saveexec_b32 s13, vcc_lo
	s_cbranch_execz .LBB2_2394
; %bb.2393:                             ;   in Loop: Header=BB2_2317 Depth=3
	v_mov_b32_e32 v2, 1
	s_waitcnt vmcnt(0)
	s_waitcnt_vscnt null, 0x0
	buffer_gl1_inv
	buffer_gl0_inv
.LBB2_2394:                             ;   in Loop: Header=BB2_2317 Depth=3
	s_or_b32 exec_lo, exec_lo, s13
.LBB2_2395:                             ;   in Loop: Header=BB2_2317 Depth=3
	s_delay_alu instid0(SALU_CYCLE_1) | instskip(NEXT) | instid1(VALU_DEP_1)
	s_or_b32 exec_lo, exec_lo, s17
	v_cmp_ne_u32_e32 vcc_lo, 0, v2
	s_xor_b32 s13, s10, -1
	s_delay_alu instid0(SALU_CYCLE_1) | instskip(NEXT) | instid1(SALU_CYCLE_1)
	s_and_b32 s17, vcc_lo, s13
	s_and_saveexec_b32 s13, s17
	s_cbranch_execz .LBB2_2397
; %bb.2396:                             ;   in Loop: Header=BB2_2317 Depth=3
	s_waitcnt vmcnt(0) lgkmcnt(0)
	s_waitcnt_vscnt null, 0x0
	flat_store_b32 v[28:29], v119
.LBB2_2397:                             ;   in Loop: Header=BB2_2317 Depth=3
	s_or_b32 exec_lo, exec_lo, s13
	v_and_b32_e32 v2, 48, v30
	s_mov_b32 s13, exec_lo
	s_delay_alu instid0(VALU_DEP_1)
	v_cmpx_ne_u32_e32 0, v2
	s_cbranch_execz .LBB2_2399
; %bb.2398:                             ;   in Loop: Header=BB2_2317 Depth=3
	v_add_co_u32 v24, vcc_lo, v24, 2
	v_add_co_ci_u32_e32 v25, vcc_lo, 0, v25, vcc_lo
	s_waitcnt vmcnt(0) lgkmcnt(0)
	s_waitcnt_vscnt null, 0x0
	flat_store_b64 v[22:23], v[24:25]
.LBB2_2399:                             ;   in Loop: Header=BB2_2317 Depth=3
	s_or_b32 exec_lo, exec_lo, s13
	v_add_nc_u32_e32 v131, v54, v131
	s_mov_b32 s13, 0
	s_and_not1_b32 exec_lo, exec_lo, s16
	s_cbranch_execnz .LBB2_2317
; %bb.2400:                             ;   in Loop: Header=BB2_303 Depth=2
	s_or_b32 exec_lo, exec_lo, s16
.LBB2_2401:                             ;   in Loop: Header=BB2_303 Depth=2
	s_delay_alu instid0(SALU_CYCLE_1) | instskip(SKIP_1) | instid1(SALU_CYCLE_1)
	s_or_b32 exec_lo, exec_lo, s14
	s_add_i32 s15, s15, 1
	s_cmp_eq_u32 s15, s19
	s_cbranch_scc0 .LBB2_303
.LBB2_2402:                             ;   in Loop: Header=BB2_51 Depth=1
	v_mul_lo_u32 v2, v51, s19
	v_mul_lo_u32 v10, v50, s21
	v_mad_u64_u32 v[8:9], null, v50, s19, 0
	s_mov_b32 s37, 0
	v_mov_b32_e32 v131, 0
	s_delay_alu instid0(VALU_DEP_2) | instskip(NEXT) | instid1(VALU_DEP_3)
	v_add3_u32 v9, v9, v10, v2
	v_sub_co_u32 v10, vcc_lo, v52, v8
	s_delay_alu instid0(VALU_DEP_2) | instskip(NEXT) | instid1(VALU_DEP_1)
	v_sub_co_ci_u32_e32 v11, vcc_lo, v53, v9, vcc_lo
	v_cmp_lt_i64_e32 vcc_lo, v[50:51], v[10:11]
	v_cndmask_b32_e32 v10, v10, v50, vcc_lo
	s_delay_alu instid0(VALU_DEP_1) | instskip(SKIP_1) | instid1(VALU_DEP_2)
	v_max_i32_e32 v130, 0, v10
	v_cmp_lt_i32_e32 vcc_lo, 0, v10
	v_add_nc_u32_e32 v2, 31, v130
	s_and_b32 s14, s30, vcc_lo
	s_delay_alu instid0(VALU_DEP_1) | instskip(NEXT) | instid1(VALU_DEP_1)
	v_lshrrev_b32_e32 v2, 1, v2
	v_dual_mov_b32 v2, 0 :: v_dual_and_b32 v11, 0x3ffffff0, v2
	s_delay_alu instid0(VALU_DEP_1)
	v_max_i32_e32 v54, s28, v11
	s_and_saveexec_b32 s13, s14
	s_cbranch_execnz .LBB2_2403
; %bb.7682:                             ;   in Loop: Header=BB2_51 Depth=1
	s_getpc_b64 s[48:49]
.Lpost_getpc105:
	s_add_u32 s48, s48, (.LBB2_6301-.Lpost_getpc105)&4294967295
	s_addc_u32 s49, s49, (.LBB2_6301-.Lpost_getpc105)>>32
	s_setpc_b64 s[48:49]
.LBB2_2403:                             ;   in Loop: Header=BB2_51 Depth=1
	v_add_co_u32 v132, vcc_lo, v8, v128
	v_add_co_ci_u32_e32 v133, vcc_lo, v9, v129, vcc_lo
	v_mov_b32_e32 v131, 0
	s_mov_b32 s16, 1
	s_mov_b32 s15, -1
	v_writelane_b32 v42, s13, 0
.LBB2_2404:                             ;   Parent Loop BB2_51 Depth=1
                                        ; =>  This Loop Header: Depth=2
                                        ;       Child Loop BB2_2413 Depth 3
                                        ;       Child Loop BB2_2443 Depth 3
	;; [unrolled: 1-line block ×4, first 2 shown]
                                        ;         Child Loop BB2_2956 Depth 4
                                        ;       Child Loop BB2_3220 Depth 3
                                        ;         Child Loop BB2_3685 Depth 4
                                        ;       Child Loop BB2_3955 Depth 3
                                        ;       Child Loop BB2_4318 Depth 3
                                        ;         Child Loop BB2_4348 Depth 4
                                        ;       Child Loop BB2_4380 Depth 3
                                        ;       Child Loop BB2_5106 Depth 3
	;; [unrolled: 1-line block ×6, first 2 shown]
	s_and_saveexec_b32 s14, s0
	s_cbranch_execz .LBB2_2407
; %bb.2405:                             ;   in Loop: Header=BB2_2404 Depth=2
	s_cbranch_execz .LBB2_2406
; %bb.7684:
	s_getpc_b64 s[48:49]
.Lpost_getpc106:
	s_add_u32 s48, s48, (.LBB2_7022-.Lpost_getpc106)&4294967295
	s_addc_u32 s49, s49, (.LBB2_7022-.Lpost_getpc106)>>32
	s_setpc_b64 s[48:49]
.LBB2_2406:                             ;   in Loop: Header=BB2_2404 Depth=2
	ds_load_2addr_b64 v[8:11], v0 offset1:1
	ds_load_b64 v[12:13], v0
	v_ashrrev_i32_e32 v2, 31, v131
	s_waitcnt lgkmcnt(1)
	v_add_co_u32 v8, vcc_lo, v8, v132
	v_add_co_ci_u32_e32 v9, vcc_lo, v9, v133, vcc_lo
	v_add_co_u32 v10, vcc_lo, v10, v132
	v_add_co_ci_u32_e32 v11, vcc_lo, v11, v133, vcc_lo
	s_waitcnt lgkmcnt(0)
	v_add_co_u32 v14, vcc_lo, v12, v132
	v_add_co_ci_u32_e32 v15, vcc_lo, v13, v133, vcc_lo
	v_add_co_u32 v8, vcc_lo, v8, v131
	v_add_co_ci_u32_e32 v9, vcc_lo, v9, v2, vcc_lo
	s_delay_alu instid0(VALU_DEP_4) | instskip(NEXT) | instid1(VALU_DEP_4)
	v_add_co_u32 v14, vcc_lo, v14, v131
	v_add_co_ci_u32_e32 v15, vcc_lo, v15, v2, vcc_lo
	v_cmp_ne_u64_e32 vcc_lo, 0, v[12:13]
	v_add_co_u32 v10, s13, v10, v131
	s_delay_alu instid0(VALU_DEP_1) | instskip(NEXT) | instid1(VALU_DEP_4)
	v_add_co_ci_u32_e64 v11, s13, v11, v2, s13
	v_dual_cndmask_b32 v13, 0, v15 :: v_dual_cndmask_b32 v12, 0, v14
	ds_store_b64 v0, v[8:9]
	ds_store_b64 v0, v[10:11]
	ds_store_b64 v0, v[12:13]
.LBB2_2407:                             ;   in Loop: Header=BB2_2404 Depth=2
	s_or_b32 exec_lo, exec_lo, s14
	v_and_b32_e32 v2, 12, v30
	s_mov_b32 s17, -1
	s_mov_b32 s13, exec_lo
	s_delay_alu instid0(VALU_DEP_1)
	v_cmpx_ne_u32_e32 0, v2
	s_cbranch_execz .LBB2_2421
; %bb.2408:                             ;   in Loop: Header=BB2_2404 Depth=2
	v_and_b32_e32 v2, 8, v30
	s_mov_b32 s14, s16
	s_mov_b32 s16, s37
	s_delay_alu instid0(VALU_DEP_1) | instskip(SKIP_3) | instid1(VALU_DEP_1)
	v_add_co_u32 v10, vcc_lo, v34, v2
	v_add_co_ci_u32_e32 v11, vcc_lo, 0, v35, vcc_lo
	v_add_co_u32 v8, vcc_lo, v24, 2
	v_add_co_ci_u32_e32 v9, vcc_lo, 0, v25, vcc_lo
	v_cmp_lt_u64_e32 vcc_lo, v[10:11], v[8:9]
	v_mov_b32_e32 v10, 1
	s_and_saveexec_b32 s17, vcc_lo
	s_cbranch_execz .LBB2_2420
; %bb.2409:                             ;   in Loop: Header=BB2_2404 Depth=2
	v_mov_b32_e32 v10, 0
	s_mov_b32 s37, 0
                                        ; implicit-def: $sgpr38
	s_branch .LBB2_2413
.LBB2_2410:                             ;   in Loop: Header=BB2_2413 Depth=3
	s_or_b32 exec_lo, exec_lo, s42
	v_mov_b32_e32 v11, 0
	s_or_not1_b32 s41, s41, exec_lo
.LBB2_2411:                             ;   in Loop: Header=BB2_2413 Depth=3
	s_or_b32 exec_lo, exec_lo, s40
	s_delay_alu instid0(VALU_DEP_1) | instskip(SKIP_2) | instid1(SALU_CYCLE_1)
	v_mov_b32_e32 v10, v11
	s_and_not1_b32 vcc_lo, s38, exec_lo
	s_and_b32 s38, s41, exec_lo
	s_or_b32 s38, vcc_lo, s38
.LBB2_2412:                             ;   in Loop: Header=BB2_2413 Depth=3
	s_or_b32 exec_lo, exec_lo, s39
	s_waitcnt vmcnt(0) lgkmcnt(0)
	v_add_co_u32 v11, vcc_lo, v34, v2
	v_add_co_ci_u32_e32 v12, vcc_lo, 0, v35, vcc_lo
	s_xor_b32 s39, s38, -1
	s_delay_alu instid0(VALU_DEP_1) | instskip(SKIP_1) | instid1(SALU_CYCLE_1)
	v_cmp_ge_u64_e32 vcc_lo, v[11:12], v[8:9]
	s_or_b32 vcc_lo, s39, vcc_lo
	s_and_b32 vcc_lo, exec_lo, vcc_lo
	s_delay_alu instid0(SALU_CYCLE_1) | instskip(NEXT) | instid1(SALU_CYCLE_1)
	s_or_b32 s37, vcc_lo, s37
	s_and_not1_b32 exec_lo, exec_lo, s37
	s_cbranch_execz .LBB2_2419
.LBB2_2413:                             ;   Parent Loop BB2_51 Depth=1
                                        ;     Parent Loop BB2_2404 Depth=2
                                        ; =>    This Inner Loop Header: Depth=3
	s_sleep 1
	flat_load_b64 v[34:35], v[22:23] glc
	v_and_b32_e32 v11, 64, v30
	s_and_not1_b32 s38, s38, exec_lo
	s_mov_b32 s39, exec_lo
	s_delay_alu instid0(VALU_DEP_1)
	v_cmpx_eq_u32_e32 0, v11
	s_cbranch_execz .LBB2_2412
; %bb.2414:                             ;   in Loop: Header=BB2_2413 Depth=3
	v_add_nc_u32_e32 v11, 1, v10
	s_mov_b32 s41, -1
	s_mov_b32 s40, exec_lo
	v_cmpx_lt_i32_e32 0x270e, v10
	s_cbranch_execz .LBB2_2411
; %bb.2415:                             ;   in Loop: Header=BB2_2413 Depth=3
	s_cbranch_execz .LBB2_2416
; %bb.7686:
	s_getpc_b64 s[48:49]
.Lpost_getpc107:
	s_add_u32 s48, s48, (.LBB2_7048-.Lpost_getpc107)&4294967295
	s_addc_u32 s49, s49, (.LBB2_7048-.Lpost_getpc107)>>32
	s_setpc_b64 s[48:49]
.LBB2_2416:                             ;   in Loop: Header=BB2_2413 Depth=3
	ds_load_b64 v[10:11], v0
	s_mov_b32 s42, exec_lo
	s_waitcnt vmcnt(0) lgkmcnt(0)
	s_waitcnt_vscnt null, 0x0
	flat_load_b32 v10, v[10:11] glc
	s_waitcnt vmcnt(0) lgkmcnt(0)
	buffer_gl1_inv
	buffer_gl0_inv
	v_cmpx_ne_u32_e32 0, v10
	s_cbranch_execz .LBB2_2410
; %bb.2417:                             ;   in Loop: Header=BB2_2413 Depth=3
	ds_store_b32 v0, v10
	s_cbranch_execz .LBB2_2418
; %bb.7688:
	s_getpc_b64 s[48:49]
.Lpost_getpc108:
	s_add_u32 s48, s48, (.LBB2_7102-.Lpost_getpc108)&4294967295
	s_addc_u32 s49, s49, (.LBB2_7102-.Lpost_getpc108)>>32
	s_setpc_b64 s[48:49]
.LBB2_2418:                             ;   in Loop: Header=BB2_2413 Depth=3
	v_or_b32_e32 v30, 64, v30
	s_xor_b32 s41, exec_lo, -1
	s_branch .LBB2_2410
.LBB2_2419:                             ;   in Loop: Header=BB2_2404 Depth=2
	s_or_b32 exec_lo, exec_lo, s37
	v_and_b32_e32 v10, 12, v30
.LBB2_2420:                             ;   in Loop: Header=BB2_2404 Depth=2
	s_or_b32 exec_lo, exec_lo, s17
	s_delay_alu instid0(VALU_DEP_1)
	v_cmp_eq_u32_e32 vcc_lo, 0, v10
	s_mov_b32 s37, s16
	s_mov_b32 s16, s14
	;;#ASMSTART
	s_wakeup
	;;#ASMEND
	s_or_not1_b32 s17, vcc_lo, exec_lo
.LBB2_2421:                             ;   in Loop: Header=BB2_2404 Depth=2
	s_or_b32 exec_lo, exec_lo, s13
	v_sub_nc_u32_e32 v2, v130, v131
	s_xor_b32 s13, s17, -1
	s_delay_alu instid0(VALU_DEP_1)
	v_min_i32_e32 v54, v54, v2
	s_and_saveexec_b32 s14, s13
	s_cbranch_execz .LBB2_2434
; %bb.2422:                             ;   in Loop: Header=BB2_2404 Depth=2
	v_and_b32_e32 v2, 0x108, v30
	s_mov_b32 s17, s15
	s_mov_b32 s15, s37
	s_delay_alu instid0(VALU_DEP_1) | instskip(SKIP_2) | instid1(SALU_CYCLE_1)
	v_cmp_ne_u32_e32 vcc_lo, 0x108, v2
	v_and_b32_e32 v2, 7, v24
	s_and_saveexec_b32 s13, vcc_lo
	s_xor_b32 s13, exec_lo, s13
	s_delay_alu instid0(SALU_CYCLE_1)
	s_and_not1_saveexec_b32 s13, s13
	s_cbranch_execz .LBB2_2424
; %bb.2423:                             ;   in Loop: Header=BB2_2404 Depth=2
	v_mad_u64_u32 v[8:9], null, v2, 24, v[6:7]
	v_ashrrev_i32_e32 v55, 31, v54
	flat_store_b64 v[8:9], v[54:55] offset:8
.LBB2_2424:                             ;   in Loop: Header=BB2_2404 Depth=2
	s_or_b32 exec_lo, exec_lo, s13
	v_and_b32_e32 v8, 0x100, v30
	s_mov_b32 s13, -1
	s_delay_alu instid0(VALU_DEP_1)
	v_cmp_ne_u32_e32 vcc_lo, 0, v8
                                        ; implicit-def: $vgpr8_vgpr9
	s_and_saveexec_b32 s37, vcc_lo
	s_cbranch_execnz .LBB2_2427
; %bb.2425:                             ;   in Loop: Header=BB2_2404 Depth=2
	s_or_b32 exec_lo, exec_lo, s37
	s_and_saveexec_b32 vcc_lo, s13
	s_cbranch_execnz .LBB2_2430
.LBB2_2426:                             ;   in Loop: Header=BB2_2404 Depth=2
	s_or_b32 exec_lo, exec_lo, vcc_lo
	s_cbranch_execz .LBB2_2431
; %bb.7690:
	s_getpc_b64 s[48:49]
.Lpost_getpc109:
	s_add_u32 s48, s48, (.LBB2_7042-.Lpost_getpc109)&4294967295
	s_addc_u32 s49, s49, (.LBB2_7042-.Lpost_getpc109)>>32
	s_setpc_b64 s[48:49]
.LBB2_2427:                             ;   in Loop: Header=BB2_2404 Depth=2
	v_mad_u64_u32 v[10:11], null, v2, 24, v[6:7]
	s_delay_alu instid0(VALU_DEP_1) | instskip(NEXT) | instid1(VALU_DEP_1)
	v_mov_b32_e32 v8, v11
	v_mad_u64_u32 v[11:12], null, v3, 24, v[8:9]
	flat_load_b32 v8, v[10:11]
	s_waitcnt vmcnt(0) lgkmcnt(0)
	v_cmp_ne_u32_e32 vcc_lo, 1, v8
	v_cmp_eq_u32_e64 s13, 1, v8
                                        ; implicit-def: $vgpr8_vgpr9
	s_delay_alu instid0(VALU_DEP_1)
	s_and_saveexec_b32 s38, s13
	s_cbranch_execz .LBB2_2429
; %bb.2428:                             ;   in Loop: Header=BB2_2404 Depth=2
	flat_load_b32 v8, v[10:11] offset:4 glc
	s_waitcnt vmcnt(0) lgkmcnt(0)
	v_ashrrev_i32_e32 v9, 31, v8
.LBB2_2429:                             ;   in Loop: Header=BB2_2404 Depth=2
	s_or_b32 exec_lo, exec_lo, s38
	s_delay_alu instid0(SALU_CYCLE_1)
	s_or_not1_b32 s13, vcc_lo, exec_lo
	s_or_b32 exec_lo, exec_lo, s37
	s_and_saveexec_b32 vcc_lo, s13
	s_cbranch_execz .LBB2_2426
.LBB2_2430:                             ;   in Loop: Header=BB2_2404 Depth=2
	v_mul_lo_u32 v10, v3, v80
	v_mul_lo_u32 v11, v2, v82
	v_mad_u64_u32 v[8:9], null, v2, v80, 0
	s_delay_alu instid0(VALU_DEP_1)
	v_add3_u32 v9, v9, v11, v10
	s_or_b32 exec_lo, exec_lo, vcc_lo
	s_cbranch_execz .LBB2_2431
; %bb.7692:
	s_getpc_b64 s[48:49]
.Lpost_getpc110:
	s_add_u32 s48, s48, (.LBB2_7042-.Lpost_getpc110)&4294967295
	s_addc_u32 s49, s49, (.LBB2_7042-.Lpost_getpc110)>>32
	s_setpc_b64 s[48:49]
.LBB2_2431:                             ;   in Loop: Header=BB2_2404 Depth=2
	s_delay_alu instid0(VALU_DEP_2)
	v_add_co_u32 v8, vcc_lo, v26, v8
	v_and_b32_e32 v2, 0x2000, v30
	v_add_co_ci_u32_e32 v9, vcc_lo, v27, v9, vcc_lo
	s_mov_b32 s13, exec_lo
	ds_store_b64 v0, v[8:9]
	v_cmpx_ne_u32_e32 0, v2
	s_cbranch_execz .LBB2_2433
; %bb.2432:                             ;   in Loop: Header=BB2_2404 Depth=2
	ds_load_b64 v[8:9], v0 offset:584
	s_waitcnt lgkmcnt(0)
	v_add_co_u32 v8, vcc_lo, v8, 1
	v_add_co_ci_u32_e32 v9, vcc_lo, 0, v9, vcc_lo
	ds_store_b64 v0, v[8:9] offset:584
.LBB2_2433:                             ;   in Loop: Header=BB2_2404 Depth=2
	s_or_b32 exec_lo, exec_lo, s13
	v_add_co_u32 v24, vcc_lo, v24, 2
	v_add_co_ci_u32_e32 v25, vcc_lo, 0, v25, vcc_lo
	s_mov_b32 s37, s15
	s_mov_b32 s15, s17
.LBB2_2434:                             ;   in Loop: Header=BB2_2404 Depth=2
	s_delay_alu instid0(SALU_CYCLE_1)
	v_writelane_b32 v42, s15, 1
	v_writelane_b32 v42, s16, 2
	;; [unrolled: 1-line block ×8, first 2 shown]
	s_or_b32 exec_lo, exec_lo, s14
	s_and_saveexec_b32 s13, s3
	s_cbranch_execz .LBB2_2456
; %bb.2435:                             ;   in Loop: Header=BB2_2404 Depth=2
	s_and_saveexec_b32 s14, s4
	s_delay_alu instid0(SALU_CYCLE_1)
	s_xor_b32 s14, exec_lo, s14
	s_cbranch_execz .LBB2_2453
; %bb.2436:                             ;   in Loop: Header=BB2_2404 Depth=2
	s_and_saveexec_b32 s15, s1
	s_cbranch_execz .LBB2_2452
; %bb.2437:                             ;   in Loop: Header=BB2_2404 Depth=2
	s_mov_b32 s17, exec_lo
	s_mov_b32 s16, exec_lo
	v_mbcnt_lo_u32_b32 v2, s17, 0
	s_waitcnt vmcnt(0) lgkmcnt(0)
	s_waitcnt_vscnt null, 0x0
	buffer_gl1_inv
	buffer_gl0_inv
	v_cmpx_eq_u32_e32 0, v2
	s_cbranch_execz .LBB2_2439
; %bb.2438:                             ;   in Loop: Header=BB2_2404 Depth=2
	s_bcnt1_i32_b32 s17, s17
	s_delay_alu instid0(SALU_CYCLE_1)
	v_mov_b32_e32 v2, s17
	ds_add_u64 v0, v[2:3]
	s_cbranch_execz .LBB2_2439
; %bb.7694:
	s_getpc_b64 s[48:49]
.Lpost_getpc111:
	s_add_u32 s48, s48, (.LBB2_7158-.Lpost_getpc111)&4294967295
	s_addc_u32 s49, s49, (.LBB2_7158-.Lpost_getpc111)>>32
	s_setpc_b64 s[48:49]
.LBB2_2439:                             ;   in Loop: Header=BB2_2404 Depth=2
	s_or_b32 exec_lo, exec_lo, s16
	s_cbranch_execz .LBB2_2440
; %bb.7696:
	s_getpc_b64 s[48:49]
.Lpost_getpc112:
	s_add_u32 s48, s48, (.LBB2_7132-.Lpost_getpc112)&4294967295
	s_addc_u32 s49, s49, (.LBB2_7132-.Lpost_getpc112)>>32
	s_setpc_b64 s[48:49]
.LBB2_2440:                             ;   in Loop: Header=BB2_2404 Depth=2
	ds_load_b64 v[8:9], v0
	v_add_co_u32 v32, vcc_lo, v32, v83
	v_add_co_ci_u32_e32 v33, vcc_lo, 0, v33, vcc_lo
	s_mov_b32 s16, exec_lo
	s_waitcnt lgkmcnt(0)
	s_delay_alu instid0(VALU_DEP_1)
	v_cmpx_lt_u64_e64 v[8:9], v[32:33]
	s_cbranch_execz .LBB2_2451
; %bb.2441:                             ;   in Loop: Header=BB2_2404 Depth=2
	s_mov_b32 s17, 0
	s_mov_b32 s34, 0
                                        ; implicit-def: $sgpr30
                                        ; implicit-def: $sgpr31
	s_branch .LBB2_2443
.LBB2_2442:                             ;   in Loop: Header=BB2_2443 Depth=3
	s_or_b32 exec_lo, exec_lo, s36
	s_delay_alu instid0(SALU_CYCLE_1) | instskip(NEXT) | instid1(SALU_CYCLE_1)
	s_and_b32 vcc_lo, exec_lo, vcc_lo
	s_or_b32 s17, vcc_lo, s17
	s_and_not1_b32 vcc_lo, s30, exec_lo
	s_and_b32 s30, s31, exec_lo
	s_delay_alu instid0(SALU_CYCLE_1)
	s_or_b32 s30, vcc_lo, s30
	s_and_not1_b32 exec_lo, exec_lo, s17
	s_cbranch_execz .LBB2_2449
.LBB2_2443:                             ;   Parent Loop BB2_51 Depth=1
                                        ;     Parent Loop BB2_2404 Depth=2
                                        ; =>    This Inner Loop Header: Depth=3
	s_add_i32 s34, s34, 1
                                        ; implicit-def: $sgpr36
	s_delay_alu instid0(SALU_CYCLE_1) | instskip(SKIP_1) | instid1(SALU_CYCLE_1)
	s_cmpk_lg_i32 s34, 0x2710
	s_cselect_b32 s35, -1, 0
	s_and_b32 vcc_lo, exec_lo, s35
	s_cbranch_vccz .LBB2_2447
.LBB2_2444:                             ;   in Loop: Header=BB2_2443 Depth=3
	s_and_not1_b32 s31, s31, exec_lo
	s_and_b32 s36, s36, exec_lo
	s_mov_b32 vcc_lo, -1
	s_or_b32 s31, s31, s36
	s_and_saveexec_b32 s36, s35
	s_cbranch_execz .LBB2_2442
; %bb.2445:                             ;   in Loop: Header=BB2_2443 Depth=3
	s_sleep 1
	s_cbranch_execz .LBB2_2446
; %bb.7698:
	s_getpc_b64 s[48:49]
.Lpost_getpc113:
	s_add_u32 s48, s48, (.LBB2_7202-.Lpost_getpc113)&4294967295
	s_addc_u32 s49, s49, (.LBB2_7202-.Lpost_getpc113)>>32
	s_setpc_b64 s[48:49]
.LBB2_2446:                             ;   in Loop: Header=BB2_2443 Depth=3
	ds_load_b64 v[8:9], v0
	s_and_not1_b32 s31, s31, exec_lo
	s_waitcnt lgkmcnt(0)
	v_cmp_ge_u64_e32 vcc_lo, v[8:9], v[32:33]
	s_or_not1_b32 vcc_lo, vcc_lo, exec_lo
	s_branch .LBB2_2442
.LBB2_2447:                             ;   in Loop: Header=BB2_2443 Depth=3
	s_cbranch_execz .LBB2_2448
; %bb.7700:
	s_getpc_b64 s[48:49]
.Lpost_getpc114:
	s_add_u32 s48, s48, (.LBB2_7214-.Lpost_getpc114)&4294967295
	s_addc_u32 s49, s49, (.LBB2_7214-.Lpost_getpc114)>>32
	s_setpc_b64 s[48:49]
.LBB2_2448:                             ;   in Loop: Header=BB2_2443 Depth=3
	ds_load_b64 v[8:9], v0
	s_and_not1_b32 s35, s35, exec_lo
	s_mov_b32 s34, 0
	s_mov_b32 s36, -1
	s_waitcnt lgkmcnt(0)
	flat_load_b32 v2, v[8:9] glc
	s_waitcnt vmcnt(0) lgkmcnt(0)
	buffer_gl1_inv
	buffer_gl0_inv
	v_cmp_eq_u32_e32 vcc_lo, 0, v2
	s_and_b32 vcc_lo, vcc_lo, exec_lo
	s_delay_alu instid0(SALU_CYCLE_1)
	s_or_b32 s35, s35, vcc_lo
	s_branch .LBB2_2444
.LBB2_2449:                             ;   in Loop: Header=BB2_2404 Depth=2
	s_or_b32 exec_lo, exec_lo, s17
	s_and_saveexec_b32 s17, s30
	s_delay_alu instid0(SALU_CYCLE_1)
	s_xor_b32 s17, exec_lo, s17
	s_cbranch_execz .LBB2_2451
; %bb.2450:                             ;   in Loop: Header=BB2_2404 Depth=2
	ds_store_b32 v0, v119
	s_cbranch_execz .LBB2_2451
; %bb.7702:
	s_getpc_b64 s[48:49]
.Lpost_getpc115:
	s_add_u32 s48, s48, (.LBB2_7412-.Lpost_getpc115)&4294967295
	s_addc_u32 s49, s49, (.LBB2_7412-.Lpost_getpc115)>>32
	s_setpc_b64 s[48:49]
.LBB2_2451:                             ;   in Loop: Header=BB2_2404 Depth=2
	s_or_b32 exec_lo, exec_lo, s16
	;;#ASMSTART
	s_wakeup
	;;#ASMEND
.LBB2_2452:                             ;   in Loop: Header=BB2_2404 Depth=2
	s_or_b32 exec_lo, exec_lo, s15
.LBB2_2453:                             ;   in Loop: Header=BB2_2404 Depth=2
	s_and_not1_saveexec_b32 s14, s14
	s_cbranch_execz .LBB2_2455
; %bb.2454:                             ;   in Loop: Header=BB2_2404 Depth=2
	s_waitcnt vmcnt(0) lgkmcnt(0)
	s_waitcnt_vscnt null, 0x0
	buffer_gl1_inv
	buffer_gl0_inv
	s_barrier
.LBB2_2455:                             ;   in Loop: Header=BB2_2404 Depth=2
	s_or_b32 exec_lo, exec_lo, s14
.LBB2_2456:                             ;   in Loop: Header=BB2_2404 Depth=2
	s_delay_alu instid0(SALU_CYCLE_1)
	s_or_b32 exec_lo, exec_lo, s13
	s_cbranch_execz .LBB2_2457
; %bb.7704:
	s_getpc_b64 s[48:49]
.Lpost_getpc116:
	s_add_u32 s48, s48, (.LBB2_7028-.Lpost_getpc116)&4294967295
	s_addc_u32 s49, s49, (.LBB2_7028-.Lpost_getpc116)>>32
	s_setpc_b64 s[48:49]
.LBB2_2457:                             ;   in Loop: Header=BB2_2404 Depth=2
	ds_load_b32 v8, v0
	v_and_b32_e32 v2, 0x4000, v30
	s_xor_b32 s13, s2, -1
	s_delay_alu instid0(VALU_DEP_1) | instskip(SKIP_1) | instid1(SALU_CYCLE_1)
	v_cmp_ne_u32_e32 vcc_lo, 0, v2
	s_and_b32 s14, s13, vcc_lo
	s_and_saveexec_b32 s13, s14
	s_cbranch_execz .LBB2_2479
; %bb.2458:                             ;   in Loop: Header=BB2_2404 Depth=2
	s_and_saveexec_b32 s14, s4
	s_delay_alu instid0(SALU_CYCLE_1)
	s_xor_b32 s14, exec_lo, s14
	s_cbranch_execz .LBB2_2476
; %bb.2459:                             ;   in Loop: Header=BB2_2404 Depth=2
	s_and_saveexec_b32 s15, s1
	s_cbranch_execz .LBB2_2475
; %bb.2460:                             ;   in Loop: Header=BB2_2404 Depth=2
	s_mov_b32 s17, exec_lo
	s_mov_b32 s16, exec_lo
	v_mbcnt_lo_u32_b32 v2, s17, 0
	s_waitcnt vmcnt(0) lgkmcnt(0)
	s_waitcnt_vscnt null, 0x0
	buffer_gl1_inv
	buffer_gl0_inv
	v_cmpx_eq_u32_e32 0, v2
	s_cbranch_execz .LBB2_2462
; %bb.2461:                             ;   in Loop: Header=BB2_2404 Depth=2
	s_bcnt1_i32_b32 s17, s17
	s_delay_alu instid0(SALU_CYCLE_1)
	v_mov_b32_e32 v2, s17
	ds_add_u64 v0, v[2:3]
	s_cbranch_execz .LBB2_2462
; %bb.7706:
	s_getpc_b64 s[48:49]
.Lpost_getpc117:
	s_add_u32 s48, s48, (.LBB2_7196-.Lpost_getpc117)&4294967295
	s_addc_u32 s49, s49, (.LBB2_7196-.Lpost_getpc117)>>32
	s_setpc_b64 s[48:49]
.LBB2_2462:                             ;   in Loop: Header=BB2_2404 Depth=2
	s_or_b32 exec_lo, exec_lo, s16
	s_cbranch_execz .LBB2_2463
; %bb.7708:
	s_getpc_b64 s[48:49]
.Lpost_getpc118:
	s_add_u32 s48, s48, (.LBB2_7168-.Lpost_getpc118)&4294967295
	s_addc_u32 s49, s49, (.LBB2_7168-.Lpost_getpc118)>>32
	s_setpc_b64 s[48:49]
.LBB2_2463:                             ;   in Loop: Header=BB2_2404 Depth=2
	ds_load_b64 v[9:10], v0
	v_add_co_u32 v32, vcc_lo, v32, v83
	v_add_co_ci_u32_e32 v33, vcc_lo, 0, v33, vcc_lo
	s_mov_b32 s16, exec_lo
	s_waitcnt lgkmcnt(0)
	s_delay_alu instid0(VALU_DEP_1)
	v_cmpx_lt_u64_e64 v[9:10], v[32:33]
	s_cbranch_execz .LBB2_2474
; %bb.2464:                             ;   in Loop: Header=BB2_2404 Depth=2
	s_mov_b32 s17, 0
	s_mov_b32 s34, 0
                                        ; implicit-def: $sgpr30
                                        ; implicit-def: $sgpr31
	s_branch .LBB2_2466
.LBB2_2465:                             ;   in Loop: Header=BB2_2466 Depth=3
	s_or_b32 exec_lo, exec_lo, s36
	s_delay_alu instid0(SALU_CYCLE_1) | instskip(NEXT) | instid1(SALU_CYCLE_1)
	s_and_b32 vcc_lo, exec_lo, vcc_lo
	s_or_b32 s17, vcc_lo, s17
	s_and_not1_b32 vcc_lo, s30, exec_lo
	s_and_b32 s30, s31, exec_lo
	s_delay_alu instid0(SALU_CYCLE_1)
	s_or_b32 s30, vcc_lo, s30
	s_and_not1_b32 exec_lo, exec_lo, s17
	s_cbranch_execz .LBB2_2472
.LBB2_2466:                             ;   Parent Loop BB2_51 Depth=1
                                        ;     Parent Loop BB2_2404 Depth=2
                                        ; =>    This Inner Loop Header: Depth=3
	s_add_i32 s34, s34, 1
                                        ; implicit-def: $sgpr36
	s_delay_alu instid0(SALU_CYCLE_1) | instskip(SKIP_1) | instid1(SALU_CYCLE_1)
	s_cmpk_lg_i32 s34, 0x2710
	s_cselect_b32 s35, -1, 0
	s_and_b32 vcc_lo, exec_lo, s35
	s_cbranch_vccz .LBB2_2470
.LBB2_2467:                             ;   in Loop: Header=BB2_2466 Depth=3
	s_and_not1_b32 s31, s31, exec_lo
	s_and_b32 s36, s36, exec_lo
	s_mov_b32 vcc_lo, -1
	s_or_b32 s31, s31, s36
	s_and_saveexec_b32 s36, s35
	s_cbranch_execz .LBB2_2465
; %bb.2468:                             ;   in Loop: Header=BB2_2466 Depth=3
	s_sleep 1
	s_cbranch_execz .LBB2_2469
; %bb.7710:
	s_getpc_b64 s[48:49]
.Lpost_getpc119:
	s_add_u32 s48, s48, (.LBB2_7256-.Lpost_getpc119)&4294967295
	s_addc_u32 s49, s49, (.LBB2_7256-.Lpost_getpc119)>>32
	s_setpc_b64 s[48:49]
.LBB2_2469:                             ;   in Loop: Header=BB2_2466 Depth=3
	ds_load_b64 v[9:10], v0
	s_and_not1_b32 s31, s31, exec_lo
	s_waitcnt lgkmcnt(0)
	v_cmp_ge_u64_e32 vcc_lo, v[9:10], v[32:33]
	s_or_not1_b32 vcc_lo, vcc_lo, exec_lo
	s_branch .LBB2_2465
.LBB2_2470:                             ;   in Loop: Header=BB2_2466 Depth=3
	s_cbranch_execz .LBB2_2471
; %bb.7712:
	s_getpc_b64 s[48:49]
.Lpost_getpc120:
	s_add_u32 s48, s48, (.LBB2_7270-.Lpost_getpc120)&4294967295
	s_addc_u32 s49, s49, (.LBB2_7270-.Lpost_getpc120)>>32
	s_setpc_b64 s[48:49]
.LBB2_2471:                             ;   in Loop: Header=BB2_2466 Depth=3
	ds_load_b64 v[9:10], v0
	s_and_not1_b32 s35, s35, exec_lo
	s_mov_b32 s34, 0
	s_mov_b32 s36, -1
	s_waitcnt lgkmcnt(0)
	flat_load_b32 v2, v[9:10] glc
	s_waitcnt vmcnt(0) lgkmcnt(0)
	buffer_gl1_inv
	buffer_gl0_inv
	v_cmp_eq_u32_e32 vcc_lo, 0, v2
	s_and_b32 vcc_lo, vcc_lo, exec_lo
	s_delay_alu instid0(SALU_CYCLE_1)
	s_or_b32 s35, s35, vcc_lo
	s_branch .LBB2_2467
.LBB2_2472:                             ;   in Loop: Header=BB2_2404 Depth=2
	s_or_b32 exec_lo, exec_lo, s17
	s_and_saveexec_b32 s17, s30
	s_delay_alu instid0(SALU_CYCLE_1)
	s_xor_b32 s17, exec_lo, s17
	s_cbranch_execz .LBB2_2474
; %bb.2473:                             ;   in Loop: Header=BB2_2404 Depth=2
	ds_store_b32 v0, v119
	s_cbranch_execz .LBB2_2474
; %bb.7714:
	s_getpc_b64 s[48:49]
.Lpost_getpc121:
	s_add_u32 s48, s48, (.LBB2_7436-.Lpost_getpc121)&4294967295
	s_addc_u32 s49, s49, (.LBB2_7436-.Lpost_getpc121)>>32
	s_setpc_b64 s[48:49]
.LBB2_2474:                             ;   in Loop: Header=BB2_2404 Depth=2
	s_or_b32 exec_lo, exec_lo, s16
	;;#ASMSTART
	s_wakeup
	;;#ASMEND
.LBB2_2475:                             ;   in Loop: Header=BB2_2404 Depth=2
	s_or_b32 exec_lo, exec_lo, s15
.LBB2_2476:                             ;   in Loop: Header=BB2_2404 Depth=2
	s_and_not1_saveexec_b32 s14, s14
	s_cbranch_execz .LBB2_2478
; %bb.2477:                             ;   in Loop: Header=BB2_2404 Depth=2
	s_waitcnt vmcnt(0) lgkmcnt(0)
	s_waitcnt_vscnt null, 0x0
	buffer_gl1_inv
	buffer_gl0_inv
	s_barrier
.LBB2_2478:                             ;   in Loop: Header=BB2_2404 Depth=2
	s_or_b32 exec_lo, exec_lo, s14
.LBB2_2479:                             ;   in Loop: Header=BB2_2404 Depth=2
	s_delay_alu instid0(SALU_CYCLE_1)
	s_or_b32 exec_lo, exec_lo, s13
	s_cbranch_execz .LBB2_2480
; %bb.7716:
	s_getpc_b64 s[48:49]
.Lpost_getpc122:
	s_add_u32 s48, s48, (.LBB2_7062-.Lpost_getpc122)&4294967295
	s_addc_u32 s49, s49, (.LBB2_7062-.Lpost_getpc122)>>32
	s_setpc_b64 s[48:49]
.LBB2_2480:                             ;   in Loop: Header=BB2_2404 Depth=2
	ds_load_b64 v[9:10], v0
	v_mov_b32_e32 v55, 0
	s_waitcnt lgkmcnt(0)
	v_cmp_eq_u64_e32 vcc_lo, 0, v[9:10]
	s_or_b32 s13, vcc_lo, vcc_lo
	s_delay_alu instid0(SALU_CYCLE_1)
	s_and_b32 vcc_lo, exec_lo, s13
	s_cbranch_vccz .LBB2_2481
; %bb.7718:                             ;   in Loop: Header=BB2_2404 Depth=2
	s_getpc_b64 s[48:49]
.Lpost_getpc123:
	s_add_u32 s48, s48, (.LBB2_6247-.Lpost_getpc123)&4294967295
	s_addc_u32 s49, s49, (.LBB2_6247-.Lpost_getpc123)>>32
	s_setpc_b64 s[48:49]
.LBB2_2481:                             ;   in Loop: Header=BB2_2404 Depth=2
	v_cmp_eq_u32_e32 vcc_lo, 0, v8
	s_cbranch_execz .LBB2_2482
; %bb.7720:
	s_getpc_b64 s[48:49]
.Lpost_getpc124:
	s_add_u32 s48, s48, (.LBB2_7124-.Lpost_getpc124)&4294967295
	s_addc_u32 s49, s49, (.LBB2_7124-.Lpost_getpc124)>>32
	s_setpc_b64 s[48:49]
.LBB2_2482:                             ;   in Loop: Header=BB2_2404 Depth=2
	ds_load_b64 v[8:9], v0
	v_cndmask_b32_e32 v55, 0, v54, vcc_lo
	s_waitcnt lgkmcnt(0)
	v_cmp_ne_u64_e64 s13, 0, v[8:9]
	v_readfirstlane_b32 s30, v8
	s_delay_alu instid0(VALU_DEP_2)
	s_and_b32 vcc_lo, exec_lo, s13
	s_cbranch_vccz .LBB2_3214
; %bb.2483:                             ;   in Loop: Header=BB2_2404 Depth=2
	s_mov_b32 s13, -1
	s_and_saveexec_b32 s14, s12
	s_cbranch_execz .LBB2_2485
; %bb.2484:                             ;   in Loop: Header=BB2_2404 Depth=2
	ds_load_b32 v2, v0 offset:720
	s_waitcnt lgkmcnt(0)
	v_and_b32_e32 v2, 15, v2
	s_delay_alu instid0(VALU_DEP_1)
	v_cmp_eq_u32_e32 vcc_lo, 0, v2
	s_or_not1_b32 s13, vcc_lo, exec_lo
.LBB2_2485:                             ;   in Loop: Header=BB2_2404 Depth=2
	s_or_b32 exec_lo, exec_lo, s14
	s_and_saveexec_b32 s14, s12
	s_cbranch_execz .LBB2_2487
; %bb.2486:                             ;   in Loop: Header=BB2_2404 Depth=2
	ds_load_b32 v2, v0 offset:784
	s_waitcnt lgkmcnt(0)
	v_and_b32_e32 v2, 15, v2
	s_delay_alu instid0(VALU_DEP_1) | instskip(SKIP_3) | instid1(SALU_CYCLE_1)
	v_cmp_eq_u32_e32 vcc_lo, 0, v2
	s_and_b32 s15, s13, vcc_lo
	s_and_not1_b32 s13, s13, exec_lo
	s_and_b32 s15, s15, exec_lo
	s_or_b32 s13, s13, s15
.LBB2_2487:                             ;   in Loop: Header=BB2_2404 Depth=2
	s_or_b32 exec_lo, exec_lo, s14
	s_xor_b32 s13, s13, -1
	v_dual_mov_b32 v64, 0 :: v_dual_mov_b32 v65, v55
	v_cndmask_b32_e64 v2, 0, 1, s13
	;;#ASMSTART
	;;#ASMEND
	s_delay_alu instid0(VALU_DEP_1)
	v_cmp_ne_u32_e32 vcc_lo, 0, v2
	s_waitcnt vmcnt(0)
	v_mov_b32_e32 v66, v0
	v_mov_b32_e32 v8, v84
	s_mov_b32 s14, -1
	s_cbranch_vccnz .LBB2_3948
; %bb.2488:                             ;   in Loop: Header=BB2_2404 Depth=2
	v_ashrrev_i32_e32 v2, 31, v55
	v_sub_nc_u32_e32 v134, v55, v116
	s_mov_b32 s16, exec_lo
	s_delay_alu instid0(VALU_DEP_2) | instskip(NEXT) | instid1(VALU_DEP_1)
	v_lshrrev_b32_e32 v2, 23, v2
	v_add_nc_u32_e32 v8, v55, v2
	s_delay_alu instid0(VALU_DEP_1) | instskip(SKIP_1) | instid1(VALU_DEP_2)
	v_and_b32_e32 v2, 0xfffffe00, v8
	v_ashrrev_i32_e32 v8, 9, v8
	v_sub_nc_u32_e32 v135, v55, v2
	s_delay_alu instid0(VALU_DEP_1) | instskip(NEXT) | instid1(VALU_DEP_1)
	v_cmp_lt_i32_e64 s13, 15, v135
	v_add_co_ci_u32_e64 v144, vcc_lo, v8, v117, s13
	v_cmpx_lt_i32_e32 15, v134
	s_cbranch_execz .LBB2_3216
; %bb.2489:                             ;   in Loop: Header=BB2_2404 Depth=2
	s_cbranch_execz .LBB2_2490
; %bb.7722:
	s_getpc_b64 s[48:49]
.Lpost_getpc125:
	s_add_u32 s48, s48, (.LBB2_7290-.Lpost_getpc125)&4294967295
	s_addc_u32 s49, s49, (.LBB2_7290-.Lpost_getpc125)>>32
	s_setpc_b64 s[48:49]
.LBB2_2490:                             ;   in Loop: Header=BB2_2404 Depth=2
	ds_load_b128 v[8:11], v0
	s_bitcmp1_b32 s30, 0
	s_mov_b32 s17, 0
	s_cselect_b32 s31, -1, 0
	s_waitcnt lgkmcnt(0)
	v_add_co_u32 v64, vcc_lo, v8, v116
	v_add_co_ci_u32_e32 v65, vcc_lo, v9, v118, vcc_lo
	v_add_co_u32 v66, vcc_lo, v10, v116
	v_add_co_ci_u32_e32 v67, vcc_lo, v11, v118, vcc_lo
	s_delay_alu instid0(VALU_DEP_3) | instskip(NEXT) | instid1(VALU_DEP_2)
	v_dual_mov_b32 v69, v65 :: v_dual_mov_b32 v68, v64
	v_dual_mov_b32 v71, v67 :: v_dual_mov_b32 v70, v66
.LBB2_2491:                             ;   Parent Loop BB2_51 Depth=1
                                        ;     Parent Loop BB2_2404 Depth=2
                                        ; =>    This Loop Header: Depth=3
                                        ;         Child Loop BB2_2956 Depth 4
	global_load_b128 v[12:15], v[68:69], off slc dlc
	global_load_b128 v[8:11], v[70:71], off slc dlc
	s_and_b32 vcc_lo, exec_lo, s31
	s_waitcnt vmcnt(1)
	v_and_b32_e32 v145, 0xff, v12
	s_delay_alu instid0(VALU_DEP_1)
	v_cmp_lt_i16_e64 s14, 0x7f, v145
	s_cbranch_vccz .LBB2_2501
; %bb.2492:                             ;   in Loop: Header=BB2_2491 Depth=3
	s_mov_b32 s15, 0
                                        ; implicit-def: $sgpr34
	s_delay_alu instid0(VALU_DEP_1) | instskip(NEXT) | instid1(SALU_CYCLE_1)
	s_and_saveexec_b32 vcc_lo, s14
	s_xor_b32 s14, exec_lo, vcc_lo
	s_cbranch_execnz .LBB2_2958
; %bb.2493:                             ;   in Loop: Header=BB2_2491 Depth=3
	s_or_saveexec_b32 s14, s14
	v_mov_b32_e32 v146, s34
	s_xor_b32 exec_lo, exec_lo, s14
	s_cbranch_execnz .LBB2_2961
.LBB2_2494:                             ;   in Loop: Header=BB2_2491 Depth=3
	s_or_b32 exec_lo, exec_lo, s14
	s_and_saveexec_b32 s14, s15
	s_cbranch_execz .LBB2_2496
.LBB2_2495:                             ;   in Loop: Header=BB2_2491 Depth=3
	v_bfe_u32 v149, v12, 3, 4
	v_lshlrev_b32_e32 v150, 24, v12
	s_delay_alu instid0(VALU_DEP_2) | instskip(SKIP_1) | instid1(VALU_DEP_1)
	v_cmp_eq_u32_e32 vcc_lo, 0, v149
	v_and_b32_e32 v146, 7, v12
	v_clz_i32_u32_e32 v147, v146
	s_delay_alu instid0(VALU_DEP_1) | instskip(NEXT) | instid1(VALU_DEP_1)
	v_min_u32_e32 v147, 32, v147
	v_subrev_nc_u32_e32 v148, 28, v147
	v_sub_nc_u32_e32 v147, 29, v147
	s_delay_alu instid0(VALU_DEP_1) | instskip(NEXT) | instid1(VALU_DEP_1)
	v_dual_cndmask_b32 v147, v149, v147 :: v_dual_lshlrev_b32 v148, v148, v12
	v_and_b32_e32 v148, 7, v148
	s_delay_alu instid0(VALU_DEP_2) | instskip(NEXT) | instid1(VALU_DEP_2)
	v_lshl_add_u32 v147, v147, 23, 0x3b800000
	v_cndmask_b32_e32 v146, v146, v148, vcc_lo
	v_and_b32_e32 v148, 0x80000000, v150
	s_delay_alu instid0(VALU_DEP_2) | instskip(NEXT) | instid1(VALU_DEP_1)
	v_lshlrev_b32_e32 v146, 20, v146
	v_or3_b32 v146, v148, v147, v146
.LBB2_2496:                             ;   in Loop: Header=BB2_2491 Depth=3
	s_or_b32 exec_lo, exec_lo, s14
	s_waitcnt vmcnt(0)
	v_and_b32_e32 v148, 0xff, v8
	s_mov_b32 s14, 0
	s_mov_b32 s34, exec_lo
                                        ; implicit-def: $sgpr15
	s_delay_alu instid0(VALU_DEP_1)
	v_cmpx_lt_i16_e64 0x7f, v148
	s_xor_b32 s34, exec_lo, s34
	s_cbranch_execnz .LBB2_2962
; %bb.2497:                             ;   in Loop: Header=BB2_2491 Depth=3
	s_or_saveexec_b32 s34, s34
	v_mov_b32_e32 v147, s15
	s_xor_b32 exec_lo, exec_lo, s34
	s_cbranch_execnz .LBB2_2965
.LBB2_2498:                             ;   in Loop: Header=BB2_2491 Depth=3
	s_or_b32 exec_lo, exec_lo, s34
	s_and_saveexec_b32 s15, s14
	s_cbranch_execz .LBB2_2500
.LBB2_2499:                             ;   in Loop: Header=BB2_2491 Depth=3
	v_and_b32_e32 v147, 7, v8
	v_bfe_u32 v150, v8, 3, 4
	v_lshlrev_b32_e32 v151, 24, v8
	s_delay_alu instid0(VALU_DEP_3) | instskip(NEXT) | instid1(VALU_DEP_3)
	v_clz_i32_u32_e32 v148, v147
	v_cmp_eq_u32_e32 vcc_lo, 0, v150
	s_delay_alu instid0(VALU_DEP_2) | instskip(NEXT) | instid1(VALU_DEP_1)
	v_min_u32_e32 v148, 32, v148
	v_subrev_nc_u32_e32 v149, 28, v148
	v_sub_nc_u32_e32 v148, 29, v148
	s_delay_alu instid0(VALU_DEP_2) | instskip(NEXT) | instid1(VALU_DEP_1)
	v_lshlrev_b32_e32 v149, v149, v8
	v_dual_cndmask_b32 v148, v150, v148 :: v_dual_and_b32 v149, 7, v149
	s_delay_alu instid0(VALU_DEP_1) | instskip(NEXT) | instid1(VALU_DEP_2)
	v_lshl_add_u32 v148, v148, 23, 0x3b800000
	v_cndmask_b32_e32 v147, v147, v149, vcc_lo
	v_and_b32_e32 v149, 0x80000000, v151
	s_delay_alu instid0(VALU_DEP_2) | instskip(NEXT) | instid1(VALU_DEP_1)
	v_lshlrev_b32_e32 v147, 20, v147
	v_or3_b32 v147, v149, v148, v147
.LBB2_2500:                             ;   in Loop: Header=BB2_2491 Depth=3
	s_or_b32 exec_lo, exec_lo, s15
	s_delay_alu instid0(VALU_DEP_1) | instskip(SKIP_1) | instid1(VALU_DEP_1)
	v_dual_max_f32 v147, v147, v147 :: v_dual_max_f32 v146, v146, v146
	s_mov_b32 s14, 0
	v_max_f32_e32 v146, v146, v147
	s_branch .LBB2_2502
.LBB2_2501:                             ;   in Loop: Header=BB2_2491 Depth=3
	s_mov_b32 s14, -1
                                        ; implicit-def: $vgpr146
.LBB2_2502:                             ;   in Loop: Header=BB2_2491 Depth=3
	s_delay_alu instid0(SALU_CYCLE_1)
	s_and_b32 vcc_lo, exec_lo, s14
	s_cbranch_vccz .LBB2_2512
; %bb.2503:                             ;   in Loop: Header=BB2_2491 Depth=3
	s_mov_b32 s14, 0
	s_mov_b32 s34, exec_lo
                                        ; implicit-def: $sgpr15
	v_cmpx_lt_i16_e64 0x7f, v145
	s_xor_b32 s34, exec_lo, s34
	s_cbranch_execnz .LBB2_2966
; %bb.2504:                             ;   in Loop: Header=BB2_2491 Depth=3
	s_or_saveexec_b32 s34, s34
	v_mov_b32_e32 v146, s15
	s_xor_b32 exec_lo, exec_lo, s34
	s_cbranch_execnz .LBB2_2969
.LBB2_2505:                             ;   in Loop: Header=BB2_2491 Depth=3
	s_or_b32 exec_lo, exec_lo, s34
	s_and_saveexec_b32 s15, s14
	s_cbranch_execz .LBB2_2507
.LBB2_2506:                             ;   in Loop: Header=BB2_2491 Depth=3
	v_bfe_u32 v148, v12, 3, 4
	v_lshlrev_b32_e32 v149, 24, v12
	s_delay_alu instid0(VALU_DEP_2) | instskip(SKIP_1) | instid1(VALU_DEP_1)
	v_cmp_eq_u32_e32 vcc_lo, 0, v148
	v_and_b32_e32 v145, 7, v12
	v_clz_i32_u32_e32 v146, v145
	s_delay_alu instid0(VALU_DEP_1) | instskip(NEXT) | instid1(VALU_DEP_1)
	v_min_u32_e32 v146, 32, v146
	v_subrev_nc_u32_e32 v147, 28, v146
	v_sub_nc_u32_e32 v146, 29, v146
	s_delay_alu instid0(VALU_DEP_1) | instskip(NEXT) | instid1(VALU_DEP_1)
	v_dual_cndmask_b32 v146, v148, v146 :: v_dual_lshlrev_b32 v147, v147, v12
	v_and_b32_e32 v147, 7, v147
	s_delay_alu instid0(VALU_DEP_2) | instskip(NEXT) | instid1(VALU_DEP_2)
	v_lshl_add_u32 v146, v146, 23, 0x3b800000
	v_cndmask_b32_e32 v145, v145, v147, vcc_lo
	v_and_b32_e32 v147, 0x80000000, v149
	s_delay_alu instid0(VALU_DEP_2) | instskip(NEXT) | instid1(VALU_DEP_1)
	v_lshlrev_b32_e32 v145, 20, v145
	v_or3_b32 v146, v147, v146, v145
.LBB2_2507:                             ;   in Loop: Header=BB2_2491 Depth=3
	s_or_b32 exec_lo, exec_lo, s15
	s_waitcnt vmcnt(0)
	v_and_b32_e32 v147, 0xff, v8
	s_mov_b32 s14, 0
	s_mov_b32 s34, exec_lo
                                        ; implicit-def: $sgpr15
	s_delay_alu instid0(VALU_DEP_1)
	v_cmpx_lt_i16_e64 0x7f, v147
	s_xor_b32 s34, exec_lo, s34
	s_cbranch_execnz .LBB2_2970
; %bb.2508:                             ;   in Loop: Header=BB2_2491 Depth=3
	s_or_saveexec_b32 s34, s34
	v_mov_b32_e32 v145, s15
	s_xor_b32 exec_lo, exec_lo, s34
	s_cbranch_execnz .LBB2_2973
.LBB2_2509:                             ;   in Loop: Header=BB2_2491 Depth=3
	s_or_b32 exec_lo, exec_lo, s34
	s_and_saveexec_b32 s15, s14
	s_cbranch_execz .LBB2_2511
.LBB2_2510:                             ;   in Loop: Header=BB2_2491 Depth=3
	v_and_b32_e32 v145, 7, v8
	v_bfe_u32 v149, v8, 3, 4
	v_lshlrev_b32_e32 v150, 24, v8
	s_delay_alu instid0(VALU_DEP_3) | instskip(NEXT) | instid1(VALU_DEP_3)
	v_clz_i32_u32_e32 v147, v145
	v_cmp_eq_u32_e32 vcc_lo, 0, v149
	s_delay_alu instid0(VALU_DEP_2) | instskip(NEXT) | instid1(VALU_DEP_1)
	v_min_u32_e32 v147, 32, v147
	v_subrev_nc_u32_e32 v148, 28, v147
	v_sub_nc_u32_e32 v147, 29, v147
	s_delay_alu instid0(VALU_DEP_1) | instskip(NEXT) | instid1(VALU_DEP_1)
	v_dual_cndmask_b32 v147, v149, v147 :: v_dual_lshlrev_b32 v148, v148, v8
	v_and_b32_e32 v148, 7, v148
	s_delay_alu instid0(VALU_DEP_2) | instskip(NEXT) | instid1(VALU_DEP_2)
	v_lshl_add_u32 v147, v147, 23, 0x3b800000
	v_dual_cndmask_b32 v145, v145, v148 :: v_dual_and_b32 v148, 0x80000000, v150
	s_delay_alu instid0(VALU_DEP_1) | instskip(NEXT) | instid1(VALU_DEP_1)
	v_lshlrev_b32_e32 v145, 20, v145
	v_or3_b32 v145, v148, v147, v145
.LBB2_2511:                             ;   in Loop: Header=BB2_2491 Depth=3
	s_or_b32 exec_lo, exec_lo, s15
	s_delay_alu instid0(VALU_DEP_1) | instskip(NEXT) | instid1(VALU_DEP_1)
	v_dual_max_f32 v145, v145, v145 :: v_dual_max_f32 v146, v146, v146
	v_min_f32_e32 v146, v146, v145
.LBB2_2512:                             ;   in Loop: Header=BB2_2491 Depth=3
	s_delay_alu instid0(VALU_DEP_1) | instskip(NEXT) | instid1(VALU_DEP_1)
	v_and_b32_e32 v145, 0x7f800000, v146
	v_cmp_ne_u32_e32 vcc_lo, 0x7f800000, v145
	v_mov_b32_e32 v145, 0x80
	s_and_saveexec_b32 s15, vcc_lo
	s_cbranch_execz .LBB2_2520
; %bb.2513:                             ;   in Loop: Header=BB2_2491 Depth=3
	v_mov_b32_e32 v145, 0
	s_mov_b32 s34, exec_lo
	v_cmpx_ne_u32_e32 0, v146
	s_cbranch_execz .LBB2_2519
; %bb.2514:                             ;   in Loop: Header=BB2_2491 Depth=3
	v_bfe_u32 v145, v146, 23, 8
	s_delay_alu instid0(VALU_DEP_1) | instskip(SKIP_1) | instid1(VALU_DEP_2)
	v_sub_nc_u32_e32 v148, 0x78, v145
	v_cmp_gt_u32_e32 vcc_lo, 0x79, v145
	v_dual_cndmask_b32 v148, 0, v148 :: v_dual_and_b32 v147, 0x7fffff, v146
	s_delay_alu instid0(VALU_DEP_1) | instskip(SKIP_2) | instid1(VALU_DEP_4)
	v_or_b32_e32 v149, 0x800000, v147
	v_cmp_eq_u32_e32 vcc_lo, 0, v145
	v_add_nc_u32_e32 v145, 0xffffff89, v145
	v_cndmask_b32_e64 v148, v148, 0x77, vcc_lo
	s_delay_alu instid0(VALU_DEP_2) | instskip(SKIP_1) | instid1(VALU_DEP_3)
	v_cndmask_b32_e64 v145, v145, 0xffffff8a, vcc_lo
	v_cndmask_b32_e32 v147, v149, v147, vcc_lo
	v_lshl_add_u32 v149, 0x100000, v148, -1
	v_lshlrev_b32_e64 v160, v148, 0x80000
	s_delay_alu instid0(VALU_DEP_3) | instskip(SKIP_1) | instid1(VALU_DEP_4)
	v_lshrrev_b32_e32 v150, v148, v147
	v_add_nc_u32_e32 v148, v148, v145
	v_and_b32_e32 v147, v149, v147
	s_delay_alu instid0(VALU_DEP_3) | instskip(NEXT) | instid1(VALU_DEP_2)
	v_bfe_u32 v151, v150, 20, 1
	v_cmp_eq_u32_e64 s14, v147, v160
	s_delay_alu instid0(VALU_DEP_2) | instskip(NEXT) | instid1(VALU_DEP_1)
	v_add_nc_u32_e32 v149, -1, v151
	v_cndmask_b32_e64 v147, 0, v149, s14
	v_lshrrev_b32_e32 v149, 23, v150
	s_mov_b32 s14, exec_lo
	s_delay_alu instid0(VALU_DEP_2) | instskip(NEXT) | instid1(VALU_DEP_2)
	v_add_nc_u32_e32 v147, v147, v150
	v_xor_b32_e32 v149, 1, v149
	s_delay_alu instid0(VALU_DEP_2) | instskip(NEXT) | instid1(VALU_DEP_1)
	v_and_b32_e32 v145, 0xfffff, v147
	v_add_nc_u32_e32 v147, v145, v150
                                        ; implicit-def: $vgpr145
	s_delay_alu instid0(VALU_DEP_3)
	v_cmpx_ne_u32_e64 v148, v149
	s_xor_b32 s14, exec_lo, s14
; %bb.2515:                             ;   in Loop: Header=BB2_2491 Depth=3
	s_delay_alu instid0(VALU_DEP_2) | instskip(SKIP_2) | instid1(VALU_DEP_2)
	v_cmp_lt_u32_e32 vcc_lo, 0xffffff, v147
	v_sub_nc_u32_e32 v145, v148, v149
	v_cndmask_b32_e64 v148, 0, 1, vcc_lo
	v_add_co_ci_u32_e32 v145, vcc_lo, 0, v145, vcc_lo
	s_delay_alu instid0(VALU_DEP_2)
	v_lshrrev_b32_e32 v147, v148, v147
; %bb.2516:                             ;   in Loop: Header=BB2_2491 Depth=3
	s_and_not1_saveexec_b32 s14, s14
; %bb.2517:                             ;   in Loop: Header=BB2_2491 Depth=3
	s_delay_alu instid0(VALU_DEP_1)
	v_bfe_u32 v145, v147, 23, 1
; %bb.2518:                             ;   in Loop: Header=BB2_2491 Depth=3
	s_or_b32 exec_lo, exec_lo, s14
	v_lshrrev_b32_e32 v147, 20, v147
	s_delay_alu instid0(VALU_DEP_2) | instskip(SKIP_2) | instid1(VALU_DEP_2)
	v_cmp_gt_i32_e32 vcc_lo, 16, v145
	v_lshrrev_b32_e32 v146, 24, v146
	v_min_i32_e32 v148, 15, v145
	v_dual_cndmask_b32 v147, 7, v147 :: v_dual_and_b32 v146, 0x80, v146
	s_delay_alu instid0(VALU_DEP_1) | instskip(SKIP_1) | instid1(VALU_DEP_2)
	v_or_b32_e32 v145, v145, v147
	v_and_b32_e32 v149, 7, v147
	v_cmp_ne_u32_e32 vcc_lo, 0, v145
	v_lshlrev_b32_e32 v148, 3, v148
	s_delay_alu instid0(VALU_DEP_1) | instskip(NEXT) | instid1(VALU_DEP_1)
	v_or3_b32 v146, v148, v146, v149
	v_cndmask_b32_e32 v145, 0, v146, vcc_lo
.LBB2_2519:                             ;   in Loop: Header=BB2_2491 Depth=3
	s_or_b32 exec_lo, exec_lo, s34
.LBB2_2520:                             ;   in Loop: Header=BB2_2491 Depth=3
	s_delay_alu instid0(SALU_CYCLE_1) | instskip(SKIP_4) | instid1(VALU_DEP_2)
	s_or_b32 exec_lo, exec_lo, s15
	v_lshrrev_b16 v147, 8, v12
	s_waitcnt vmcnt(0)
	v_lshrrev_b16 v146, 8, v8
	s_and_b32 vcc_lo, exec_lo, s31
	v_cmp_lt_i16_e64 s14, 0x7f, v147
	s_cbranch_vccz .LBB2_2530
; %bb.2521:                             ;   in Loop: Header=BB2_2491 Depth=3
	s_mov_b32 s15, 0
                                        ; implicit-def: $sgpr34
	s_delay_alu instid0(VALU_DEP_1) | instskip(NEXT) | instid1(SALU_CYCLE_1)
	s_and_saveexec_b32 vcc_lo, s14
	s_xor_b32 s14, exec_lo, vcc_lo
	s_cbranch_execnz .LBB2_2974
; %bb.2522:                             ;   in Loop: Header=BB2_2491 Depth=3
	s_or_saveexec_b32 s14, s14
	v_mov_b32_e32 v148, s34
	s_xor_b32 exec_lo, exec_lo, s14
	s_cbranch_execnz .LBB2_2977
.LBB2_2523:                             ;   in Loop: Header=BB2_2491 Depth=3
	s_or_b32 exec_lo, exec_lo, s14
	s_and_saveexec_b32 s14, s15
	s_cbranch_execz .LBB2_2525
.LBB2_2524:                             ;   in Loop: Header=BB2_2491 Depth=3
	v_and_b32_e32 v148, 0xffff, v147
	s_delay_alu instid0(VALU_DEP_1) | instskip(NEXT) | instid1(VALU_DEP_1)
	v_and_b32_e32 v149, 7, v148
	v_clz_i32_u32_e32 v150, v149
	s_delay_alu instid0(VALU_DEP_1) | instskip(NEXT) | instid1(VALU_DEP_1)
	v_min_u32_e32 v150, 32, v150
	v_subrev_nc_u32_e32 v151, 28, v150
	v_sub_nc_u32_e32 v150, 29, v150
	s_delay_alu instid0(VALU_DEP_2) | instskip(SKIP_1) | instid1(VALU_DEP_2)
	v_lshlrev_b32_e32 v151, v151, v148
	v_bfe_u32 v148, v148, 3, 4
	v_and_b32_e32 v151, 7, v151
	s_delay_alu instid0(VALU_DEP_2) | instskip(SKIP_1) | instid1(VALU_DEP_3)
	v_cmp_eq_u32_e32 vcc_lo, 0, v148
	v_cndmask_b32_e32 v148, v148, v150, vcc_lo
	v_dual_cndmask_b32 v149, v149, v151 :: v_dual_lshlrev_b32 v160, 16, v12
	s_delay_alu instid0(VALU_DEP_2) | instskip(NEXT) | instid1(VALU_DEP_2)
	v_lshl_add_u32 v148, v148, 23, 0x3b800000
	v_and_b32_e32 v150, 0x80000000, v160
	s_delay_alu instid0(VALU_DEP_3) | instskip(NEXT) | instid1(VALU_DEP_1)
	v_lshlrev_b32_e32 v149, 20, v149
	v_or3_b32 v148, v150, v148, v149
.LBB2_2525:                             ;   in Loop: Header=BB2_2491 Depth=3
	s_or_b32 exec_lo, exec_lo, s14
	s_mov_b32 s14, 0
	s_mov_b32 s34, exec_lo
                                        ; implicit-def: $sgpr15
	v_cmpx_lt_i16_e64 0x7f, v146
	s_xor_b32 s34, exec_lo, s34
	s_cbranch_execnz .LBB2_2978
; %bb.2526:                             ;   in Loop: Header=BB2_2491 Depth=3
	s_or_saveexec_b32 s34, s34
	v_mov_b32_e32 v149, s15
	s_xor_b32 exec_lo, exec_lo, s34
	s_cbranch_execnz .LBB2_2981
.LBB2_2527:                             ;   in Loop: Header=BB2_2491 Depth=3
	s_or_b32 exec_lo, exec_lo, s34
	s_and_saveexec_b32 s15, s14
	s_cbranch_execz .LBB2_2529
.LBB2_2528:                             ;   in Loop: Header=BB2_2491 Depth=3
	v_and_b32_e32 v149, 0xffff, v146
	v_lshlrev_b32_e32 v161, 16, v8
	s_delay_alu instid0(VALU_DEP_2) | instskip(NEXT) | instid1(VALU_DEP_1)
	v_and_b32_e32 v150, 7, v149
	v_clz_i32_u32_e32 v151, v150
	s_delay_alu instid0(VALU_DEP_1) | instskip(NEXT) | instid1(VALU_DEP_1)
	v_min_u32_e32 v151, 32, v151
	v_subrev_nc_u32_e32 v160, 28, v151
	v_sub_nc_u32_e32 v151, 29, v151
	s_delay_alu instid0(VALU_DEP_2) | instskip(SKIP_1) | instid1(VALU_DEP_2)
	v_lshlrev_b32_e32 v160, v160, v149
	v_bfe_u32 v149, v149, 3, 4
	v_and_b32_e32 v160, 7, v160
	s_delay_alu instid0(VALU_DEP_2) | instskip(NEXT) | instid1(VALU_DEP_2)
	v_cmp_eq_u32_e32 vcc_lo, 0, v149
	v_dual_cndmask_b32 v149, v149, v151 :: v_dual_cndmask_b32 v150, v150, v160
	v_and_b32_e32 v151, 0x80000000, v161
	s_delay_alu instid0(VALU_DEP_2) | instskip(NEXT) | instid1(VALU_DEP_3)
	v_lshl_add_u32 v149, v149, 23, 0x3b800000
	v_lshlrev_b32_e32 v150, 20, v150
	s_delay_alu instid0(VALU_DEP_1)
	v_or3_b32 v149, v151, v149, v150
.LBB2_2529:                             ;   in Loop: Header=BB2_2491 Depth=3
	s_or_b32 exec_lo, exec_lo, s15
	s_delay_alu instid0(VALU_DEP_1) | instskip(SKIP_1) | instid1(VALU_DEP_1)
	v_dual_max_f32 v149, v149, v149 :: v_dual_max_f32 v148, v148, v148
	s_mov_b32 s14, 0
	v_max_f32_e32 v148, v148, v149
	s_branch .LBB2_2531
.LBB2_2530:                             ;   in Loop: Header=BB2_2491 Depth=3
	s_mov_b32 s14, -1
                                        ; implicit-def: $vgpr148
.LBB2_2531:                             ;   in Loop: Header=BB2_2491 Depth=3
	s_delay_alu instid0(SALU_CYCLE_1)
	s_and_b32 vcc_lo, exec_lo, s14
	s_cbranch_vccz .LBB2_2541
; %bb.2532:                             ;   in Loop: Header=BB2_2491 Depth=3
	s_mov_b32 s14, 0
	s_mov_b32 s34, exec_lo
                                        ; implicit-def: $sgpr15
	v_cmpx_lt_i16_e64 0x7f, v147
	s_xor_b32 s34, exec_lo, s34
	s_cbranch_execnz .LBB2_2982
; %bb.2533:                             ;   in Loop: Header=BB2_2491 Depth=3
	s_or_saveexec_b32 s34, s34
	v_mov_b32_e32 v148, s15
	s_xor_b32 exec_lo, exec_lo, s34
	s_cbranch_execnz .LBB2_2985
.LBB2_2534:                             ;   in Loop: Header=BB2_2491 Depth=3
	s_or_b32 exec_lo, exec_lo, s34
	s_and_saveexec_b32 s15, s14
	s_cbranch_execz .LBB2_2536
.LBB2_2535:                             ;   in Loop: Header=BB2_2491 Depth=3
	v_and_b32_e32 v147, 0xffff, v147
	v_lshlrev_b32_e32 v151, 16, v12
	s_delay_alu instid0(VALU_DEP_2) | instskip(NEXT) | instid1(VALU_DEP_1)
	v_and_b32_e32 v148, 7, v147
	v_clz_i32_u32_e32 v149, v148
	s_delay_alu instid0(VALU_DEP_1) | instskip(NEXT) | instid1(VALU_DEP_1)
	v_min_u32_e32 v149, 32, v149
	v_subrev_nc_u32_e32 v150, 28, v149
	v_sub_nc_u32_e32 v149, 29, v149
	s_delay_alu instid0(VALU_DEP_2) | instskip(SKIP_1) | instid1(VALU_DEP_2)
	v_lshlrev_b32_e32 v150, v150, v147
	v_bfe_u32 v147, v147, 3, 4
	v_and_b32_e32 v150, 7, v150
	s_delay_alu instid0(VALU_DEP_2) | instskip(NEXT) | instid1(VALU_DEP_2)
	v_cmp_eq_u32_e32 vcc_lo, 0, v147
	v_dual_cndmask_b32 v147, v147, v149 :: v_dual_cndmask_b32 v148, v148, v150
	v_and_b32_e32 v149, 0x80000000, v151
	s_delay_alu instid0(VALU_DEP_2) | instskip(NEXT) | instid1(VALU_DEP_3)
	v_lshl_add_u32 v147, v147, 23, 0x3b800000
	v_lshlrev_b32_e32 v148, 20, v148
	s_delay_alu instid0(VALU_DEP_1)
	v_or3_b32 v148, v149, v147, v148
.LBB2_2536:                             ;   in Loop: Header=BB2_2491 Depth=3
	s_or_b32 exec_lo, exec_lo, s15
	s_mov_b32 s14, 0
	s_mov_b32 s34, exec_lo
                                        ; implicit-def: $sgpr15
	v_cmpx_lt_i16_e64 0x7f, v146
	s_xor_b32 s34, exec_lo, s34
	s_cbranch_execnz .LBB2_2986
; %bb.2537:                             ;   in Loop: Header=BB2_2491 Depth=3
	s_or_saveexec_b32 s34, s34
	v_mov_b32_e32 v147, s15
	s_xor_b32 exec_lo, exec_lo, s34
	s_cbranch_execnz .LBB2_2989
.LBB2_2538:                             ;   in Loop: Header=BB2_2491 Depth=3
	s_or_b32 exec_lo, exec_lo, s34
	s_and_saveexec_b32 s15, s14
	s_cbranch_execz .LBB2_2540
.LBB2_2539:                             ;   in Loop: Header=BB2_2491 Depth=3
	v_and_b32_e32 v146, 0xffff, v146
	v_lshlrev_b32_e32 v151, 16, v8
	s_delay_alu instid0(VALU_DEP_2) | instskip(NEXT) | instid1(VALU_DEP_1)
	v_and_b32_e32 v147, 7, v146
	v_clz_i32_u32_e32 v149, v147
	s_delay_alu instid0(VALU_DEP_1) | instskip(NEXT) | instid1(VALU_DEP_1)
	v_min_u32_e32 v149, 32, v149
	v_subrev_nc_u32_e32 v150, 28, v149
	v_sub_nc_u32_e32 v149, 29, v149
	s_delay_alu instid0(VALU_DEP_2) | instskip(SKIP_1) | instid1(VALU_DEP_2)
	v_lshlrev_b32_e32 v150, v150, v146
	v_bfe_u32 v146, v146, 3, 4
	v_and_b32_e32 v150, 7, v150
	s_delay_alu instid0(VALU_DEP_2) | instskip(NEXT) | instid1(VALU_DEP_2)
	v_cmp_eq_u32_e32 vcc_lo, 0, v146
	v_dual_cndmask_b32 v146, v146, v149 :: v_dual_cndmask_b32 v147, v147, v150
	v_and_b32_e32 v149, 0x80000000, v151
	s_delay_alu instid0(VALU_DEP_2) | instskip(NEXT) | instid1(VALU_DEP_3)
	v_lshl_add_u32 v146, v146, 23, 0x3b800000
	v_lshlrev_b32_e32 v147, 20, v147
	s_delay_alu instid0(VALU_DEP_1)
	v_or3_b32 v147, v149, v146, v147
.LBB2_2540:                             ;   in Loop: Header=BB2_2491 Depth=3
	s_or_b32 exec_lo, exec_lo, s15
	s_delay_alu instid0(VALU_DEP_1) | instskip(NEXT) | instid1(VALU_DEP_1)
	v_dual_max_f32 v146, v147, v147 :: v_dual_max_f32 v147, v148, v148
	v_min_f32_e32 v148, v147, v146
.LBB2_2541:                             ;   in Loop: Header=BB2_2491 Depth=3
	s_delay_alu instid0(VALU_DEP_1) | instskip(NEXT) | instid1(VALU_DEP_1)
	v_and_b32_e32 v146, 0x7f800000, v148
	v_cmp_ne_u32_e32 vcc_lo, 0x7f800000, v146
	v_mov_b32_e32 v146, 0x80
	s_and_saveexec_b32 s15, vcc_lo
	s_cbranch_execz .LBB2_2549
; %bb.2542:                             ;   in Loop: Header=BB2_2491 Depth=3
	v_mov_b32_e32 v146, 0
	s_mov_b32 s34, exec_lo
	v_cmpx_ne_u32_e32 0, v148
	s_cbranch_execz .LBB2_2548
; %bb.2543:                             ;   in Loop: Header=BB2_2491 Depth=3
	v_bfe_u32 v146, v148, 23, 8
	v_and_b32_e32 v147, 0x7fffff, v148
	s_delay_alu instid0(VALU_DEP_2) | instskip(SKIP_1) | instid1(VALU_DEP_3)
	v_sub_nc_u32_e32 v149, 0x78, v146
	v_cmp_gt_u32_e32 vcc_lo, 0x79, v146
	v_or_b32_e32 v150, 0x800000, v147
	s_delay_alu instid0(VALU_DEP_3) | instskip(SKIP_2) | instid1(VALU_DEP_3)
	v_cndmask_b32_e32 v149, 0, v149, vcc_lo
	v_cmp_eq_u32_e32 vcc_lo, 0, v146
	v_add_nc_u32_e32 v146, 0xffffff89, v146
	v_cndmask_b32_e64 v149, v149, 0x77, vcc_lo
	v_cndmask_b32_e32 v147, v150, v147, vcc_lo
	s_delay_alu instid0(VALU_DEP_3) | instskip(NEXT) | instid1(VALU_DEP_3)
	v_cndmask_b32_e64 v146, v146, 0xffffff8a, vcc_lo
	v_lshl_add_u32 v150, 0x100000, v149, -1
	s_delay_alu instid0(VALU_DEP_3) | instskip(SKIP_1) | instid1(VALU_DEP_4)
	v_lshrrev_b32_e32 v151, v149, v147
	v_lshlrev_b32_e64 v161, v149, 0x80000
	v_add_nc_u32_e32 v149, v149, v146
	s_delay_alu instid0(VALU_DEP_4) | instskip(NEXT) | instid1(VALU_DEP_4)
	v_and_b32_e32 v147, v150, v147
	v_bfe_u32 v160, v151, 20, 1
	s_delay_alu instid0(VALU_DEP_2) | instskip(NEXT) | instid1(VALU_DEP_2)
	v_cmp_eq_u32_e64 s14, v147, v161
	v_add_nc_u32_e32 v150, -1, v160
	s_delay_alu instid0(VALU_DEP_1) | instskip(SKIP_2) | instid1(VALU_DEP_2)
	v_cndmask_b32_e64 v147, 0, v150, s14
	v_lshrrev_b32_e32 v150, 23, v151
	s_mov_b32 s14, exec_lo
	v_add_nc_u32_e32 v147, v147, v151
	s_delay_alu instid0(VALU_DEP_2) | instskip(NEXT) | instid1(VALU_DEP_2)
	v_xor_b32_e32 v150, 1, v150
	v_and_b32_e32 v146, 0xfffff, v147
	s_delay_alu instid0(VALU_DEP_1) | instskip(NEXT) | instid1(VALU_DEP_3)
	v_add_nc_u32_e32 v147, v146, v151
                                        ; implicit-def: $vgpr146
	v_cmpx_ne_u32_e64 v149, v150
	s_xor_b32 s14, exec_lo, s14
; %bb.2544:                             ;   in Loop: Header=BB2_2491 Depth=3
	s_delay_alu instid0(VALU_DEP_2) | instskip(SKIP_2) | instid1(VALU_DEP_2)
	v_cmp_lt_u32_e32 vcc_lo, 0xffffff, v147
	v_sub_nc_u32_e32 v146, v149, v150
	v_cndmask_b32_e64 v149, 0, 1, vcc_lo
	v_add_co_ci_u32_e32 v146, vcc_lo, 0, v146, vcc_lo
	s_delay_alu instid0(VALU_DEP_2)
	v_lshrrev_b32_e32 v147, v149, v147
; %bb.2545:                             ;   in Loop: Header=BB2_2491 Depth=3
	s_and_not1_saveexec_b32 s14, s14
; %bb.2546:                             ;   in Loop: Header=BB2_2491 Depth=3
	s_delay_alu instid0(VALU_DEP_1)
	v_bfe_u32 v146, v147, 23, 1
; %bb.2547:                             ;   in Loop: Header=BB2_2491 Depth=3
	s_or_b32 exec_lo, exec_lo, s14
	v_lshrrev_b32_e32 v147, 20, v147
	s_delay_alu instid0(VALU_DEP_2) | instskip(SKIP_2) | instid1(VALU_DEP_2)
	v_cmp_gt_i32_e32 vcc_lo, 16, v146
	v_lshrrev_b32_e32 v148, 24, v148
	v_min_i32_e32 v149, 15, v146
	v_dual_cndmask_b32 v147, 7, v147 :: v_dual_and_b32 v148, 0x80, v148
	s_delay_alu instid0(VALU_DEP_1) | instskip(SKIP_1) | instid1(VALU_DEP_2)
	v_or_b32_e32 v146, v146, v147
	v_and_b32_e32 v150, 7, v147
	v_cmp_ne_u32_e32 vcc_lo, 0, v146
	v_lshlrev_b32_e32 v149, 3, v149
	s_delay_alu instid0(VALU_DEP_1) | instskip(NEXT) | instid1(VALU_DEP_1)
	v_or3_b32 v147, v149, v148, v150
	v_cndmask_b32_e32 v146, 0, v147, vcc_lo
.LBB2_2548:                             ;   in Loop: Header=BB2_2491 Depth=3
	s_or_b32 exec_lo, exec_lo, s34
.LBB2_2549:                             ;   in Loop: Header=BB2_2491 Depth=3
	s_delay_alu instid0(SALU_CYCLE_1) | instskip(SKIP_3) | instid1(VALU_DEP_2)
	s_or_b32 exec_lo, exec_lo, s15
	v_lshrrev_b32_e32 v148, 16, v12
	v_lshrrev_b32_e32 v147, 16, v8
	s_and_b32 vcc_lo, exec_lo, s31
	v_and_b32_e32 v149, 0xff, v148
	s_delay_alu instid0(VALU_DEP_1)
	v_cmp_lt_i16_e64 s14, 0x7f, v149
	s_cbranch_vccz .LBB2_2559
; %bb.2550:                             ;   in Loop: Header=BB2_2491 Depth=3
	s_mov_b32 s15, 0
                                        ; implicit-def: $sgpr34
	s_delay_alu instid0(VALU_DEP_1) | instskip(NEXT) | instid1(SALU_CYCLE_1)
	s_and_saveexec_b32 vcc_lo, s14
	s_xor_b32 s14, exec_lo, vcc_lo
	s_cbranch_execnz .LBB2_2990
; %bb.2551:                             ;   in Loop: Header=BB2_2491 Depth=3
	s_or_saveexec_b32 s14, s14
	v_mov_b32_e32 v150, s34
	s_xor_b32 exec_lo, exec_lo, s14
	s_cbranch_execnz .LBB2_2993
.LBB2_2552:                             ;   in Loop: Header=BB2_2491 Depth=3
	s_or_b32 exec_lo, exec_lo, s14
	s_and_saveexec_b32 s14, s15
	s_cbranch_execz .LBB2_2554
.LBB2_2553:                             ;   in Loop: Header=BB2_2491 Depth=3
	v_bfe_u32 v150, v12, 16, 3
	v_bfe_u32 v161, v12, 19, 4
	v_lshlrev_b32_e32 v162, 24, v148
	s_delay_alu instid0(VALU_DEP_3) | instskip(NEXT) | instid1(VALU_DEP_3)
	v_clz_i32_u32_e32 v151, v150
	v_cmp_eq_u32_e32 vcc_lo, 0, v161
	s_delay_alu instid0(VALU_DEP_2) | instskip(NEXT) | instid1(VALU_DEP_1)
	v_min_u32_e32 v151, 32, v151
	v_subrev_nc_u32_e32 v160, 28, v151
	v_sub_nc_u32_e32 v151, 29, v151
	s_delay_alu instid0(VALU_DEP_1) | instskip(NEXT) | instid1(VALU_DEP_1)
	v_dual_cndmask_b32 v151, v161, v151 :: v_dual_lshlrev_b32 v160, v160, v148
	v_and_b32_e32 v160, 7, v160
	s_delay_alu instid0(VALU_DEP_2) | instskip(NEXT) | instid1(VALU_DEP_2)
	v_lshl_add_u32 v151, v151, 23, 0x3b800000
	v_cndmask_b32_e32 v150, v150, v160, vcc_lo
	v_and_b32_e32 v160, 0x80000000, v162
	s_delay_alu instid0(VALU_DEP_2) | instskip(NEXT) | instid1(VALU_DEP_1)
	v_lshlrev_b32_e32 v150, 20, v150
	v_or3_b32 v150, v160, v151, v150
.LBB2_2554:                             ;   in Loop: Header=BB2_2491 Depth=3
	s_or_b32 exec_lo, exec_lo, s14
	v_and_b32_e32 v160, 0xff, v147
	s_mov_b32 s14, 0
	s_mov_b32 s34, exec_lo
                                        ; implicit-def: $sgpr15
	s_delay_alu instid0(VALU_DEP_1)
	v_cmpx_lt_i16_e64 0x7f, v160
	s_xor_b32 s34, exec_lo, s34
	s_cbranch_execnz .LBB2_2994
; %bb.2555:                             ;   in Loop: Header=BB2_2491 Depth=3
	s_or_saveexec_b32 s34, s34
	v_mov_b32_e32 v151, s15
	s_xor_b32 exec_lo, exec_lo, s34
	s_cbranch_execnz .LBB2_2997
.LBB2_2556:                             ;   in Loop: Header=BB2_2491 Depth=3
	s_or_b32 exec_lo, exec_lo, s34
	s_and_saveexec_b32 s15, s14
	s_cbranch_execz .LBB2_2558
.LBB2_2557:                             ;   in Loop: Header=BB2_2491 Depth=3
	v_bfe_u32 v151, v8, 16, 3
	v_bfe_u32 v162, v8, 19, 4
	v_lshlrev_b32_e32 v163, 24, v147
	s_delay_alu instid0(VALU_DEP_3) | instskip(NEXT) | instid1(VALU_DEP_3)
	v_clz_i32_u32_e32 v160, v151
	v_cmp_eq_u32_e32 vcc_lo, 0, v162
	s_delay_alu instid0(VALU_DEP_2) | instskip(NEXT) | instid1(VALU_DEP_1)
	v_min_u32_e32 v160, 32, v160
	v_subrev_nc_u32_e32 v161, 28, v160
	v_sub_nc_u32_e32 v160, 29, v160
	s_delay_alu instid0(VALU_DEP_1) | instskip(NEXT) | instid1(VALU_DEP_1)
	v_dual_cndmask_b32 v160, v162, v160 :: v_dual_lshlrev_b32 v161, v161, v147
	v_and_b32_e32 v161, 7, v161
	s_delay_alu instid0(VALU_DEP_2) | instskip(NEXT) | instid1(VALU_DEP_2)
	v_lshl_add_u32 v160, v160, 23, 0x3b800000
	v_cndmask_b32_e32 v151, v151, v161, vcc_lo
	v_and_b32_e32 v161, 0x80000000, v163
	s_delay_alu instid0(VALU_DEP_2) | instskip(NEXT) | instid1(VALU_DEP_1)
	v_lshlrev_b32_e32 v151, 20, v151
	v_or3_b32 v151, v161, v160, v151
.LBB2_2558:                             ;   in Loop: Header=BB2_2491 Depth=3
	s_or_b32 exec_lo, exec_lo, s15
	s_delay_alu instid0(VALU_DEP_1) | instskip(SKIP_1) | instid1(VALU_DEP_1)
	v_dual_max_f32 v151, v151, v151 :: v_dual_max_f32 v150, v150, v150
	s_mov_b32 s14, 0
	v_max_f32_e32 v150, v150, v151
	s_branch .LBB2_2560
.LBB2_2559:                             ;   in Loop: Header=BB2_2491 Depth=3
	s_mov_b32 s14, -1
                                        ; implicit-def: $vgpr150
.LBB2_2560:                             ;   in Loop: Header=BB2_2491 Depth=3
	s_delay_alu instid0(SALU_CYCLE_1)
	s_and_b32 vcc_lo, exec_lo, s14
	s_cbranch_vccz .LBB2_2570
; %bb.2561:                             ;   in Loop: Header=BB2_2491 Depth=3
	s_mov_b32 s14, 0
	s_mov_b32 s34, exec_lo
                                        ; implicit-def: $sgpr15
	v_cmpx_lt_i16_e64 0x7f, v149
	s_xor_b32 s34, exec_lo, s34
	s_cbranch_execnz .LBB2_2998
; %bb.2562:                             ;   in Loop: Header=BB2_2491 Depth=3
	s_or_saveexec_b32 s34, s34
	v_mov_b32_e32 v150, s15
	s_xor_b32 exec_lo, exec_lo, s34
	s_cbranch_execnz .LBB2_3001
.LBB2_2563:                             ;   in Loop: Header=BB2_2491 Depth=3
	s_or_b32 exec_lo, exec_lo, s34
	s_and_saveexec_b32 s15, s14
	s_cbranch_execz .LBB2_2565
.LBB2_2564:                             ;   in Loop: Header=BB2_2491 Depth=3
	v_bfe_u32 v149, v12, 16, 3
	v_bfe_u32 v160, v12, 19, 4
	s_delay_alu instid0(VALU_DEP_2) | instskip(NEXT) | instid1(VALU_DEP_2)
	v_clz_i32_u32_e32 v150, v149
	v_cmp_eq_u32_e32 vcc_lo, 0, v160
	s_delay_alu instid0(VALU_DEP_2) | instskip(NEXT) | instid1(VALU_DEP_1)
	v_min_u32_e32 v150, 32, v150
	v_subrev_nc_u32_e32 v151, 28, v150
	v_sub_nc_u32_e32 v150, 29, v150
	s_delay_alu instid0(VALU_DEP_1) | instskip(NEXT) | instid1(VALU_DEP_1)
	v_dual_cndmask_b32 v150, v160, v150 :: v_dual_lshlrev_b32 v151, v151, v148
	v_and_b32_e32 v151, 7, v151
	v_lshlrev_b32_e32 v148, 24, v148
	s_delay_alu instid0(VALU_DEP_3) | instskip(NEXT) | instid1(VALU_DEP_2)
	v_lshl_add_u32 v150, v150, 23, 0x3b800000
	v_dual_cndmask_b32 v149, v149, v151 :: v_dual_and_b32 v148, 0x80000000, v148
	s_delay_alu instid0(VALU_DEP_1) | instskip(NEXT) | instid1(VALU_DEP_1)
	v_lshlrev_b32_e32 v149, 20, v149
	v_or3_b32 v150, v148, v150, v149
.LBB2_2565:                             ;   in Loop: Header=BB2_2491 Depth=3
	s_or_b32 exec_lo, exec_lo, s15
	v_and_b32_e32 v149, 0xff, v147
	s_mov_b32 s14, 0
	s_mov_b32 s34, exec_lo
                                        ; implicit-def: $sgpr15
	s_delay_alu instid0(VALU_DEP_1)
	v_cmpx_lt_i16_e64 0x7f, v149
	s_xor_b32 s34, exec_lo, s34
	s_cbranch_execnz .LBB2_3002
; %bb.2566:                             ;   in Loop: Header=BB2_2491 Depth=3
	s_or_saveexec_b32 s34, s34
	v_mov_b32_e32 v148, s15
	s_xor_b32 exec_lo, exec_lo, s34
	s_cbranch_execnz .LBB2_3005
.LBB2_2567:                             ;   in Loop: Header=BB2_2491 Depth=3
	s_or_b32 exec_lo, exec_lo, s34
	s_and_saveexec_b32 s15, s14
	s_cbranch_execz .LBB2_2569
.LBB2_2568:                             ;   in Loop: Header=BB2_2491 Depth=3
	v_bfe_u32 v148, v8, 16, 3
	v_bfe_u32 v160, v8, 19, 4
	s_delay_alu instid0(VALU_DEP_2) | instskip(NEXT) | instid1(VALU_DEP_2)
	v_clz_i32_u32_e32 v149, v148
	v_cmp_eq_u32_e32 vcc_lo, 0, v160
	s_delay_alu instid0(VALU_DEP_2) | instskip(NEXT) | instid1(VALU_DEP_1)
	v_min_u32_e32 v149, 32, v149
	v_subrev_nc_u32_e32 v151, 28, v149
	v_sub_nc_u32_e32 v149, 29, v149
	s_delay_alu instid0(VALU_DEP_2) | instskip(SKIP_1) | instid1(VALU_DEP_2)
	v_lshlrev_b32_e32 v151, v151, v147
	v_lshlrev_b32_e32 v147, 24, v147
	v_and_b32_e32 v151, 7, v151
	s_delay_alu instid0(VALU_DEP_2) | instskip(NEXT) | instid1(VALU_DEP_2)
	v_and_b32_e32 v147, 0x80000000, v147
	v_cndmask_b32_e32 v148, v148, v151, vcc_lo
	s_delay_alu instid0(VALU_DEP_1) | instskip(NEXT) | instid1(VALU_DEP_1)
	v_dual_cndmask_b32 v149, v160, v149 :: v_dual_lshlrev_b32 v148, 20, v148
	v_lshl_add_u32 v149, v149, 23, 0x3b800000
	s_delay_alu instid0(VALU_DEP_1)
	v_or3_b32 v148, v147, v149, v148
.LBB2_2569:                             ;   in Loop: Header=BB2_2491 Depth=3
	s_or_b32 exec_lo, exec_lo, s15
	s_delay_alu instid0(VALU_DEP_1) | instskip(NEXT) | instid1(VALU_DEP_1)
	v_dual_max_f32 v147, v148, v148 :: v_dual_max_f32 v148, v150, v150
	v_min_f32_e32 v150, v148, v147
.LBB2_2570:                             ;   in Loop: Header=BB2_2491 Depth=3
	s_delay_alu instid0(VALU_DEP_1) | instskip(NEXT) | instid1(VALU_DEP_1)
	v_and_b32_e32 v147, 0x7f800000, v150
	v_cmp_ne_u32_e32 vcc_lo, 0x7f800000, v147
	v_mov_b32_e32 v147, 0x80
	s_and_saveexec_b32 s15, vcc_lo
	s_cbranch_execz .LBB2_2578
; %bb.2571:                             ;   in Loop: Header=BB2_2491 Depth=3
	v_mov_b32_e32 v147, 0
	s_mov_b32 s34, exec_lo
	v_cmpx_ne_u32_e32 0, v150
	s_cbranch_execz .LBB2_2577
; %bb.2572:                             ;   in Loop: Header=BB2_2491 Depth=3
	v_bfe_u32 v147, v150, 23, 8
	s_delay_alu instid0(VALU_DEP_1) | instskip(SKIP_1) | instid1(VALU_DEP_2)
	v_sub_nc_u32_e32 v149, 0x78, v147
	v_cmp_gt_u32_e32 vcc_lo, 0x79, v147
	v_dual_cndmask_b32 v149, 0, v149 :: v_dual_and_b32 v148, 0x7fffff, v150
	s_delay_alu instid0(VALU_DEP_1) | instskip(SKIP_2) | instid1(VALU_DEP_4)
	v_or_b32_e32 v151, 0x800000, v148
	v_cmp_eq_u32_e32 vcc_lo, 0, v147
	v_add_nc_u32_e32 v147, 0xffffff89, v147
	v_cndmask_b32_e64 v149, v149, 0x77, vcc_lo
	s_delay_alu instid0(VALU_DEP_4) | instskip(NEXT) | instid1(VALU_DEP_3)
	v_cndmask_b32_e32 v148, v151, v148, vcc_lo
	v_cndmask_b32_e64 v147, v147, 0xffffff8a, vcc_lo
	s_delay_alu instid0(VALU_DEP_3) | instskip(NEXT) | instid1(VALU_DEP_3)
	v_lshl_add_u32 v151, 0x100000, v149, -1
	v_lshrrev_b32_e32 v160, v149, v148
	v_lshlrev_b32_e64 v162, v149, 0x80000
	s_delay_alu instid0(VALU_DEP_4) | instskip(NEXT) | instid1(VALU_DEP_4)
	v_add_nc_u32_e32 v149, v149, v147
	v_and_b32_e32 v148, v151, v148
	s_delay_alu instid0(VALU_DEP_4) | instskip(NEXT) | instid1(VALU_DEP_2)
	v_bfe_u32 v161, v160, 20, 1
	v_cmp_eq_u32_e64 s14, v148, v162
	s_delay_alu instid0(VALU_DEP_2) | instskip(NEXT) | instid1(VALU_DEP_1)
	v_add_nc_u32_e32 v151, -1, v161
	v_cndmask_b32_e64 v148, 0, v151, s14
	v_lshrrev_b32_e32 v151, 23, v160
	s_mov_b32 s14, exec_lo
	s_delay_alu instid0(VALU_DEP_2) | instskip(NEXT) | instid1(VALU_DEP_2)
	v_add_nc_u32_e32 v148, v148, v160
	v_xor_b32_e32 v151, 1, v151
	s_delay_alu instid0(VALU_DEP_2) | instskip(NEXT) | instid1(VALU_DEP_1)
	v_and_b32_e32 v147, 0xfffff, v148
	v_add_nc_u32_e32 v148, v147, v160
                                        ; implicit-def: $vgpr147
	s_delay_alu instid0(VALU_DEP_3)
	v_cmpx_ne_u32_e64 v149, v151
	s_xor_b32 s14, exec_lo, s14
; %bb.2573:                             ;   in Loop: Header=BB2_2491 Depth=3
	s_delay_alu instid0(VALU_DEP_2) | instskip(SKIP_2) | instid1(VALU_DEP_2)
	v_cmp_lt_u32_e32 vcc_lo, 0xffffff, v148
	v_sub_nc_u32_e32 v147, v149, v151
	v_cndmask_b32_e64 v149, 0, 1, vcc_lo
	v_add_co_ci_u32_e32 v147, vcc_lo, 0, v147, vcc_lo
	s_delay_alu instid0(VALU_DEP_2)
	v_lshrrev_b32_e32 v148, v149, v148
; %bb.2574:                             ;   in Loop: Header=BB2_2491 Depth=3
	s_and_not1_saveexec_b32 s14, s14
; %bb.2575:                             ;   in Loop: Header=BB2_2491 Depth=3
	s_delay_alu instid0(VALU_DEP_1)
	v_bfe_u32 v147, v148, 23, 1
; %bb.2576:                             ;   in Loop: Header=BB2_2491 Depth=3
	s_or_b32 exec_lo, exec_lo, s14
	v_lshrrev_b32_e32 v148, 20, v148
	s_delay_alu instid0(VALU_DEP_2) | instskip(SKIP_2) | instid1(VALU_DEP_2)
	v_cmp_gt_i32_e32 vcc_lo, 16, v147
	v_lshrrev_b32_e32 v149, 24, v150
	v_min_i32_e32 v150, 15, v147
	v_dual_cndmask_b32 v148, 7, v148 :: v_dual_and_b32 v149, 0x80, v149
	s_delay_alu instid0(VALU_DEP_1) | instskip(SKIP_1) | instid1(VALU_DEP_2)
	v_or_b32_e32 v147, v147, v148
	v_and_b32_e32 v151, 7, v148
	v_cmp_ne_u32_e32 vcc_lo, 0, v147
	v_lshlrev_b32_e32 v150, 3, v150
	s_delay_alu instid0(VALU_DEP_1) | instskip(NEXT) | instid1(VALU_DEP_1)
	v_or3_b32 v148, v150, v149, v151
	v_cndmask_b32_e32 v147, 0, v148, vcc_lo
.LBB2_2577:                             ;   in Loop: Header=BB2_2491 Depth=3
	s_or_b32 exec_lo, exec_lo, s34
.LBB2_2578:                             ;   in Loop: Header=BB2_2491 Depth=3
	s_delay_alu instid0(SALU_CYCLE_1) | instskip(SKIP_3) | instid1(VALU_DEP_2)
	s_or_b32 exec_lo, exec_lo, s15
	v_lshrrev_b32_e32 v149, 24, v12
	v_lshrrev_b32_e32 v148, 24, v8
	s_and_b32 vcc_lo, exec_lo, s31
	v_cmp_lt_i16_e64 s14, 0x7f, v149
	s_cbranch_vccz .LBB2_2588
; %bb.2579:                             ;   in Loop: Header=BB2_2491 Depth=3
	s_mov_b32 s15, 0
                                        ; implicit-def: $sgpr34
	s_delay_alu instid0(VALU_DEP_1) | instskip(NEXT) | instid1(SALU_CYCLE_1)
	s_and_saveexec_b32 vcc_lo, s14
	s_xor_b32 s14, exec_lo, vcc_lo
	s_cbranch_execnz .LBB2_3006
; %bb.2580:                             ;   in Loop: Header=BB2_2491 Depth=3
	s_or_saveexec_b32 s14, s14
	v_mov_b32_e32 v150, s34
	s_xor_b32 exec_lo, exec_lo, s14
	s_cbranch_execnz .LBB2_3009
.LBB2_2581:                             ;   in Loop: Header=BB2_2491 Depth=3
	s_or_b32 exec_lo, exec_lo, s14
	s_and_saveexec_b32 s14, s15
	s_cbranch_execz .LBB2_2583
.LBB2_2582:                             ;   in Loop: Header=BB2_2491 Depth=3
	v_bfe_u32 v150, v12, 24, 3
	v_bfe_u32 v161, v12, 27, 4
	s_delay_alu instid0(VALU_DEP_2) | instskip(NEXT) | instid1(VALU_DEP_2)
	v_clz_i32_u32_e32 v151, v150
	v_cmp_eq_u32_e32 vcc_lo, 0, v161
	s_delay_alu instid0(VALU_DEP_2) | instskip(NEXT) | instid1(VALU_DEP_1)
	v_min_u32_e32 v151, 32, v151
	v_subrev_nc_u32_e32 v160, 28, v151
	v_sub_nc_u32_e32 v151, 29, v151
	s_delay_alu instid0(VALU_DEP_1) | instskip(NEXT) | instid1(VALU_DEP_1)
	v_dual_cndmask_b32 v151, v161, v151 :: v_dual_lshlrev_b32 v160, v160, v149
	v_and_b32_e32 v160, 7, v160
	s_delay_alu instid0(VALU_DEP_2) | instskip(NEXT) | instid1(VALU_DEP_2)
	v_lshl_add_u32 v151, v151, 23, 0x3b800000
	v_cndmask_b32_e32 v150, v150, v160, vcc_lo
	v_and_b32_e32 v160, 0x80000000, v12
	s_delay_alu instid0(VALU_DEP_2) | instskip(NEXT) | instid1(VALU_DEP_1)
	v_lshlrev_b32_e32 v150, 20, v150
	v_or3_b32 v150, v160, v151, v150
.LBB2_2583:                             ;   in Loop: Header=BB2_2491 Depth=3
	s_or_b32 exec_lo, exec_lo, s14
	s_mov_b32 s14, 0
	s_mov_b32 s34, exec_lo
                                        ; implicit-def: $sgpr15
	v_cmpx_lt_i16_e64 0x7f, v148
	s_xor_b32 s34, exec_lo, s34
	s_cbranch_execnz .LBB2_3010
; %bb.2584:                             ;   in Loop: Header=BB2_2491 Depth=3
	s_or_saveexec_b32 s34, s34
	v_mov_b32_e32 v151, s15
	s_xor_b32 exec_lo, exec_lo, s34
	s_cbranch_execnz .LBB2_3013
.LBB2_2585:                             ;   in Loop: Header=BB2_2491 Depth=3
	s_or_b32 exec_lo, exec_lo, s34
	s_and_saveexec_b32 s15, s14
	s_cbranch_execz .LBB2_2587
.LBB2_2586:                             ;   in Loop: Header=BB2_2491 Depth=3
	v_bfe_u32 v151, v8, 24, 3
	v_bfe_u32 v162, v8, 27, 4
	s_delay_alu instid0(VALU_DEP_2) | instskip(NEXT) | instid1(VALU_DEP_2)
	v_clz_i32_u32_e32 v160, v151
	v_cmp_eq_u32_e32 vcc_lo, 0, v162
	s_delay_alu instid0(VALU_DEP_2) | instskip(NEXT) | instid1(VALU_DEP_1)
	v_min_u32_e32 v160, 32, v160
	v_subrev_nc_u32_e32 v161, 28, v160
	v_sub_nc_u32_e32 v160, 29, v160
	s_delay_alu instid0(VALU_DEP_2) | instskip(NEXT) | instid1(VALU_DEP_1)
	v_lshlrev_b32_e32 v161, v161, v148
	v_dual_cndmask_b32 v160, v162, v160 :: v_dual_and_b32 v161, 7, v161
	s_delay_alu instid0(VALU_DEP_1) | instskip(NEXT) | instid1(VALU_DEP_2)
	v_lshl_add_u32 v160, v160, 23, 0x3b800000
	v_cndmask_b32_e32 v151, v151, v161, vcc_lo
	v_and_b32_e32 v161, 0x80000000, v8
	s_delay_alu instid0(VALU_DEP_2) | instskip(NEXT) | instid1(VALU_DEP_1)
	v_lshlrev_b32_e32 v151, 20, v151
	v_or3_b32 v151, v161, v160, v151
.LBB2_2587:                             ;   in Loop: Header=BB2_2491 Depth=3
	s_or_b32 exec_lo, exec_lo, s15
	s_delay_alu instid0(VALU_DEP_1) | instskip(SKIP_1) | instid1(VALU_DEP_1)
	v_dual_max_f32 v151, v151, v151 :: v_dual_max_f32 v150, v150, v150
	s_mov_b32 s14, 0
	v_max_f32_e32 v150, v150, v151
	s_branch .LBB2_2589
.LBB2_2588:                             ;   in Loop: Header=BB2_2491 Depth=3
	s_mov_b32 s14, -1
                                        ; implicit-def: $vgpr150
.LBB2_2589:                             ;   in Loop: Header=BB2_2491 Depth=3
	s_delay_alu instid0(SALU_CYCLE_1)
	s_and_b32 vcc_lo, exec_lo, s14
	s_cbranch_vccz .LBB2_2599
; %bb.2590:                             ;   in Loop: Header=BB2_2491 Depth=3
	s_mov_b32 s14, 0
	s_mov_b32 s34, exec_lo
                                        ; implicit-def: $sgpr15
	v_cmpx_lt_i16_e64 0x7f, v149
	s_xor_b32 s34, exec_lo, s34
	s_cbranch_execnz .LBB2_3014
; %bb.2591:                             ;   in Loop: Header=BB2_2491 Depth=3
	s_or_saveexec_b32 s34, s34
	v_mov_b32_e32 v150, s15
	s_xor_b32 exec_lo, exec_lo, s34
	s_cbranch_execnz .LBB2_3017
.LBB2_2592:                             ;   in Loop: Header=BB2_2491 Depth=3
	s_or_b32 exec_lo, exec_lo, s34
	s_and_saveexec_b32 s15, s14
	s_cbranch_execz .LBB2_2594
.LBB2_2593:                             ;   in Loop: Header=BB2_2491 Depth=3
	v_bfe_u32 v150, v12, 24, 3
	s_delay_alu instid0(VALU_DEP_1) | instskip(NEXT) | instid1(VALU_DEP_1)
	v_clz_i32_u32_e32 v151, v150
	v_min_u32_e32 v151, 32, v151
	s_delay_alu instid0(VALU_DEP_1) | instskip(SKIP_1) | instid1(VALU_DEP_2)
	v_subrev_nc_u32_e32 v160, 28, v151
	v_sub_nc_u32_e32 v151, 29, v151
	v_lshlrev_b32_e32 v149, v160, v149
	v_bfe_u32 v160, v12, 27, 4
	v_and_b32_e32 v12, 0x80000000, v12
	s_delay_alu instid0(VALU_DEP_3) | instskip(NEXT) | instid1(VALU_DEP_3)
	v_and_b32_e32 v149, 7, v149
	v_cmp_eq_u32_e32 vcc_lo, 0, v160
	v_cndmask_b32_e32 v151, v160, v151, vcc_lo
	s_delay_alu instid0(VALU_DEP_3) | instskip(NEXT) | instid1(VALU_DEP_2)
	v_cndmask_b32_e32 v149, v150, v149, vcc_lo
	v_lshl_add_u32 v150, v151, 23, 0x3b800000
	s_delay_alu instid0(VALU_DEP_2) | instskip(NEXT) | instid1(VALU_DEP_1)
	v_lshlrev_b32_e32 v149, 20, v149
	v_or3_b32 v150, v12, v150, v149
.LBB2_2594:                             ;   in Loop: Header=BB2_2491 Depth=3
	s_or_b32 exec_lo, exec_lo, s15
	s_mov_b32 s14, 0
	s_mov_b32 s34, exec_lo
                                        ; implicit-def: $sgpr15
	v_cmpx_lt_i16_e64 0x7f, v148
	s_xor_b32 s34, exec_lo, s34
	s_cbranch_execnz .LBB2_3018
; %bb.2595:                             ;   in Loop: Header=BB2_2491 Depth=3
	s_or_saveexec_b32 s34, s34
	v_mov_b32_e32 v12, s15
	s_xor_b32 exec_lo, exec_lo, s34
	s_cbranch_execnz .LBB2_3021
.LBB2_2596:                             ;   in Loop: Header=BB2_2491 Depth=3
	s_or_b32 exec_lo, exec_lo, s34
	s_and_saveexec_b32 s15, s14
	s_cbranch_execz .LBB2_2598
.LBB2_2597:                             ;   in Loop: Header=BB2_2491 Depth=3
	v_bfe_u32 v12, v8, 24, 3
	s_delay_alu instid0(VALU_DEP_1) | instskip(NEXT) | instid1(VALU_DEP_1)
	v_clz_i32_u32_e32 v149, v12
	v_min_u32_e32 v149, 32, v149
	s_delay_alu instid0(VALU_DEP_1) | instskip(SKIP_1) | instid1(VALU_DEP_2)
	v_subrev_nc_u32_e32 v151, 28, v149
	v_sub_nc_u32_e32 v149, 29, v149
	v_lshlrev_b32_e32 v148, v151, v148
	v_bfe_u32 v151, v8, 27, 4
	v_and_b32_e32 v8, 0x80000000, v8
	s_delay_alu instid0(VALU_DEP_2) | instskip(NEXT) | instid1(VALU_DEP_4)
	v_cmp_eq_u32_e32 vcc_lo, 0, v151
	v_dual_cndmask_b32 v149, v151, v149 :: v_dual_and_b32 v148, 7, v148
	s_delay_alu instid0(VALU_DEP_1) | instskip(NEXT) | instid1(VALU_DEP_2)
	v_cndmask_b32_e32 v12, v12, v148, vcc_lo
	v_lshl_add_u32 v148, v149, 23, 0x3b800000
	s_delay_alu instid0(VALU_DEP_2) | instskip(NEXT) | instid1(VALU_DEP_1)
	v_lshlrev_b32_e32 v12, 20, v12
	v_or3_b32 v12, v8, v148, v12
.LBB2_2598:                             ;   in Loop: Header=BB2_2491 Depth=3
	s_or_b32 exec_lo, exec_lo, s15
	s_delay_alu instid0(VALU_DEP_1) | instskip(SKIP_1) | instid1(VALU_DEP_1)
	v_max_f32_e32 v8, v12, v12
	v_max_f32_e32 v12, v150, v150
	v_min_f32_e32 v150, v12, v8
.LBB2_2599:                             ;   in Loop: Header=BB2_2491 Depth=3
	s_delay_alu instid0(VALU_DEP_1) | instskip(NEXT) | instid1(VALU_DEP_1)
	v_and_b32_e32 v8, 0x7f800000, v150
	v_cmp_ne_u32_e32 vcc_lo, 0x7f800000, v8
	v_mov_b32_e32 v8, 0x80
	s_and_saveexec_b32 s15, vcc_lo
	s_cbranch_execz .LBB2_2607
; %bb.2600:                             ;   in Loop: Header=BB2_2491 Depth=3
	v_mov_b32_e32 v8, 0
	s_mov_b32 s34, exec_lo
	v_cmpx_ne_u32_e32 0, v150
	s_cbranch_execz .LBB2_2606
; %bb.2601:                             ;   in Loop: Header=BB2_2491 Depth=3
	v_bfe_u32 v8, v150, 23, 8
	v_and_b32_e32 v12, 0x7fffff, v150
	s_delay_alu instid0(VALU_DEP_2) | instskip(SKIP_1) | instid1(VALU_DEP_3)
	v_sub_nc_u32_e32 v148, 0x78, v8
	v_cmp_gt_u32_e32 vcc_lo, 0x79, v8
	v_or_b32_e32 v149, 0x800000, v12
	s_delay_alu instid0(VALU_DEP_3) | instskip(SKIP_2) | instid1(VALU_DEP_3)
	v_cndmask_b32_e32 v148, 0, v148, vcc_lo
	v_cmp_eq_u32_e32 vcc_lo, 0, v8
	v_add_nc_u32_e32 v8, 0xffffff89, v8
	v_cndmask_b32_e64 v148, v148, 0x77, vcc_lo
	v_cndmask_b32_e32 v12, v149, v12, vcc_lo
	s_delay_alu instid0(VALU_DEP_3) | instskip(NEXT) | instid1(VALU_DEP_3)
	v_cndmask_b32_e64 v8, v8, 0xffffff8a, vcc_lo
	v_lshl_add_u32 v149, 0x100000, v148, -1
	s_delay_alu instid0(VALU_DEP_3) | instskip(SKIP_1) | instid1(VALU_DEP_4)
	v_lshrrev_b32_e32 v151, v148, v12
	v_lshlrev_b32_e64 v161, v148, 0x80000
	v_add_nc_u32_e32 v148, v148, v8
	s_delay_alu instid0(VALU_DEP_4) | instskip(NEXT) | instid1(VALU_DEP_4)
	v_and_b32_e32 v12, v149, v12
	v_bfe_u32 v160, v151, 20, 1
	s_delay_alu instid0(VALU_DEP_2) | instskip(NEXT) | instid1(VALU_DEP_2)
	v_cmp_eq_u32_e64 s14, v12, v161
	v_add_nc_u32_e32 v149, -1, v160
	s_delay_alu instid0(VALU_DEP_1) | instskip(SKIP_2) | instid1(VALU_DEP_2)
	v_cndmask_b32_e64 v12, 0, v149, s14
	v_lshrrev_b32_e32 v149, 23, v151
	s_mov_b32 s14, exec_lo
	v_add_nc_u32_e32 v12, v12, v151
	s_delay_alu instid0(VALU_DEP_2) | instskip(NEXT) | instid1(VALU_DEP_2)
	v_xor_b32_e32 v149, 1, v149
	v_and_b32_e32 v8, 0xfffff, v12
	s_delay_alu instid0(VALU_DEP_1) | instskip(NEXT) | instid1(VALU_DEP_3)
	v_add_nc_u32_e32 v12, v8, v151
                                        ; implicit-def: $vgpr8
	v_cmpx_ne_u32_e64 v148, v149
	s_xor_b32 s14, exec_lo, s14
; %bb.2602:                             ;   in Loop: Header=BB2_2491 Depth=3
	s_delay_alu instid0(VALU_DEP_2) | instskip(SKIP_2) | instid1(VALU_DEP_2)
	v_cmp_lt_u32_e32 vcc_lo, 0xffffff, v12
	v_sub_nc_u32_e32 v8, v148, v149
	v_cndmask_b32_e64 v148, 0, 1, vcc_lo
	v_add_co_ci_u32_e32 v8, vcc_lo, 0, v8, vcc_lo
	s_delay_alu instid0(VALU_DEP_2)
	v_lshrrev_b32_e32 v12, v148, v12
; %bb.2603:                             ;   in Loop: Header=BB2_2491 Depth=3
	s_and_not1_saveexec_b32 s14, s14
; %bb.2604:                             ;   in Loop: Header=BB2_2491 Depth=3
	s_delay_alu instid0(VALU_DEP_1)
	v_bfe_u32 v8, v12, 23, 1
; %bb.2605:                             ;   in Loop: Header=BB2_2491 Depth=3
	s_or_b32 exec_lo, exec_lo, s14
	v_lshrrev_b32_e32 v12, 20, v12
	s_delay_alu instid0(VALU_DEP_2) | instskip(SKIP_2) | instid1(VALU_DEP_4)
	v_cmp_gt_i32_e32 vcc_lo, 16, v8
	v_lshrrev_b32_e32 v148, 24, v150
	v_min_i32_e32 v149, 15, v8
	v_cndmask_b32_e32 v12, 7, v12, vcc_lo
	s_delay_alu instid0(VALU_DEP_3) | instskip(NEXT) | instid1(VALU_DEP_3)
	v_and_b32_e32 v148, 0x80, v148
	v_lshlrev_b32_e32 v149, 3, v149
	s_delay_alu instid0(VALU_DEP_3) | instskip(SKIP_1) | instid1(VALU_DEP_2)
	v_and_b32_e32 v150, 7, v12
	v_or_b32_e32 v8, v8, v12
	v_or3_b32 v12, v149, v148, v150
	s_delay_alu instid0(VALU_DEP_2) | instskip(NEXT) | instid1(VALU_DEP_2)
	v_cmp_ne_u32_e32 vcc_lo, 0, v8
	v_cndmask_b32_e32 v8, 0, v12, vcc_lo
.LBB2_2606:                             ;   in Loop: Header=BB2_2491 Depth=3
	s_or_b32 exec_lo, exec_lo, s34
.LBB2_2607:                             ;   in Loop: Header=BB2_2491 Depth=3
	s_delay_alu instid0(SALU_CYCLE_1) | instskip(SKIP_2) | instid1(VALU_DEP_1)
	s_or_b32 exec_lo, exec_lo, s15
	v_and_b32_e32 v12, 0xff, v13
	s_and_b32 vcc_lo, exec_lo, s31
	v_cmp_lt_i16_e64 s14, 0x7f, v12
	s_cbranch_vccz .LBB2_2617
; %bb.2608:                             ;   in Loop: Header=BB2_2491 Depth=3
	s_mov_b32 s15, 0
                                        ; implicit-def: $sgpr34
	s_delay_alu instid0(VALU_DEP_1) | instskip(NEXT) | instid1(SALU_CYCLE_1)
	s_and_saveexec_b32 vcc_lo, s14
	s_xor_b32 s14, exec_lo, vcc_lo
	s_cbranch_execnz .LBB2_3022
; %bb.2609:                             ;   in Loop: Header=BB2_2491 Depth=3
	s_or_saveexec_b32 s14, s14
	v_mov_b32_e32 v148, s34
	s_xor_b32 exec_lo, exec_lo, s14
	s_cbranch_execnz .LBB2_3025
.LBB2_2610:                             ;   in Loop: Header=BB2_2491 Depth=3
	s_or_b32 exec_lo, exec_lo, s14
	s_and_saveexec_b32 s14, s15
	s_cbranch_execz .LBB2_2612
.LBB2_2611:                             ;   in Loop: Header=BB2_2491 Depth=3
	v_and_b32_e32 v148, 7, v13
	v_bfe_u32 v151, v13, 3, 4
	v_lshlrev_b32_e32 v160, 24, v13
	s_delay_alu instid0(VALU_DEP_3) | instskip(NEXT) | instid1(VALU_DEP_3)
	v_clz_i32_u32_e32 v149, v148
	v_cmp_eq_u32_e32 vcc_lo, 0, v151
	s_delay_alu instid0(VALU_DEP_2) | instskip(NEXT) | instid1(VALU_DEP_1)
	v_min_u32_e32 v149, 32, v149
	v_subrev_nc_u32_e32 v150, 28, v149
	v_sub_nc_u32_e32 v149, 29, v149
	s_delay_alu instid0(VALU_DEP_2) | instskip(NEXT) | instid1(VALU_DEP_1)
	v_lshlrev_b32_e32 v150, v150, v13
	v_dual_cndmask_b32 v149, v151, v149 :: v_dual_and_b32 v150, 7, v150
	s_delay_alu instid0(VALU_DEP_1) | instskip(NEXT) | instid1(VALU_DEP_2)
	v_lshl_add_u32 v149, v149, 23, 0x3b800000
	v_cndmask_b32_e32 v148, v148, v150, vcc_lo
	v_and_b32_e32 v150, 0x80000000, v160
	s_delay_alu instid0(VALU_DEP_2) | instskip(NEXT) | instid1(VALU_DEP_1)
	v_lshlrev_b32_e32 v148, 20, v148
	v_or3_b32 v148, v150, v149, v148
.LBB2_2612:                             ;   in Loop: Header=BB2_2491 Depth=3
	s_or_b32 exec_lo, exec_lo, s14
	v_and_b32_e32 v150, 0xff, v9
	s_mov_b32 s14, 0
	s_mov_b32 s34, exec_lo
                                        ; implicit-def: $sgpr15
	s_delay_alu instid0(VALU_DEP_1)
	v_cmpx_lt_i16_e64 0x7f, v150
	s_xor_b32 s34, exec_lo, s34
	s_cbranch_execnz .LBB2_3026
; %bb.2613:                             ;   in Loop: Header=BB2_2491 Depth=3
	s_or_saveexec_b32 s34, s34
	v_mov_b32_e32 v149, s15
	s_xor_b32 exec_lo, exec_lo, s34
	s_cbranch_execnz .LBB2_3029
.LBB2_2614:                             ;   in Loop: Header=BB2_2491 Depth=3
	s_or_b32 exec_lo, exec_lo, s34
	s_and_saveexec_b32 s15, s14
	s_cbranch_execz .LBB2_2616
.LBB2_2615:                             ;   in Loop: Header=BB2_2491 Depth=3
	v_bfe_u32 v160, v9, 3, 4
	v_lshlrev_b32_e32 v161, 24, v9
	s_delay_alu instid0(VALU_DEP_2) | instskip(SKIP_1) | instid1(VALU_DEP_1)
	v_cmp_eq_u32_e32 vcc_lo, 0, v160
	v_and_b32_e32 v149, 7, v9
	v_clz_i32_u32_e32 v150, v149
	s_delay_alu instid0(VALU_DEP_1) | instskip(NEXT) | instid1(VALU_DEP_1)
	v_min_u32_e32 v150, 32, v150
	v_subrev_nc_u32_e32 v151, 28, v150
	v_sub_nc_u32_e32 v150, 29, v150
	s_delay_alu instid0(VALU_DEP_1) | instskip(NEXT) | instid1(VALU_DEP_1)
	v_dual_cndmask_b32 v150, v160, v150 :: v_dual_lshlrev_b32 v151, v151, v9
	v_and_b32_e32 v151, 7, v151
	s_delay_alu instid0(VALU_DEP_2) | instskip(NEXT) | instid1(VALU_DEP_2)
	v_lshl_add_u32 v150, v150, 23, 0x3b800000
	v_cndmask_b32_e32 v149, v149, v151, vcc_lo
	v_and_b32_e32 v151, 0x80000000, v161
	s_delay_alu instid0(VALU_DEP_2) | instskip(NEXT) | instid1(VALU_DEP_1)
	v_lshlrev_b32_e32 v149, 20, v149
	v_or3_b32 v149, v151, v150, v149
.LBB2_2616:                             ;   in Loop: Header=BB2_2491 Depth=3
	s_or_b32 exec_lo, exec_lo, s15
	s_delay_alu instid0(VALU_DEP_1) | instskip(SKIP_1) | instid1(VALU_DEP_1)
	v_dual_max_f32 v149, v149, v149 :: v_dual_max_f32 v148, v148, v148
	s_mov_b32 s14, 0
	v_max_f32_e32 v148, v148, v149
	s_branch .LBB2_2618
.LBB2_2617:                             ;   in Loop: Header=BB2_2491 Depth=3
	s_mov_b32 s14, -1
                                        ; implicit-def: $vgpr148
.LBB2_2618:                             ;   in Loop: Header=BB2_2491 Depth=3
	s_delay_alu instid0(SALU_CYCLE_1)
	s_and_b32 vcc_lo, exec_lo, s14
	s_cbranch_vccz .LBB2_2628
; %bb.2619:                             ;   in Loop: Header=BB2_2491 Depth=3
	s_mov_b32 s14, 0
	s_mov_b32 s34, exec_lo
                                        ; implicit-def: $sgpr15
	v_cmpx_lt_i16_e32 0x7f, v12
	s_xor_b32 s34, exec_lo, s34
	s_cbranch_execnz .LBB2_3030
; %bb.2620:                             ;   in Loop: Header=BB2_2491 Depth=3
	s_or_saveexec_b32 s34, s34
	v_mov_b32_e32 v148, s15
	s_xor_b32 exec_lo, exec_lo, s34
	s_cbranch_execnz .LBB2_3033
.LBB2_2621:                             ;   in Loop: Header=BB2_2491 Depth=3
	s_or_b32 exec_lo, exec_lo, s34
	s_and_saveexec_b32 s15, s14
	s_cbranch_execz .LBB2_2623
.LBB2_2622:                             ;   in Loop: Header=BB2_2491 Depth=3
	v_and_b32_e32 v12, 7, v13
	v_bfe_u32 v150, v13, 3, 4
	v_lshlrev_b32_e32 v151, 24, v13
	s_delay_alu instid0(VALU_DEP_3) | instskip(NEXT) | instid1(VALU_DEP_3)
	v_clz_i32_u32_e32 v148, v12
	v_cmp_eq_u32_e32 vcc_lo, 0, v150
	s_delay_alu instid0(VALU_DEP_2) | instskip(NEXT) | instid1(VALU_DEP_1)
	v_min_u32_e32 v148, 32, v148
	v_subrev_nc_u32_e32 v149, 28, v148
	v_sub_nc_u32_e32 v148, 29, v148
	s_delay_alu instid0(VALU_DEP_1) | instskip(NEXT) | instid1(VALU_DEP_1)
	v_dual_cndmask_b32 v148, v150, v148 :: v_dual_lshlrev_b32 v149, v149, v13
	v_and_b32_e32 v149, 7, v149
	s_delay_alu instid0(VALU_DEP_2) | instskip(NEXT) | instid1(VALU_DEP_2)
	v_lshl_add_u32 v148, v148, 23, 0x3b800000
	v_dual_cndmask_b32 v12, v12, v149 :: v_dual_and_b32 v149, 0x80000000, v151
	s_delay_alu instid0(VALU_DEP_1) | instskip(NEXT) | instid1(VALU_DEP_1)
	v_lshlrev_b32_e32 v12, 20, v12
	v_or3_b32 v148, v149, v148, v12
.LBB2_2623:                             ;   in Loop: Header=BB2_2491 Depth=3
	s_or_b32 exec_lo, exec_lo, s15
	v_and_b32_e32 v149, 0xff, v9
	s_mov_b32 s14, 0
	s_mov_b32 s34, exec_lo
                                        ; implicit-def: $sgpr15
	s_delay_alu instid0(VALU_DEP_1)
	v_cmpx_lt_i16_e64 0x7f, v149
	s_xor_b32 s34, exec_lo, s34
	s_cbranch_execnz .LBB2_3034
; %bb.2624:                             ;   in Loop: Header=BB2_2491 Depth=3
	s_or_saveexec_b32 s34, s34
	v_mov_b32_e32 v12, s15
	s_xor_b32 exec_lo, exec_lo, s34
	s_cbranch_execnz .LBB2_3037
.LBB2_2625:                             ;   in Loop: Header=BB2_2491 Depth=3
	s_or_b32 exec_lo, exec_lo, s34
	s_and_saveexec_b32 s15, s14
	s_cbranch_execz .LBB2_2627
.LBB2_2626:                             ;   in Loop: Header=BB2_2491 Depth=3
	v_and_b32_e32 v12, 7, v9
	v_bfe_u32 v151, v9, 3, 4
	v_lshlrev_b32_e32 v160, 24, v9
	s_delay_alu instid0(VALU_DEP_3) | instskip(NEXT) | instid1(VALU_DEP_3)
	v_clz_i32_u32_e32 v149, v12
	v_cmp_eq_u32_e32 vcc_lo, 0, v151
	s_delay_alu instid0(VALU_DEP_2) | instskip(NEXT) | instid1(VALU_DEP_1)
	v_min_u32_e32 v149, 32, v149
	v_subrev_nc_u32_e32 v150, 28, v149
	v_sub_nc_u32_e32 v149, 29, v149
	s_delay_alu instid0(VALU_DEP_2) | instskip(NEXT) | instid1(VALU_DEP_1)
	v_lshlrev_b32_e32 v150, v150, v9
	v_dual_cndmask_b32 v149, v151, v149 :: v_dual_and_b32 v150, 7, v150
	s_delay_alu instid0(VALU_DEP_1) | instskip(NEXT) | instid1(VALU_DEP_2)
	v_lshl_add_u32 v149, v149, 23, 0x3b800000
	v_cndmask_b32_e32 v12, v12, v150, vcc_lo
	v_and_b32_e32 v150, 0x80000000, v160
	s_delay_alu instid0(VALU_DEP_2) | instskip(NEXT) | instid1(VALU_DEP_1)
	v_lshlrev_b32_e32 v12, 20, v12
	v_or3_b32 v12, v150, v149, v12
.LBB2_2627:                             ;   in Loop: Header=BB2_2491 Depth=3
	s_or_b32 exec_lo, exec_lo, s15
	s_delay_alu instid0(VALU_DEP_1) | instskip(SKIP_1) | instid1(VALU_DEP_1)
	v_max_f32_e32 v12, v12, v12
	v_max_f32_e32 v148, v148, v148
	v_min_f32_e32 v148, v148, v12
.LBB2_2628:                             ;   in Loop: Header=BB2_2491 Depth=3
	s_delay_alu instid0(VALU_DEP_1) | instskip(NEXT) | instid1(VALU_DEP_1)
	v_and_b32_e32 v12, 0x7f800000, v148
	v_cmp_ne_u32_e32 vcc_lo, 0x7f800000, v12
	v_mov_b32_e32 v12, 0x80
	s_and_saveexec_b32 s15, vcc_lo
	s_cbranch_execz .LBB2_2636
; %bb.2629:                             ;   in Loop: Header=BB2_2491 Depth=3
	v_mov_b32_e32 v12, 0
	s_mov_b32 s34, exec_lo
	v_cmpx_ne_u32_e32 0, v148
	s_cbranch_execz .LBB2_2635
; %bb.2630:                             ;   in Loop: Header=BB2_2491 Depth=3
	v_bfe_u32 v12, v148, 23, 8
	s_delay_alu instid0(VALU_DEP_1) | instskip(SKIP_1) | instid1(VALU_DEP_2)
	v_sub_nc_u32_e32 v150, 0x78, v12
	v_cmp_gt_u32_e32 vcc_lo, 0x79, v12
	v_dual_cndmask_b32 v150, 0, v150 :: v_dual_and_b32 v149, 0x7fffff, v148
	s_delay_alu instid0(VALU_DEP_1) | instskip(SKIP_2) | instid1(VALU_DEP_4)
	v_or_b32_e32 v151, 0x800000, v149
	v_cmp_eq_u32_e32 vcc_lo, 0, v12
	v_add_nc_u32_e32 v12, 0xffffff89, v12
	v_cndmask_b32_e64 v150, v150, 0x77, vcc_lo
	s_delay_alu instid0(VALU_DEP_4) | instskip(NEXT) | instid1(VALU_DEP_3)
	v_cndmask_b32_e32 v149, v151, v149, vcc_lo
	v_cndmask_b32_e64 v12, v12, 0xffffff8a, vcc_lo
	s_delay_alu instid0(VALU_DEP_3) | instskip(NEXT) | instid1(VALU_DEP_3)
	v_lshl_add_u32 v151, 0x100000, v150, -1
	v_lshrrev_b32_e32 v160, v150, v149
	v_lshlrev_b32_e64 v162, v150, 0x80000
	s_delay_alu instid0(VALU_DEP_4) | instskip(NEXT) | instid1(VALU_DEP_4)
	v_add_nc_u32_e32 v150, v150, v12
	v_and_b32_e32 v149, v151, v149
	s_delay_alu instid0(VALU_DEP_4) | instskip(NEXT) | instid1(VALU_DEP_2)
	v_bfe_u32 v161, v160, 20, 1
	v_cmp_eq_u32_e64 s14, v149, v162
	s_delay_alu instid0(VALU_DEP_2) | instskip(NEXT) | instid1(VALU_DEP_1)
	v_add_nc_u32_e32 v151, -1, v161
	v_cndmask_b32_e64 v149, 0, v151, s14
	v_lshrrev_b32_e32 v151, 23, v160
	s_mov_b32 s14, exec_lo
	s_delay_alu instid0(VALU_DEP_2) | instskip(NEXT) | instid1(VALU_DEP_2)
	v_add_nc_u32_e32 v149, v149, v160
	v_xor_b32_e32 v151, 1, v151
	s_delay_alu instid0(VALU_DEP_2) | instskip(NEXT) | instid1(VALU_DEP_1)
	v_and_b32_e32 v12, 0xfffff, v149
	v_add_nc_u32_e32 v149, v12, v160
                                        ; implicit-def: $vgpr12
	s_delay_alu instid0(VALU_DEP_3)
	v_cmpx_ne_u32_e64 v150, v151
	s_xor_b32 s14, exec_lo, s14
; %bb.2631:                             ;   in Loop: Header=BB2_2491 Depth=3
	s_delay_alu instid0(VALU_DEP_2) | instskip(SKIP_2) | instid1(VALU_DEP_2)
	v_cmp_lt_u32_e32 vcc_lo, 0xffffff, v149
	v_sub_nc_u32_e32 v12, v150, v151
	v_cndmask_b32_e64 v150, 0, 1, vcc_lo
	v_add_co_ci_u32_e32 v12, vcc_lo, 0, v12, vcc_lo
	s_delay_alu instid0(VALU_DEP_2)
	v_lshrrev_b32_e32 v149, v150, v149
; %bb.2632:                             ;   in Loop: Header=BB2_2491 Depth=3
	s_and_not1_saveexec_b32 s14, s14
; %bb.2633:                             ;   in Loop: Header=BB2_2491 Depth=3
	s_delay_alu instid0(VALU_DEP_1)
	v_bfe_u32 v12, v149, 23, 1
; %bb.2634:                             ;   in Loop: Header=BB2_2491 Depth=3
	s_or_b32 exec_lo, exec_lo, s14
	v_lshrrev_b32_e32 v149, 20, v149
	s_delay_alu instid0(VALU_DEP_2) | instskip(SKIP_2) | instid1(VALU_DEP_2)
	v_cmp_gt_i32_e32 vcc_lo, 16, v12
	v_lshrrev_b32_e32 v148, 24, v148
	v_min_i32_e32 v150, 15, v12
	v_dual_cndmask_b32 v149, 7, v149 :: v_dual_and_b32 v148, 0x80, v148
	s_delay_alu instid0(VALU_DEP_2) | instskip(NEXT) | instid1(VALU_DEP_2)
	v_lshlrev_b32_e32 v150, 3, v150
	v_or_b32_e32 v12, v12, v149
	s_delay_alu instid0(VALU_DEP_1) | instskip(SKIP_1) | instid1(VALU_DEP_1)
	v_cmp_ne_u32_e32 vcc_lo, 0, v12
	v_and_b32_e32 v151, 7, v149
	v_or3_b32 v148, v150, v148, v151
	s_delay_alu instid0(VALU_DEP_1)
	v_cndmask_b32_e32 v12, 0, v148, vcc_lo
.LBB2_2635:                             ;   in Loop: Header=BB2_2491 Depth=3
	s_or_b32 exec_lo, exec_lo, s34
.LBB2_2636:                             ;   in Loop: Header=BB2_2491 Depth=3
	s_delay_alu instid0(SALU_CYCLE_1) | instskip(SKIP_3) | instid1(VALU_DEP_2)
	s_or_b32 exec_lo, exec_lo, s15
	v_lshrrev_b16 v149, 8, v13
	v_lshrrev_b16 v148, 8, v9
	s_and_b32 vcc_lo, exec_lo, s31
	v_cmp_lt_i16_e64 s14, 0x7f, v149
	s_cbranch_vccz .LBB2_2646
; %bb.2637:                             ;   in Loop: Header=BB2_2491 Depth=3
	s_mov_b32 s15, 0
                                        ; implicit-def: $sgpr34
	s_delay_alu instid0(VALU_DEP_1) | instskip(NEXT) | instid1(SALU_CYCLE_1)
	s_and_saveexec_b32 vcc_lo, s14
	s_xor_b32 s14, exec_lo, vcc_lo
	s_cbranch_execnz .LBB2_3038
; %bb.2638:                             ;   in Loop: Header=BB2_2491 Depth=3
	s_or_saveexec_b32 s14, s14
	v_mov_b32_e32 v150, s34
	s_xor_b32 exec_lo, exec_lo, s14
	s_cbranch_execnz .LBB2_3041
.LBB2_2639:                             ;   in Loop: Header=BB2_2491 Depth=3
	s_or_b32 exec_lo, exec_lo, s14
	s_and_saveexec_b32 s14, s15
	s_cbranch_execz .LBB2_2641
.LBB2_2640:                             ;   in Loop: Header=BB2_2491 Depth=3
	v_and_b32_e32 v150, 0xffff, v149
	v_lshlrev_b32_e32 v162, 16, v13
	s_delay_alu instid0(VALU_DEP_2) | instskip(NEXT) | instid1(VALU_DEP_1)
	v_and_b32_e32 v151, 7, v150
	v_clz_i32_u32_e32 v160, v151
	s_delay_alu instid0(VALU_DEP_1) | instskip(NEXT) | instid1(VALU_DEP_1)
	v_min_u32_e32 v160, 32, v160
	v_subrev_nc_u32_e32 v161, 28, v160
	v_sub_nc_u32_e32 v160, 29, v160
	s_delay_alu instid0(VALU_DEP_2) | instskip(SKIP_1) | instid1(VALU_DEP_2)
	v_lshlrev_b32_e32 v161, v161, v150
	v_bfe_u32 v150, v150, 3, 4
	v_and_b32_e32 v161, 7, v161
	s_delay_alu instid0(VALU_DEP_2) | instskip(NEXT) | instid1(VALU_DEP_2)
	v_cmp_eq_u32_e32 vcc_lo, 0, v150
	v_dual_cndmask_b32 v150, v150, v160 :: v_dual_cndmask_b32 v151, v151, v161
	v_and_b32_e32 v160, 0x80000000, v162
	s_delay_alu instid0(VALU_DEP_2) | instskip(NEXT) | instid1(VALU_DEP_3)
	v_lshl_add_u32 v150, v150, 23, 0x3b800000
	v_lshlrev_b32_e32 v151, 20, v151
	s_delay_alu instid0(VALU_DEP_1)
	v_or3_b32 v150, v160, v150, v151
.LBB2_2641:                             ;   in Loop: Header=BB2_2491 Depth=3
	s_or_b32 exec_lo, exec_lo, s14
	s_mov_b32 s14, 0
	s_mov_b32 s34, exec_lo
                                        ; implicit-def: $sgpr15
	v_cmpx_lt_i16_e64 0x7f, v148
	s_xor_b32 s34, exec_lo, s34
	s_cbranch_execnz .LBB2_3042
; %bb.2642:                             ;   in Loop: Header=BB2_2491 Depth=3
	s_or_saveexec_b32 s34, s34
	v_mov_b32_e32 v151, s15
	s_xor_b32 exec_lo, exec_lo, s34
	s_cbranch_execnz .LBB2_3045
.LBB2_2643:                             ;   in Loop: Header=BB2_2491 Depth=3
	s_or_b32 exec_lo, exec_lo, s34
	s_and_saveexec_b32 s15, s14
	s_cbranch_execz .LBB2_2645
.LBB2_2644:                             ;   in Loop: Header=BB2_2491 Depth=3
	v_and_b32_e32 v151, 0xffff, v148
	v_lshlrev_b32_e32 v163, 16, v9
	s_delay_alu instid0(VALU_DEP_2) | instskip(NEXT) | instid1(VALU_DEP_1)
	v_and_b32_e32 v160, 7, v151
	v_clz_i32_u32_e32 v161, v160
	s_delay_alu instid0(VALU_DEP_1) | instskip(NEXT) | instid1(VALU_DEP_1)
	v_min_u32_e32 v161, 32, v161
	v_subrev_nc_u32_e32 v162, 28, v161
	v_sub_nc_u32_e32 v161, 29, v161
	s_delay_alu instid0(VALU_DEP_2) | instskip(SKIP_1) | instid1(VALU_DEP_2)
	v_lshlrev_b32_e32 v162, v162, v151
	v_bfe_u32 v151, v151, 3, 4
	v_and_b32_e32 v162, 7, v162
	s_delay_alu instid0(VALU_DEP_2) | instskip(NEXT) | instid1(VALU_DEP_2)
	v_cmp_eq_u32_e32 vcc_lo, 0, v151
	v_dual_cndmask_b32 v151, v151, v161 :: v_dual_cndmask_b32 v160, v160, v162
	v_and_b32_e32 v161, 0x80000000, v163
	s_delay_alu instid0(VALU_DEP_2) | instskip(NEXT) | instid1(VALU_DEP_3)
	v_lshl_add_u32 v151, v151, 23, 0x3b800000
	v_lshlrev_b32_e32 v160, 20, v160
	s_delay_alu instid0(VALU_DEP_1)
	v_or3_b32 v151, v161, v151, v160
.LBB2_2645:                             ;   in Loop: Header=BB2_2491 Depth=3
	s_or_b32 exec_lo, exec_lo, s15
	s_delay_alu instid0(VALU_DEP_1) | instskip(SKIP_1) | instid1(VALU_DEP_1)
	v_dual_max_f32 v151, v151, v151 :: v_dual_max_f32 v150, v150, v150
	s_mov_b32 s14, 0
	v_max_f32_e32 v150, v150, v151
	s_branch .LBB2_2647
.LBB2_2646:                             ;   in Loop: Header=BB2_2491 Depth=3
	s_mov_b32 s14, -1
                                        ; implicit-def: $vgpr150
.LBB2_2647:                             ;   in Loop: Header=BB2_2491 Depth=3
	s_delay_alu instid0(SALU_CYCLE_1)
	s_and_b32 vcc_lo, exec_lo, s14
	s_cbranch_vccz .LBB2_2657
; %bb.2648:                             ;   in Loop: Header=BB2_2491 Depth=3
	s_mov_b32 s14, 0
	s_mov_b32 s34, exec_lo
                                        ; implicit-def: $sgpr15
	v_cmpx_lt_i16_e64 0x7f, v149
	s_xor_b32 s34, exec_lo, s34
	s_cbranch_execnz .LBB2_3046
; %bb.2649:                             ;   in Loop: Header=BB2_2491 Depth=3
	s_or_saveexec_b32 s34, s34
	v_mov_b32_e32 v150, s15
	s_xor_b32 exec_lo, exec_lo, s34
	s_cbranch_execnz .LBB2_3049
.LBB2_2650:                             ;   in Loop: Header=BB2_2491 Depth=3
	s_or_b32 exec_lo, exec_lo, s34
	s_and_saveexec_b32 s15, s14
	s_cbranch_execz .LBB2_2652
.LBB2_2651:                             ;   in Loop: Header=BB2_2491 Depth=3
	v_and_b32_e32 v149, 0xffff, v149
	v_lshlrev_b32_e32 v161, 16, v13
	s_delay_alu instid0(VALU_DEP_2) | instskip(NEXT) | instid1(VALU_DEP_1)
	v_and_b32_e32 v150, 7, v149
	v_clz_i32_u32_e32 v151, v150
	s_delay_alu instid0(VALU_DEP_1) | instskip(NEXT) | instid1(VALU_DEP_1)
	v_min_u32_e32 v151, 32, v151
	v_subrev_nc_u32_e32 v160, 28, v151
	v_sub_nc_u32_e32 v151, 29, v151
	s_delay_alu instid0(VALU_DEP_2) | instskip(SKIP_1) | instid1(VALU_DEP_2)
	v_lshlrev_b32_e32 v160, v160, v149
	v_bfe_u32 v149, v149, 3, 4
	v_and_b32_e32 v160, 7, v160
	s_delay_alu instid0(VALU_DEP_2) | instskip(NEXT) | instid1(VALU_DEP_2)
	v_cmp_eq_u32_e32 vcc_lo, 0, v149
	v_dual_cndmask_b32 v149, v149, v151 :: v_dual_cndmask_b32 v150, v150, v160
	v_and_b32_e32 v151, 0x80000000, v161
	s_delay_alu instid0(VALU_DEP_2) | instskip(NEXT) | instid1(VALU_DEP_3)
	v_lshl_add_u32 v149, v149, 23, 0x3b800000
	v_lshlrev_b32_e32 v150, 20, v150
	s_delay_alu instid0(VALU_DEP_1)
	v_or3_b32 v150, v151, v149, v150
.LBB2_2652:                             ;   in Loop: Header=BB2_2491 Depth=3
	s_or_b32 exec_lo, exec_lo, s15
	s_mov_b32 s14, 0
	s_mov_b32 s34, exec_lo
                                        ; implicit-def: $sgpr15
	v_cmpx_lt_i16_e64 0x7f, v148
	s_xor_b32 s34, exec_lo, s34
	s_cbranch_execnz .LBB2_3050
; %bb.2653:                             ;   in Loop: Header=BB2_2491 Depth=3
	s_or_saveexec_b32 s34, s34
	v_mov_b32_e32 v149, s15
	s_xor_b32 exec_lo, exec_lo, s34
	s_cbranch_execnz .LBB2_3053
.LBB2_2654:                             ;   in Loop: Header=BB2_2491 Depth=3
	s_or_b32 exec_lo, exec_lo, s34
	s_and_saveexec_b32 s15, s14
	s_cbranch_execz .LBB2_2656
.LBB2_2655:                             ;   in Loop: Header=BB2_2491 Depth=3
	v_and_b32_e32 v148, 0xffff, v148
	v_lshlrev_b32_e32 v161, 16, v9
	s_delay_alu instid0(VALU_DEP_2) | instskip(NEXT) | instid1(VALU_DEP_1)
	v_and_b32_e32 v149, 7, v148
	v_clz_i32_u32_e32 v151, v149
	s_delay_alu instid0(VALU_DEP_1) | instskip(NEXT) | instid1(VALU_DEP_1)
	v_min_u32_e32 v151, 32, v151
	v_subrev_nc_u32_e32 v160, 28, v151
	v_sub_nc_u32_e32 v151, 29, v151
	s_delay_alu instid0(VALU_DEP_2) | instskip(SKIP_1) | instid1(VALU_DEP_2)
	v_lshlrev_b32_e32 v160, v160, v148
	v_bfe_u32 v148, v148, 3, 4
	v_and_b32_e32 v160, 7, v160
	s_delay_alu instid0(VALU_DEP_2) | instskip(NEXT) | instid1(VALU_DEP_2)
	v_cmp_eq_u32_e32 vcc_lo, 0, v148
	v_dual_cndmask_b32 v148, v148, v151 :: v_dual_cndmask_b32 v149, v149, v160
	v_and_b32_e32 v151, 0x80000000, v161
	s_delay_alu instid0(VALU_DEP_2) | instskip(NEXT) | instid1(VALU_DEP_3)
	v_lshl_add_u32 v148, v148, 23, 0x3b800000
	v_lshlrev_b32_e32 v149, 20, v149
	s_delay_alu instid0(VALU_DEP_1)
	v_or3_b32 v149, v151, v148, v149
.LBB2_2656:                             ;   in Loop: Header=BB2_2491 Depth=3
	s_or_b32 exec_lo, exec_lo, s15
	s_delay_alu instid0(VALU_DEP_1) | instskip(NEXT) | instid1(VALU_DEP_1)
	v_dual_max_f32 v148, v149, v149 :: v_dual_max_f32 v149, v150, v150
	v_min_f32_e32 v150, v149, v148
.LBB2_2657:                             ;   in Loop: Header=BB2_2491 Depth=3
	s_delay_alu instid0(VALU_DEP_1) | instskip(NEXT) | instid1(VALU_DEP_1)
	v_and_b32_e32 v148, 0x7f800000, v150
	v_cmp_ne_u32_e32 vcc_lo, 0x7f800000, v148
	v_mov_b32_e32 v148, 0x80
	s_and_saveexec_b32 s15, vcc_lo
	s_cbranch_execz .LBB2_2665
; %bb.2658:                             ;   in Loop: Header=BB2_2491 Depth=3
	v_mov_b32_e32 v148, 0
	s_mov_b32 s34, exec_lo
	v_cmpx_ne_u32_e32 0, v150
	s_cbranch_execz .LBB2_2664
; %bb.2659:                             ;   in Loop: Header=BB2_2491 Depth=3
	v_bfe_u32 v148, v150, 23, 8
	v_and_b32_e32 v149, 0x7fffff, v150
	s_delay_alu instid0(VALU_DEP_2) | instskip(SKIP_1) | instid1(VALU_DEP_3)
	v_sub_nc_u32_e32 v151, 0x78, v148
	v_cmp_gt_u32_e32 vcc_lo, 0x79, v148
	v_or_b32_e32 v160, 0x800000, v149
	s_delay_alu instid0(VALU_DEP_3) | instskip(SKIP_2) | instid1(VALU_DEP_3)
	v_cndmask_b32_e32 v151, 0, v151, vcc_lo
	v_cmp_eq_u32_e32 vcc_lo, 0, v148
	v_add_nc_u32_e32 v148, 0xffffff89, v148
	v_cndmask_b32_e64 v151, v151, 0x77, vcc_lo
	v_cndmask_b32_e32 v149, v160, v149, vcc_lo
	s_delay_alu instid0(VALU_DEP_3) | instskip(NEXT) | instid1(VALU_DEP_3)
	v_cndmask_b32_e64 v148, v148, 0xffffff8a, vcc_lo
	v_lshl_add_u32 v160, 0x100000, v151, -1
	s_delay_alu instid0(VALU_DEP_3) | instskip(SKIP_1) | instid1(VALU_DEP_4)
	v_lshrrev_b32_e32 v161, v151, v149
	v_lshlrev_b32_e64 v163, v151, 0x80000
	v_add_nc_u32_e32 v151, v151, v148
	s_delay_alu instid0(VALU_DEP_4) | instskip(NEXT) | instid1(VALU_DEP_4)
	v_and_b32_e32 v149, v160, v149
	v_bfe_u32 v162, v161, 20, 1
	s_delay_alu instid0(VALU_DEP_2) | instskip(NEXT) | instid1(VALU_DEP_2)
	v_cmp_eq_u32_e64 s14, v149, v163
	v_add_nc_u32_e32 v160, -1, v162
	s_delay_alu instid0(VALU_DEP_1) | instskip(SKIP_2) | instid1(VALU_DEP_2)
	v_cndmask_b32_e64 v149, 0, v160, s14
	v_lshrrev_b32_e32 v160, 23, v161
	s_mov_b32 s14, exec_lo
	v_add_nc_u32_e32 v149, v149, v161
	s_delay_alu instid0(VALU_DEP_2) | instskip(NEXT) | instid1(VALU_DEP_2)
	v_xor_b32_e32 v160, 1, v160
	v_and_b32_e32 v148, 0xfffff, v149
	s_delay_alu instid0(VALU_DEP_1) | instskip(NEXT) | instid1(VALU_DEP_3)
	v_add_nc_u32_e32 v149, v148, v161
                                        ; implicit-def: $vgpr148
	v_cmpx_ne_u32_e64 v151, v160
	s_xor_b32 s14, exec_lo, s14
; %bb.2660:                             ;   in Loop: Header=BB2_2491 Depth=3
	s_delay_alu instid0(VALU_DEP_2) | instskip(SKIP_2) | instid1(VALU_DEP_2)
	v_cmp_lt_u32_e32 vcc_lo, 0xffffff, v149
	v_sub_nc_u32_e32 v148, v151, v160
	v_cndmask_b32_e64 v151, 0, 1, vcc_lo
	v_add_co_ci_u32_e32 v148, vcc_lo, 0, v148, vcc_lo
	s_delay_alu instid0(VALU_DEP_2)
	v_lshrrev_b32_e32 v149, v151, v149
; %bb.2661:                             ;   in Loop: Header=BB2_2491 Depth=3
	s_and_not1_saveexec_b32 s14, s14
; %bb.2662:                             ;   in Loop: Header=BB2_2491 Depth=3
	s_delay_alu instid0(VALU_DEP_1)
	v_bfe_u32 v148, v149, 23, 1
; %bb.2663:                             ;   in Loop: Header=BB2_2491 Depth=3
	s_or_b32 exec_lo, exec_lo, s14
	v_lshrrev_b32_e32 v149, 20, v149
	s_delay_alu instid0(VALU_DEP_2) | instskip(SKIP_2) | instid1(VALU_DEP_2)
	v_cmp_gt_i32_e32 vcc_lo, 16, v148
	v_lshrrev_b32_e32 v150, 24, v150
	v_min_i32_e32 v151, 15, v148
	v_dual_cndmask_b32 v149, 7, v149 :: v_dual_and_b32 v150, 0x80, v150
	s_delay_alu instid0(VALU_DEP_1) | instskip(SKIP_1) | instid1(VALU_DEP_2)
	v_or_b32_e32 v148, v148, v149
	v_and_b32_e32 v160, 7, v149
	v_cmp_ne_u32_e32 vcc_lo, 0, v148
	v_lshlrev_b32_e32 v151, 3, v151
	s_delay_alu instid0(VALU_DEP_1) | instskip(NEXT) | instid1(VALU_DEP_1)
	v_or3_b32 v149, v151, v150, v160
	v_cndmask_b32_e32 v148, 0, v149, vcc_lo
.LBB2_2664:                             ;   in Loop: Header=BB2_2491 Depth=3
	s_or_b32 exec_lo, exec_lo, s34
.LBB2_2665:                             ;   in Loop: Header=BB2_2491 Depth=3
	s_delay_alu instid0(SALU_CYCLE_1) | instskip(SKIP_3) | instid1(VALU_DEP_2)
	s_or_b32 exec_lo, exec_lo, s15
	v_lshrrev_b32_e32 v150, 16, v13
	v_lshrrev_b32_e32 v149, 16, v9
	s_and_b32 vcc_lo, exec_lo, s31
	v_and_b32_e32 v151, 0xff, v150
	s_delay_alu instid0(VALU_DEP_1)
	v_cmp_lt_i16_e64 s14, 0x7f, v151
	s_cbranch_vccz .LBB2_2675
; %bb.2666:                             ;   in Loop: Header=BB2_2491 Depth=3
	s_mov_b32 s15, 0
                                        ; implicit-def: $sgpr34
	s_delay_alu instid0(VALU_DEP_1) | instskip(NEXT) | instid1(SALU_CYCLE_1)
	s_and_saveexec_b32 vcc_lo, s14
	s_xor_b32 s14, exec_lo, vcc_lo
	s_cbranch_execnz .LBB2_3054
; %bb.2667:                             ;   in Loop: Header=BB2_2491 Depth=3
	s_or_saveexec_b32 s14, s14
	v_mov_b32_e32 v160, s34
	s_xor_b32 exec_lo, exec_lo, s14
	s_cbranch_execnz .LBB2_3057
.LBB2_2668:                             ;   in Loop: Header=BB2_2491 Depth=3
	s_or_b32 exec_lo, exec_lo, s14
	s_and_saveexec_b32 s14, s15
	s_cbranch_execz .LBB2_2670
.LBB2_2669:                             ;   in Loop: Header=BB2_2491 Depth=3
	v_bfe_u32 v160, v13, 16, 3
	v_bfe_u32 v163, v13, 19, 4
	v_lshlrev_b32_e32 v164, 24, v150
	s_delay_alu instid0(VALU_DEP_3) | instskip(NEXT) | instid1(VALU_DEP_3)
	v_clz_i32_u32_e32 v161, v160
	v_cmp_eq_u32_e32 vcc_lo, 0, v163
	s_delay_alu instid0(VALU_DEP_2) | instskip(NEXT) | instid1(VALU_DEP_1)
	v_min_u32_e32 v161, 32, v161
	v_subrev_nc_u32_e32 v162, 28, v161
	v_sub_nc_u32_e32 v161, 29, v161
	s_delay_alu instid0(VALU_DEP_1) | instskip(NEXT) | instid1(VALU_DEP_1)
	v_dual_cndmask_b32 v161, v163, v161 :: v_dual_lshlrev_b32 v162, v162, v150
	v_and_b32_e32 v162, 7, v162
	s_delay_alu instid0(VALU_DEP_2) | instskip(NEXT) | instid1(VALU_DEP_2)
	v_lshl_add_u32 v161, v161, 23, 0x3b800000
	v_cndmask_b32_e32 v160, v160, v162, vcc_lo
	v_and_b32_e32 v162, 0x80000000, v164
	s_delay_alu instid0(VALU_DEP_2) | instskip(NEXT) | instid1(VALU_DEP_1)
	v_lshlrev_b32_e32 v160, 20, v160
	v_or3_b32 v160, v162, v161, v160
.LBB2_2670:                             ;   in Loop: Header=BB2_2491 Depth=3
	s_or_b32 exec_lo, exec_lo, s14
	v_and_b32_e32 v162, 0xff, v149
	s_mov_b32 s14, 0
	s_mov_b32 s34, exec_lo
                                        ; implicit-def: $sgpr15
	s_delay_alu instid0(VALU_DEP_1)
	v_cmpx_lt_i16_e64 0x7f, v162
	s_xor_b32 s34, exec_lo, s34
	s_cbranch_execnz .LBB2_3058
; %bb.2671:                             ;   in Loop: Header=BB2_2491 Depth=3
	s_or_saveexec_b32 s34, s34
	v_mov_b32_e32 v161, s15
	s_xor_b32 exec_lo, exec_lo, s34
	s_cbranch_execnz .LBB2_3061
.LBB2_2672:                             ;   in Loop: Header=BB2_2491 Depth=3
	s_or_b32 exec_lo, exec_lo, s34
	s_and_saveexec_b32 s15, s14
	s_cbranch_execz .LBB2_2674
.LBB2_2673:                             ;   in Loop: Header=BB2_2491 Depth=3
	v_bfe_u32 v161, v9, 16, 3
	v_bfe_u32 v164, v9, 19, 4
	v_lshlrev_b32_e32 v165, 24, v149
	s_delay_alu instid0(VALU_DEP_3) | instskip(NEXT) | instid1(VALU_DEP_3)
	v_clz_i32_u32_e32 v162, v161
	v_cmp_eq_u32_e32 vcc_lo, 0, v164
	s_delay_alu instid0(VALU_DEP_2) | instskip(NEXT) | instid1(VALU_DEP_1)
	v_min_u32_e32 v162, 32, v162
	v_subrev_nc_u32_e32 v163, 28, v162
	v_sub_nc_u32_e32 v162, 29, v162
	s_delay_alu instid0(VALU_DEP_1) | instskip(NEXT) | instid1(VALU_DEP_1)
	v_dual_cndmask_b32 v162, v164, v162 :: v_dual_lshlrev_b32 v163, v163, v149
	v_and_b32_e32 v163, 7, v163
	s_delay_alu instid0(VALU_DEP_2) | instskip(NEXT) | instid1(VALU_DEP_2)
	v_lshl_add_u32 v162, v162, 23, 0x3b800000
	v_cndmask_b32_e32 v161, v161, v163, vcc_lo
	v_and_b32_e32 v163, 0x80000000, v165
	s_delay_alu instid0(VALU_DEP_2) | instskip(NEXT) | instid1(VALU_DEP_1)
	v_lshlrev_b32_e32 v161, 20, v161
	v_or3_b32 v161, v163, v162, v161
.LBB2_2674:                             ;   in Loop: Header=BB2_2491 Depth=3
	s_or_b32 exec_lo, exec_lo, s15
	s_delay_alu instid0(VALU_DEP_1) | instskip(SKIP_1) | instid1(VALU_DEP_1)
	v_dual_max_f32 v161, v161, v161 :: v_dual_max_f32 v160, v160, v160
	s_mov_b32 s14, 0
	v_max_f32_e32 v160, v160, v161
	s_branch .LBB2_2676
.LBB2_2675:                             ;   in Loop: Header=BB2_2491 Depth=3
	s_mov_b32 s14, -1
                                        ; implicit-def: $vgpr160
.LBB2_2676:                             ;   in Loop: Header=BB2_2491 Depth=3
	s_delay_alu instid0(SALU_CYCLE_1)
	s_and_b32 vcc_lo, exec_lo, s14
	s_cbranch_vccz .LBB2_2686
; %bb.2677:                             ;   in Loop: Header=BB2_2491 Depth=3
	s_mov_b32 s14, 0
	s_mov_b32 s34, exec_lo
                                        ; implicit-def: $sgpr15
	v_cmpx_lt_i16_e64 0x7f, v151
	s_xor_b32 s34, exec_lo, s34
	s_cbranch_execnz .LBB2_3062
; %bb.2678:                             ;   in Loop: Header=BB2_2491 Depth=3
	s_or_saveexec_b32 s34, s34
	v_mov_b32_e32 v160, s15
	s_xor_b32 exec_lo, exec_lo, s34
	s_cbranch_execnz .LBB2_3065
.LBB2_2679:                             ;   in Loop: Header=BB2_2491 Depth=3
	s_or_b32 exec_lo, exec_lo, s34
	s_and_saveexec_b32 s15, s14
	s_cbranch_execz .LBB2_2681
.LBB2_2680:                             ;   in Loop: Header=BB2_2491 Depth=3
	v_bfe_u32 v151, v13, 16, 3
	v_bfe_u32 v162, v13, 19, 4
	s_delay_alu instid0(VALU_DEP_2) | instskip(NEXT) | instid1(VALU_DEP_2)
	v_clz_i32_u32_e32 v160, v151
	v_cmp_eq_u32_e32 vcc_lo, 0, v162
	s_delay_alu instid0(VALU_DEP_2) | instskip(NEXT) | instid1(VALU_DEP_1)
	v_min_u32_e32 v160, 32, v160
	v_subrev_nc_u32_e32 v161, 28, v160
	v_sub_nc_u32_e32 v160, 29, v160
	s_delay_alu instid0(VALU_DEP_1) | instskip(NEXT) | instid1(VALU_DEP_1)
	v_dual_cndmask_b32 v160, v162, v160 :: v_dual_lshlrev_b32 v161, v161, v150
	v_and_b32_e32 v161, 7, v161
	v_lshlrev_b32_e32 v150, 24, v150
	s_delay_alu instid0(VALU_DEP_3) | instskip(NEXT) | instid1(VALU_DEP_2)
	v_lshl_add_u32 v160, v160, 23, 0x3b800000
	v_dual_cndmask_b32 v151, v151, v161 :: v_dual_and_b32 v150, 0x80000000, v150
	s_delay_alu instid0(VALU_DEP_1) | instskip(NEXT) | instid1(VALU_DEP_1)
	v_lshlrev_b32_e32 v151, 20, v151
	v_or3_b32 v160, v150, v160, v151
.LBB2_2681:                             ;   in Loop: Header=BB2_2491 Depth=3
	s_or_b32 exec_lo, exec_lo, s15
	v_and_b32_e32 v151, 0xff, v149
	s_mov_b32 s14, 0
	s_mov_b32 s34, exec_lo
                                        ; implicit-def: $sgpr15
	s_delay_alu instid0(VALU_DEP_1)
	v_cmpx_lt_i16_e64 0x7f, v151
	s_xor_b32 s34, exec_lo, s34
	s_cbranch_execnz .LBB2_3066
; %bb.2682:                             ;   in Loop: Header=BB2_2491 Depth=3
	s_or_saveexec_b32 s34, s34
	v_mov_b32_e32 v150, s15
	s_xor_b32 exec_lo, exec_lo, s34
	s_cbranch_execnz .LBB2_3069
.LBB2_2683:                             ;   in Loop: Header=BB2_2491 Depth=3
	s_or_b32 exec_lo, exec_lo, s34
	s_and_saveexec_b32 s15, s14
	s_cbranch_execz .LBB2_2685
.LBB2_2684:                             ;   in Loop: Header=BB2_2491 Depth=3
	v_bfe_u32 v150, v9, 16, 3
	v_bfe_u32 v162, v9, 19, 4
	s_delay_alu instid0(VALU_DEP_2) | instskip(NEXT) | instid1(VALU_DEP_2)
	v_clz_i32_u32_e32 v151, v150
	v_cmp_eq_u32_e32 vcc_lo, 0, v162
	s_delay_alu instid0(VALU_DEP_2) | instskip(NEXT) | instid1(VALU_DEP_1)
	v_min_u32_e32 v151, 32, v151
	v_subrev_nc_u32_e32 v161, 28, v151
	v_sub_nc_u32_e32 v151, 29, v151
	s_delay_alu instid0(VALU_DEP_2) | instskip(SKIP_1) | instid1(VALU_DEP_2)
	v_lshlrev_b32_e32 v161, v161, v149
	v_lshlrev_b32_e32 v149, 24, v149
	v_and_b32_e32 v161, 7, v161
	s_delay_alu instid0(VALU_DEP_2) | instskip(NEXT) | instid1(VALU_DEP_2)
	v_and_b32_e32 v149, 0x80000000, v149
	v_cndmask_b32_e32 v150, v150, v161, vcc_lo
	s_delay_alu instid0(VALU_DEP_1) | instskip(NEXT) | instid1(VALU_DEP_1)
	v_dual_cndmask_b32 v151, v162, v151 :: v_dual_lshlrev_b32 v150, 20, v150
	v_lshl_add_u32 v151, v151, 23, 0x3b800000
	s_delay_alu instid0(VALU_DEP_1)
	v_or3_b32 v150, v149, v151, v150
.LBB2_2685:                             ;   in Loop: Header=BB2_2491 Depth=3
	s_or_b32 exec_lo, exec_lo, s15
	s_delay_alu instid0(VALU_DEP_1) | instskip(NEXT) | instid1(VALU_DEP_1)
	v_dual_max_f32 v149, v150, v150 :: v_dual_max_f32 v150, v160, v160
	v_min_f32_e32 v160, v150, v149
.LBB2_2686:                             ;   in Loop: Header=BB2_2491 Depth=3
	s_delay_alu instid0(VALU_DEP_1) | instskip(NEXT) | instid1(VALU_DEP_1)
	v_and_b32_e32 v149, 0x7f800000, v160
	v_cmp_ne_u32_e32 vcc_lo, 0x7f800000, v149
	v_mov_b32_e32 v149, 0x80
	s_and_saveexec_b32 s15, vcc_lo
	s_cbranch_execz .LBB2_2694
; %bb.2687:                             ;   in Loop: Header=BB2_2491 Depth=3
	v_mov_b32_e32 v149, 0
	s_mov_b32 s34, exec_lo
	v_cmpx_ne_u32_e32 0, v160
	s_cbranch_execz .LBB2_2693
; %bb.2688:                             ;   in Loop: Header=BB2_2491 Depth=3
	v_bfe_u32 v149, v160, 23, 8
	s_delay_alu instid0(VALU_DEP_1) | instskip(SKIP_1) | instid1(VALU_DEP_2)
	v_sub_nc_u32_e32 v151, 0x78, v149
	v_cmp_gt_u32_e32 vcc_lo, 0x79, v149
	v_dual_cndmask_b32 v151, 0, v151 :: v_dual_and_b32 v150, 0x7fffff, v160
	s_delay_alu instid0(VALU_DEP_1) | instskip(SKIP_2) | instid1(VALU_DEP_4)
	v_or_b32_e32 v161, 0x800000, v150
	v_cmp_eq_u32_e32 vcc_lo, 0, v149
	v_add_nc_u32_e32 v149, 0xffffff89, v149
	v_cndmask_b32_e64 v151, v151, 0x77, vcc_lo
	s_delay_alu instid0(VALU_DEP_4) | instskip(NEXT) | instid1(VALU_DEP_3)
	v_cndmask_b32_e32 v150, v161, v150, vcc_lo
	v_cndmask_b32_e64 v149, v149, 0xffffff8a, vcc_lo
	s_delay_alu instid0(VALU_DEP_3) | instskip(NEXT) | instid1(VALU_DEP_3)
	v_lshl_add_u32 v161, 0x100000, v151, -1
	v_lshrrev_b32_e32 v162, v151, v150
	v_lshlrev_b32_e64 v164, v151, 0x80000
	s_delay_alu instid0(VALU_DEP_4) | instskip(NEXT) | instid1(VALU_DEP_4)
	v_add_nc_u32_e32 v151, v151, v149
	v_and_b32_e32 v150, v161, v150
	s_delay_alu instid0(VALU_DEP_4) | instskip(NEXT) | instid1(VALU_DEP_2)
	v_bfe_u32 v163, v162, 20, 1
	v_cmp_eq_u32_e64 s14, v150, v164
	s_delay_alu instid0(VALU_DEP_2) | instskip(NEXT) | instid1(VALU_DEP_1)
	v_add_nc_u32_e32 v161, -1, v163
	v_cndmask_b32_e64 v150, 0, v161, s14
	v_lshrrev_b32_e32 v161, 23, v162
	s_mov_b32 s14, exec_lo
	s_delay_alu instid0(VALU_DEP_2) | instskip(NEXT) | instid1(VALU_DEP_2)
	v_add_nc_u32_e32 v150, v150, v162
	v_xor_b32_e32 v161, 1, v161
	s_delay_alu instid0(VALU_DEP_2) | instskip(NEXT) | instid1(VALU_DEP_1)
	v_and_b32_e32 v149, 0xfffff, v150
	v_add_nc_u32_e32 v150, v149, v162
                                        ; implicit-def: $vgpr149
	s_delay_alu instid0(VALU_DEP_3)
	v_cmpx_ne_u32_e64 v151, v161
	s_xor_b32 s14, exec_lo, s14
; %bb.2689:                             ;   in Loop: Header=BB2_2491 Depth=3
	s_delay_alu instid0(VALU_DEP_2) | instskip(SKIP_2) | instid1(VALU_DEP_2)
	v_cmp_lt_u32_e32 vcc_lo, 0xffffff, v150
	v_sub_nc_u32_e32 v149, v151, v161
	v_cndmask_b32_e64 v151, 0, 1, vcc_lo
	v_add_co_ci_u32_e32 v149, vcc_lo, 0, v149, vcc_lo
	s_delay_alu instid0(VALU_DEP_2)
	v_lshrrev_b32_e32 v150, v151, v150
; %bb.2690:                             ;   in Loop: Header=BB2_2491 Depth=3
	s_and_not1_saveexec_b32 s14, s14
; %bb.2691:                             ;   in Loop: Header=BB2_2491 Depth=3
	s_delay_alu instid0(VALU_DEP_1)
	v_bfe_u32 v149, v150, 23, 1
; %bb.2692:                             ;   in Loop: Header=BB2_2491 Depth=3
	s_or_b32 exec_lo, exec_lo, s14
	v_lshrrev_b32_e32 v150, 20, v150
	s_delay_alu instid0(VALU_DEP_2) | instskip(SKIP_2) | instid1(VALU_DEP_2)
	v_cmp_gt_i32_e32 vcc_lo, 16, v149
	v_min_i32_e32 v151, 15, v149
	v_lshrrev_b32_e32 v160, 24, v160
	v_dual_cndmask_b32 v150, 7, v150 :: v_dual_lshlrev_b32 v151, 3, v151
	s_delay_alu instid0(VALU_DEP_1) | instskip(SKIP_1) | instid1(VALU_DEP_3)
	v_or_b32_e32 v149, v149, v150
	v_and_b32_e32 v161, 7, v150
	v_and_b32_e32 v151, 0xf8, v151
	s_delay_alu instid0(VALU_DEP_3) | instskip(SKIP_1) | instid1(VALU_DEP_1)
	v_cmp_ne_u32_e32 vcc_lo, 0, v149
	v_and_b32_e32 v160, 0x80, v160
	v_or3_b32 v150, v151, v160, v161
	s_delay_alu instid0(VALU_DEP_1)
	v_cndmask_b32_e32 v149, 0, v150, vcc_lo
.LBB2_2693:                             ;   in Loop: Header=BB2_2491 Depth=3
	s_or_b32 exec_lo, exec_lo, s34
.LBB2_2694:                             ;   in Loop: Header=BB2_2491 Depth=3
	s_delay_alu instid0(SALU_CYCLE_1) | instskip(SKIP_3) | instid1(VALU_DEP_2)
	s_or_b32 exec_lo, exec_lo, s15
	v_lshrrev_b32_e32 v151, 24, v13
	v_lshrrev_b32_e32 v150, 24, v9
	s_and_b32 vcc_lo, exec_lo, s31
	v_cmp_lt_i16_e64 s14, 0x7f, v151
	s_cbranch_vccz .LBB2_2704
; %bb.2695:                             ;   in Loop: Header=BB2_2491 Depth=3
	s_mov_b32 s15, 0
                                        ; implicit-def: $sgpr34
	s_delay_alu instid0(VALU_DEP_1) | instskip(NEXT) | instid1(SALU_CYCLE_1)
	s_and_saveexec_b32 vcc_lo, s14
	s_xor_b32 s14, exec_lo, vcc_lo
	s_cbranch_execnz .LBB2_3070
; %bb.2696:                             ;   in Loop: Header=BB2_2491 Depth=3
	s_or_saveexec_b32 s14, s14
	v_mov_b32_e32 v160, s34
	s_xor_b32 exec_lo, exec_lo, s14
	s_cbranch_execnz .LBB2_3073
.LBB2_2697:                             ;   in Loop: Header=BB2_2491 Depth=3
	s_or_b32 exec_lo, exec_lo, s14
	s_and_saveexec_b32 s14, s15
	s_cbranch_execz .LBB2_2699
.LBB2_2698:                             ;   in Loop: Header=BB2_2491 Depth=3
	v_bfe_u32 v160, v13, 24, 3
	v_bfe_u32 v163, v13, 27, 4
	s_delay_alu instid0(VALU_DEP_2) | instskip(NEXT) | instid1(VALU_DEP_2)
	v_clz_i32_u32_e32 v161, v160
	v_cmp_eq_u32_e32 vcc_lo, 0, v163
	s_delay_alu instid0(VALU_DEP_2) | instskip(NEXT) | instid1(VALU_DEP_1)
	v_min_u32_e32 v161, 32, v161
	v_subrev_nc_u32_e32 v162, 28, v161
	v_sub_nc_u32_e32 v161, 29, v161
	s_delay_alu instid0(VALU_DEP_1) | instskip(NEXT) | instid1(VALU_DEP_1)
	v_dual_cndmask_b32 v161, v163, v161 :: v_dual_lshlrev_b32 v162, v162, v151
	v_and_b32_e32 v162, 7, v162
	s_delay_alu instid0(VALU_DEP_2) | instskip(NEXT) | instid1(VALU_DEP_2)
	v_lshl_add_u32 v161, v161, 23, 0x3b800000
	v_cndmask_b32_e32 v160, v160, v162, vcc_lo
	v_and_b32_e32 v162, 0x80000000, v13
	s_delay_alu instid0(VALU_DEP_2) | instskip(NEXT) | instid1(VALU_DEP_1)
	v_lshlrev_b32_e32 v160, 20, v160
	v_or3_b32 v160, v162, v161, v160
.LBB2_2699:                             ;   in Loop: Header=BB2_2491 Depth=3
	s_or_b32 exec_lo, exec_lo, s14
	s_mov_b32 s14, 0
	s_mov_b32 s34, exec_lo
                                        ; implicit-def: $sgpr15
	v_cmpx_lt_i16_e64 0x7f, v150
	s_xor_b32 s34, exec_lo, s34
	s_cbranch_execnz .LBB2_3074
; %bb.2700:                             ;   in Loop: Header=BB2_2491 Depth=3
	s_or_saveexec_b32 s34, s34
	v_mov_b32_e32 v161, s15
	s_xor_b32 exec_lo, exec_lo, s34
	s_cbranch_execnz .LBB2_3077
.LBB2_2701:                             ;   in Loop: Header=BB2_2491 Depth=3
	s_or_b32 exec_lo, exec_lo, s34
	s_and_saveexec_b32 s15, s14
	s_cbranch_execz .LBB2_2703
.LBB2_2702:                             ;   in Loop: Header=BB2_2491 Depth=3
	v_bfe_u32 v161, v9, 24, 3
	v_bfe_u32 v164, v9, 27, 4
	s_delay_alu instid0(VALU_DEP_2) | instskip(NEXT) | instid1(VALU_DEP_2)
	v_clz_i32_u32_e32 v162, v161
	v_cmp_eq_u32_e32 vcc_lo, 0, v164
	s_delay_alu instid0(VALU_DEP_2) | instskip(NEXT) | instid1(VALU_DEP_1)
	v_min_u32_e32 v162, 32, v162
	v_subrev_nc_u32_e32 v163, 28, v162
	v_sub_nc_u32_e32 v162, 29, v162
	s_delay_alu instid0(VALU_DEP_2) | instskip(NEXT) | instid1(VALU_DEP_1)
	v_lshlrev_b32_e32 v163, v163, v150
	v_dual_cndmask_b32 v162, v164, v162 :: v_dual_and_b32 v163, 7, v163
	s_delay_alu instid0(VALU_DEP_1) | instskip(NEXT) | instid1(VALU_DEP_2)
	v_lshl_add_u32 v162, v162, 23, 0x3b800000
	v_cndmask_b32_e32 v161, v161, v163, vcc_lo
	v_and_b32_e32 v163, 0x80000000, v9
	s_delay_alu instid0(VALU_DEP_2) | instskip(NEXT) | instid1(VALU_DEP_1)
	v_lshlrev_b32_e32 v161, 20, v161
	v_or3_b32 v161, v163, v162, v161
.LBB2_2703:                             ;   in Loop: Header=BB2_2491 Depth=3
	s_or_b32 exec_lo, exec_lo, s15
	s_delay_alu instid0(VALU_DEP_1) | instskip(SKIP_1) | instid1(VALU_DEP_1)
	v_dual_max_f32 v161, v161, v161 :: v_dual_max_f32 v160, v160, v160
	s_mov_b32 s14, 0
	v_max_f32_e32 v160, v160, v161
	s_branch .LBB2_2705
.LBB2_2704:                             ;   in Loop: Header=BB2_2491 Depth=3
	s_mov_b32 s14, -1
                                        ; implicit-def: $vgpr160
.LBB2_2705:                             ;   in Loop: Header=BB2_2491 Depth=3
	s_delay_alu instid0(SALU_CYCLE_1)
	s_and_b32 vcc_lo, exec_lo, s14
	s_cbranch_vccz .LBB2_2715
; %bb.2706:                             ;   in Loop: Header=BB2_2491 Depth=3
	s_mov_b32 s14, 0
	s_mov_b32 s34, exec_lo
                                        ; implicit-def: $sgpr15
	v_cmpx_lt_i16_e64 0x7f, v151
	s_xor_b32 s34, exec_lo, s34
	s_cbranch_execnz .LBB2_3078
; %bb.2707:                             ;   in Loop: Header=BB2_2491 Depth=3
	s_or_saveexec_b32 s34, s34
	v_mov_b32_e32 v160, s15
	s_xor_b32 exec_lo, exec_lo, s34
	s_cbranch_execnz .LBB2_3081
.LBB2_2708:                             ;   in Loop: Header=BB2_2491 Depth=3
	s_or_b32 exec_lo, exec_lo, s34
	s_and_saveexec_b32 s15, s14
	s_cbranch_execz .LBB2_2710
.LBB2_2709:                             ;   in Loop: Header=BB2_2491 Depth=3
	v_bfe_u32 v160, v13, 24, 3
	s_delay_alu instid0(VALU_DEP_1) | instskip(NEXT) | instid1(VALU_DEP_1)
	v_clz_i32_u32_e32 v161, v160
	v_min_u32_e32 v161, 32, v161
	s_delay_alu instid0(VALU_DEP_1) | instskip(SKIP_1) | instid1(VALU_DEP_2)
	v_subrev_nc_u32_e32 v162, 28, v161
	v_sub_nc_u32_e32 v161, 29, v161
	v_lshlrev_b32_e32 v151, v162, v151
	v_bfe_u32 v162, v13, 27, 4
	v_and_b32_e32 v13, 0x80000000, v13
	s_delay_alu instid0(VALU_DEP_3) | instskip(NEXT) | instid1(VALU_DEP_3)
	v_and_b32_e32 v151, 7, v151
	v_cmp_eq_u32_e32 vcc_lo, 0, v162
	v_cndmask_b32_e32 v161, v162, v161, vcc_lo
	s_delay_alu instid0(VALU_DEP_3) | instskip(NEXT) | instid1(VALU_DEP_2)
	v_cndmask_b32_e32 v151, v160, v151, vcc_lo
	v_lshl_add_u32 v160, v161, 23, 0x3b800000
	s_delay_alu instid0(VALU_DEP_2) | instskip(NEXT) | instid1(VALU_DEP_1)
	v_lshlrev_b32_e32 v151, 20, v151
	v_or3_b32 v160, v13, v160, v151
.LBB2_2710:                             ;   in Loop: Header=BB2_2491 Depth=3
	s_or_b32 exec_lo, exec_lo, s15
	s_mov_b32 s14, 0
	s_mov_b32 s34, exec_lo
                                        ; implicit-def: $sgpr15
	v_cmpx_lt_i16_e64 0x7f, v150
	s_xor_b32 s34, exec_lo, s34
	s_cbranch_execnz .LBB2_3082
; %bb.2711:                             ;   in Loop: Header=BB2_2491 Depth=3
	s_or_saveexec_b32 s34, s34
	v_mov_b32_e32 v13, s15
	s_xor_b32 exec_lo, exec_lo, s34
	s_cbranch_execnz .LBB2_3085
.LBB2_2712:                             ;   in Loop: Header=BB2_2491 Depth=3
	s_or_b32 exec_lo, exec_lo, s34
	s_and_saveexec_b32 s15, s14
	s_cbranch_execz .LBB2_2714
.LBB2_2713:                             ;   in Loop: Header=BB2_2491 Depth=3
	v_bfe_u32 v13, v9, 24, 3
	s_delay_alu instid0(VALU_DEP_1) | instskip(NEXT) | instid1(VALU_DEP_1)
	v_clz_i32_u32_e32 v151, v13
	v_min_u32_e32 v151, 32, v151
	s_delay_alu instid0(VALU_DEP_1) | instskip(SKIP_1) | instid1(VALU_DEP_2)
	v_subrev_nc_u32_e32 v161, 28, v151
	v_sub_nc_u32_e32 v151, 29, v151
	v_lshlrev_b32_e32 v150, v161, v150
	v_bfe_u32 v161, v9, 27, 4
	v_and_b32_e32 v9, 0x80000000, v9
	s_delay_alu instid0(VALU_DEP_2) | instskip(NEXT) | instid1(VALU_DEP_4)
	v_cmp_eq_u32_e32 vcc_lo, 0, v161
	v_dual_cndmask_b32 v151, v161, v151 :: v_dual_and_b32 v150, 7, v150
	s_delay_alu instid0(VALU_DEP_1) | instskip(NEXT) | instid1(VALU_DEP_2)
	v_cndmask_b32_e32 v13, v13, v150, vcc_lo
	v_lshl_add_u32 v150, v151, 23, 0x3b800000
	s_delay_alu instid0(VALU_DEP_2) | instskip(NEXT) | instid1(VALU_DEP_1)
	v_lshlrev_b32_e32 v13, 20, v13
	v_or3_b32 v13, v9, v150, v13
.LBB2_2714:                             ;   in Loop: Header=BB2_2491 Depth=3
	s_or_b32 exec_lo, exec_lo, s15
	s_delay_alu instid0(VALU_DEP_1) | instskip(SKIP_1) | instid1(VALU_DEP_1)
	v_max_f32_e32 v9, v13, v13
	v_max_f32_e32 v13, v160, v160
	v_min_f32_e32 v160, v13, v9
.LBB2_2715:                             ;   in Loop: Header=BB2_2491 Depth=3
	s_delay_alu instid0(VALU_DEP_1) | instskip(NEXT) | instid1(VALU_DEP_1)
	v_and_b32_e32 v9, 0x7f800000, v160
	v_cmp_ne_u32_e32 vcc_lo, 0x7f800000, v9
	v_mov_b32_e32 v9, 0x8000
	s_and_saveexec_b32 s15, vcc_lo
	s_cbranch_execz .LBB2_2723
; %bb.2716:                             ;   in Loop: Header=BB2_2491 Depth=3
	v_mov_b32_e32 v9, 0
	s_mov_b32 s34, exec_lo
	v_cmpx_ne_u32_e32 0, v160
	s_cbranch_execz .LBB2_2722
; %bb.2717:                             ;   in Loop: Header=BB2_2491 Depth=3
	v_bfe_u32 v9, v160, 23, 8
	s_delay_alu instid0(VALU_DEP_1) | instskip(SKIP_1) | instid1(VALU_DEP_2)
	v_sub_nc_u32_e32 v150, 0x78, v9
	v_cmp_gt_u32_e32 vcc_lo, 0x79, v9
	v_dual_cndmask_b32 v150, 0, v150 :: v_dual_and_b32 v13, 0x7fffff, v160
	s_delay_alu instid0(VALU_DEP_1) | instskip(SKIP_2) | instid1(VALU_DEP_4)
	v_or_b32_e32 v151, 0x800000, v13
	v_cmp_eq_u32_e32 vcc_lo, 0, v9
	v_add_nc_u32_e32 v9, 0xffffff89, v9
	v_cndmask_b32_e64 v150, v150, 0x77, vcc_lo
	s_delay_alu instid0(VALU_DEP_4) | instskip(NEXT) | instid1(VALU_DEP_3)
	v_cndmask_b32_e32 v13, v151, v13, vcc_lo
	v_cndmask_b32_e64 v9, v9, 0xffffff8a, vcc_lo
	s_delay_alu instid0(VALU_DEP_3) | instskip(NEXT) | instid1(VALU_DEP_3)
	v_lshl_add_u32 v151, 0x100000, v150, -1
	v_lshrrev_b32_e32 v161, v150, v13
	v_lshlrev_b32_e64 v163, v150, 0x80000
	s_delay_alu instid0(VALU_DEP_4) | instskip(NEXT) | instid1(VALU_DEP_4)
	v_add_nc_u32_e32 v150, v150, v9
	v_and_b32_e32 v13, v151, v13
	s_delay_alu instid0(VALU_DEP_4) | instskip(NEXT) | instid1(VALU_DEP_2)
	v_bfe_u32 v162, v161, 20, 1
	v_cmp_eq_u32_e64 s14, v13, v163
	s_delay_alu instid0(VALU_DEP_2) | instskip(NEXT) | instid1(VALU_DEP_1)
	v_add_nc_u32_e32 v151, -1, v162
	v_cndmask_b32_e64 v13, 0, v151, s14
	v_lshrrev_b32_e32 v151, 23, v161
	s_mov_b32 s14, exec_lo
	s_delay_alu instid0(VALU_DEP_2) | instskip(NEXT) | instid1(VALU_DEP_2)
	v_add_nc_u32_e32 v13, v13, v161
	v_xor_b32_e32 v151, 1, v151
	s_delay_alu instid0(VALU_DEP_2) | instskip(NEXT) | instid1(VALU_DEP_1)
	v_and_b32_e32 v9, 0xfffff, v13
	v_add_nc_u32_e32 v13, v9, v161
                                        ; implicit-def: $vgpr9
	s_delay_alu instid0(VALU_DEP_3)
	v_cmpx_ne_u32_e64 v150, v151
	s_xor_b32 s14, exec_lo, s14
; %bb.2718:                             ;   in Loop: Header=BB2_2491 Depth=3
	s_delay_alu instid0(VALU_DEP_2) | instskip(SKIP_2) | instid1(VALU_DEP_2)
	v_cmp_lt_u32_e32 vcc_lo, 0xffffff, v13
	v_sub_nc_u32_e32 v9, v150, v151
	v_cndmask_b32_e64 v150, 0, 1, vcc_lo
	v_add_co_ci_u32_e32 v9, vcc_lo, 0, v9, vcc_lo
	s_delay_alu instid0(VALU_DEP_2)
	v_lshrrev_b32_e32 v13, v150, v13
; %bb.2719:                             ;   in Loop: Header=BB2_2491 Depth=3
	s_and_not1_saveexec_b32 s14, s14
; %bb.2720:                             ;   in Loop: Header=BB2_2491 Depth=3
	s_delay_alu instid0(VALU_DEP_1)
	v_bfe_u32 v9, v13, 23, 1
; %bb.2721:                             ;   in Loop: Header=BB2_2491 Depth=3
	s_or_b32 exec_lo, exec_lo, s14
	v_lshrrev_b32_e32 v13, 20, v13
	s_delay_alu instid0(VALU_DEP_2) | instskip(SKIP_2) | instid1(VALU_DEP_2)
	v_cmp_gt_i32_e32 vcc_lo, 16, v9
	v_min_i32_e32 v150, 15, v9
	v_lshrrev_b32_e32 v151, 24, v160
	v_dual_cndmask_b32 v13, 7, v13 :: v_dual_lshlrev_b32 v150, 3, v150
	s_delay_alu instid0(VALU_DEP_2) | instskip(NEXT) | instid1(VALU_DEP_2)
	v_and_b32_e32 v151, 0x80, v151
	v_or_b32_e32 v9, v9, v13
	v_and_b32_e32 v160, 7, v13
	s_delay_alu instid0(VALU_DEP_2) | instskip(SKIP_1) | instid1(VALU_DEP_1)
	v_cmp_ne_u32_e32 vcc_lo, 0, v9
	v_and_b32_e32 v150, 0xf8, v150
	v_or3_b32 v150, v151, v150, v160
	s_delay_alu instid0(VALU_DEP_1) | instskip(NEXT) | instid1(VALU_DEP_1)
	v_lshlrev_b32_e32 v13, 8, v150
	v_cndmask_b32_e32 v9, 0, v13, vcc_lo
.LBB2_2722:                             ;   in Loop: Header=BB2_2491 Depth=3
	s_or_b32 exec_lo, exec_lo, s34
.LBB2_2723:                             ;   in Loop: Header=BB2_2491 Depth=3
	s_delay_alu instid0(SALU_CYCLE_1) | instskip(SKIP_2) | instid1(VALU_DEP_1)
	s_or_b32 exec_lo, exec_lo, s15
	v_and_b32_e32 v13, 0xff, v14
	s_and_b32 vcc_lo, exec_lo, s31
	v_cmp_lt_i16_e64 s14, 0x7f, v13
	s_cbranch_vccz .LBB2_2733
; %bb.2724:                             ;   in Loop: Header=BB2_2491 Depth=3
	s_mov_b32 s15, 0
                                        ; implicit-def: $sgpr34
	s_delay_alu instid0(VALU_DEP_1) | instskip(NEXT) | instid1(SALU_CYCLE_1)
	s_and_saveexec_b32 vcc_lo, s14
	s_xor_b32 s14, exec_lo, vcc_lo
	s_cbranch_execnz .LBB2_3086
; %bb.2725:                             ;   in Loop: Header=BB2_2491 Depth=3
	s_or_saveexec_b32 s14, s14
	v_mov_b32_e32 v150, s34
	s_xor_b32 exec_lo, exec_lo, s14
	s_cbranch_execnz .LBB2_3089
.LBB2_2726:                             ;   in Loop: Header=BB2_2491 Depth=3
	s_or_b32 exec_lo, exec_lo, s14
	s_and_saveexec_b32 s14, s15
	s_cbranch_execz .LBB2_2728
.LBB2_2727:                             ;   in Loop: Header=BB2_2491 Depth=3
	v_bfe_u32 v161, v14, 3, 4
	v_lshlrev_b32_e32 v162, 24, v14
	s_delay_alu instid0(VALU_DEP_2) | instskip(SKIP_1) | instid1(VALU_DEP_1)
	v_cmp_eq_u32_e32 vcc_lo, 0, v161
	v_and_b32_e32 v150, 7, v14
	v_clz_i32_u32_e32 v151, v150
	s_delay_alu instid0(VALU_DEP_1) | instskip(NEXT) | instid1(VALU_DEP_1)
	v_min_u32_e32 v151, 32, v151
	v_subrev_nc_u32_e32 v160, 28, v151
	v_sub_nc_u32_e32 v151, 29, v151
	s_delay_alu instid0(VALU_DEP_1) | instskip(NEXT) | instid1(VALU_DEP_1)
	v_dual_cndmask_b32 v151, v161, v151 :: v_dual_lshlrev_b32 v160, v160, v14
	v_and_b32_e32 v160, 7, v160
	s_delay_alu instid0(VALU_DEP_2) | instskip(NEXT) | instid1(VALU_DEP_2)
	v_lshl_add_u32 v151, v151, 23, 0x3b800000
	v_cndmask_b32_e32 v150, v150, v160, vcc_lo
	v_and_b32_e32 v160, 0x80000000, v162
	s_delay_alu instid0(VALU_DEP_2) | instskip(NEXT) | instid1(VALU_DEP_1)
	v_lshlrev_b32_e32 v150, 20, v150
	v_or3_b32 v150, v160, v151, v150
.LBB2_2728:                             ;   in Loop: Header=BB2_2491 Depth=3
	s_or_b32 exec_lo, exec_lo, s14
	v_and_b32_e32 v160, 0xff, v10
	s_mov_b32 s14, 0
	s_mov_b32 s34, exec_lo
                                        ; implicit-def: $sgpr15
	s_delay_alu instid0(VALU_DEP_1)
	v_cmpx_lt_i16_e64 0x7f, v160
	s_xor_b32 s34, exec_lo, s34
	s_cbranch_execnz .LBB2_3090
; %bb.2729:                             ;   in Loop: Header=BB2_2491 Depth=3
	s_or_saveexec_b32 s34, s34
	v_mov_b32_e32 v151, s15
	s_xor_b32 exec_lo, exec_lo, s34
	s_cbranch_execnz .LBB2_3093
.LBB2_2730:                             ;   in Loop: Header=BB2_2491 Depth=3
	s_or_b32 exec_lo, exec_lo, s34
	s_and_saveexec_b32 s15, s14
	s_cbranch_execz .LBB2_2732
.LBB2_2731:                             ;   in Loop: Header=BB2_2491 Depth=3
	v_bfe_u32 v162, v10, 3, 4
	v_lshlrev_b32_e32 v163, 24, v10
	s_delay_alu instid0(VALU_DEP_2) | instskip(SKIP_1) | instid1(VALU_DEP_1)
	v_cmp_eq_u32_e32 vcc_lo, 0, v162
	v_and_b32_e32 v151, 7, v10
	v_clz_i32_u32_e32 v160, v151
	s_delay_alu instid0(VALU_DEP_1) | instskip(NEXT) | instid1(VALU_DEP_1)
	v_min_u32_e32 v160, 32, v160
	v_subrev_nc_u32_e32 v161, 28, v160
	v_sub_nc_u32_e32 v160, 29, v160
	s_delay_alu instid0(VALU_DEP_1) | instskip(NEXT) | instid1(VALU_DEP_1)
	v_dual_cndmask_b32 v160, v162, v160 :: v_dual_lshlrev_b32 v161, v161, v10
	v_and_b32_e32 v161, 7, v161
	s_delay_alu instid0(VALU_DEP_2) | instskip(NEXT) | instid1(VALU_DEP_2)
	v_lshl_add_u32 v160, v160, 23, 0x3b800000
	v_cndmask_b32_e32 v151, v151, v161, vcc_lo
	v_and_b32_e32 v161, 0x80000000, v163
	s_delay_alu instid0(VALU_DEP_2) | instskip(NEXT) | instid1(VALU_DEP_1)
	v_lshlrev_b32_e32 v151, 20, v151
	v_or3_b32 v151, v161, v160, v151
.LBB2_2732:                             ;   in Loop: Header=BB2_2491 Depth=3
	s_or_b32 exec_lo, exec_lo, s15
	s_delay_alu instid0(VALU_DEP_1) | instskip(SKIP_1) | instid1(VALU_DEP_1)
	v_dual_max_f32 v151, v151, v151 :: v_dual_max_f32 v150, v150, v150
	s_mov_b32 s14, 0
	v_max_f32_e32 v150, v150, v151
	s_branch .LBB2_2734
.LBB2_2733:                             ;   in Loop: Header=BB2_2491 Depth=3
	s_mov_b32 s14, -1
                                        ; implicit-def: $vgpr150
.LBB2_2734:                             ;   in Loop: Header=BB2_2491 Depth=3
	s_delay_alu instid0(SALU_CYCLE_1)
	s_and_b32 vcc_lo, exec_lo, s14
	s_cbranch_vccz .LBB2_2744
; %bb.2735:                             ;   in Loop: Header=BB2_2491 Depth=3
	s_mov_b32 s14, 0
	s_mov_b32 s34, exec_lo
                                        ; implicit-def: $sgpr15
	v_cmpx_lt_i16_e32 0x7f, v13
	s_xor_b32 s34, exec_lo, s34
	s_cbranch_execnz .LBB2_3094
; %bb.2736:                             ;   in Loop: Header=BB2_2491 Depth=3
	s_or_saveexec_b32 s34, s34
	v_mov_b32_e32 v150, s15
	s_xor_b32 exec_lo, exec_lo, s34
	s_cbranch_execnz .LBB2_3097
.LBB2_2737:                             ;   in Loop: Header=BB2_2491 Depth=3
	s_or_b32 exec_lo, exec_lo, s34
	s_and_saveexec_b32 s15, s14
	s_cbranch_execz .LBB2_2739
.LBB2_2738:                             ;   in Loop: Header=BB2_2491 Depth=3
	v_and_b32_e32 v13, 7, v14
	v_bfe_u32 v160, v14, 3, 4
	v_lshlrev_b32_e32 v161, 24, v14
	s_delay_alu instid0(VALU_DEP_3) | instskip(NEXT) | instid1(VALU_DEP_3)
	v_clz_i32_u32_e32 v150, v13
	v_cmp_eq_u32_e32 vcc_lo, 0, v160
	s_delay_alu instid0(VALU_DEP_2) | instskip(NEXT) | instid1(VALU_DEP_1)
	v_min_u32_e32 v150, 32, v150
	v_subrev_nc_u32_e32 v151, 28, v150
	v_sub_nc_u32_e32 v150, 29, v150
	s_delay_alu instid0(VALU_DEP_2) | instskip(NEXT) | instid1(VALU_DEP_1)
	v_lshlrev_b32_e32 v151, v151, v14
	v_dual_cndmask_b32 v150, v160, v150 :: v_dual_and_b32 v151, 7, v151
	s_delay_alu instid0(VALU_DEP_1) | instskip(NEXT) | instid1(VALU_DEP_2)
	v_lshl_add_u32 v150, v150, 23, 0x3b800000
	v_cndmask_b32_e32 v13, v13, v151, vcc_lo
	v_and_b32_e32 v151, 0x80000000, v161
	s_delay_alu instid0(VALU_DEP_2) | instskip(NEXT) | instid1(VALU_DEP_1)
	v_lshlrev_b32_e32 v13, 20, v13
	v_or3_b32 v150, v151, v150, v13
.LBB2_2739:                             ;   in Loop: Header=BB2_2491 Depth=3
	s_or_b32 exec_lo, exec_lo, s15
	v_and_b32_e32 v151, 0xff, v10
	s_mov_b32 s14, 0
	s_mov_b32 s34, exec_lo
                                        ; implicit-def: $sgpr15
	s_delay_alu instid0(VALU_DEP_1)
	v_cmpx_lt_i16_e64 0x7f, v151
	s_xor_b32 s34, exec_lo, s34
	s_cbranch_execnz .LBB2_3098
; %bb.2740:                             ;   in Loop: Header=BB2_2491 Depth=3
	s_or_saveexec_b32 s34, s34
	v_mov_b32_e32 v13, s15
	s_xor_b32 exec_lo, exec_lo, s34
	s_cbranch_execnz .LBB2_3101
.LBB2_2741:                             ;   in Loop: Header=BB2_2491 Depth=3
	s_or_b32 exec_lo, exec_lo, s34
	s_and_saveexec_b32 s15, s14
	s_cbranch_execz .LBB2_2743
.LBB2_2742:                             ;   in Loop: Header=BB2_2491 Depth=3
	v_and_b32_e32 v13, 7, v10
	v_bfe_u32 v161, v10, 3, 4
	s_delay_alu instid0(VALU_DEP_2) | instskip(NEXT) | instid1(VALU_DEP_2)
	v_clz_i32_u32_e32 v151, v13
	v_cmp_eq_u32_e32 vcc_lo, 0, v161
	s_delay_alu instid0(VALU_DEP_2) | instskip(NEXT) | instid1(VALU_DEP_1)
	v_min_u32_e32 v151, 32, v151
	v_subrev_nc_u32_e32 v160, 28, v151
	v_sub_nc_u32_e32 v151, 29, v151
	s_delay_alu instid0(VALU_DEP_1) | instskip(NEXT) | instid1(VALU_DEP_1)
	v_dual_cndmask_b32 v151, v161, v151 :: v_dual_lshlrev_b32 v160, v160, v10
	v_and_b32_e32 v160, 7, v160
	v_lshlrev_b32_e32 v162, 24, v10
	s_delay_alu instid0(VALU_DEP_3) | instskip(NEXT) | instid1(VALU_DEP_2)
	v_lshl_add_u32 v151, v151, 23, 0x3b800000
	v_dual_cndmask_b32 v13, v13, v160 :: v_dual_and_b32 v160, 0x80000000, v162
	s_delay_alu instid0(VALU_DEP_1) | instskip(NEXT) | instid1(VALU_DEP_1)
	v_lshlrev_b32_e32 v13, 20, v13
	v_or3_b32 v13, v160, v151, v13
.LBB2_2743:                             ;   in Loop: Header=BB2_2491 Depth=3
	s_or_b32 exec_lo, exec_lo, s15
	s_delay_alu instid0(VALU_DEP_1) | instskip(NEXT) | instid1(VALU_DEP_1)
	v_dual_max_f32 v13, v13, v13 :: v_dual_max_f32 v150, v150, v150
	v_min_f32_e32 v150, v150, v13
.LBB2_2744:                             ;   in Loop: Header=BB2_2491 Depth=3
	s_delay_alu instid0(VALU_DEP_1) | instskip(NEXT) | instid1(VALU_DEP_1)
	v_and_b32_e32 v13, 0x7f800000, v150
	v_cmp_ne_u32_e32 vcc_lo, 0x7f800000, v13
	v_mov_b32_e32 v13, 0x80
	s_and_saveexec_b32 s15, vcc_lo
	s_cbranch_execz .LBB2_2752
; %bb.2745:                             ;   in Loop: Header=BB2_2491 Depth=3
	v_mov_b32_e32 v13, 0
	s_mov_b32 s34, exec_lo
	v_cmpx_ne_u32_e32 0, v150
	s_cbranch_execz .LBB2_2751
; %bb.2746:                             ;   in Loop: Header=BB2_2491 Depth=3
	v_bfe_u32 v13, v150, 23, 8
	s_delay_alu instid0(VALU_DEP_1) | instskip(SKIP_1) | instid1(VALU_DEP_2)
	v_sub_nc_u32_e32 v160, 0x78, v13
	v_cmp_gt_u32_e32 vcc_lo, 0x79, v13
	v_dual_cndmask_b32 v160, 0, v160 :: v_dual_and_b32 v151, 0x7fffff, v150
	s_delay_alu instid0(VALU_DEP_1) | instskip(SKIP_2) | instid1(VALU_DEP_4)
	v_or_b32_e32 v161, 0x800000, v151
	v_cmp_eq_u32_e32 vcc_lo, 0, v13
	v_add_nc_u32_e32 v13, 0xffffff89, v13
	v_cndmask_b32_e64 v160, v160, 0x77, vcc_lo
	s_delay_alu instid0(VALU_DEP_2) | instskip(SKIP_1) | instid1(VALU_DEP_3)
	v_cndmask_b32_e64 v13, v13, 0xffffff8a, vcc_lo
	v_cndmask_b32_e32 v151, v161, v151, vcc_lo
	v_lshl_add_u32 v161, 0x100000, v160, -1
	v_lshlrev_b32_e64 v164, v160, 0x80000
	s_delay_alu instid0(VALU_DEP_3) | instskip(SKIP_1) | instid1(VALU_DEP_4)
	v_lshrrev_b32_e32 v162, v160, v151
	v_add_nc_u32_e32 v160, v160, v13
	v_and_b32_e32 v151, v161, v151
	s_delay_alu instid0(VALU_DEP_3) | instskip(NEXT) | instid1(VALU_DEP_2)
	v_bfe_u32 v163, v162, 20, 1
	v_cmp_eq_u32_e64 s14, v151, v164
	s_delay_alu instid0(VALU_DEP_2) | instskip(NEXT) | instid1(VALU_DEP_1)
	v_add_nc_u32_e32 v161, -1, v163
	v_cndmask_b32_e64 v151, 0, v161, s14
	v_lshrrev_b32_e32 v161, 23, v162
	s_mov_b32 s14, exec_lo
	s_delay_alu instid0(VALU_DEP_2) | instskip(NEXT) | instid1(VALU_DEP_2)
	v_add_nc_u32_e32 v151, v151, v162
	v_xor_b32_e32 v161, 1, v161
	s_delay_alu instid0(VALU_DEP_2) | instskip(NEXT) | instid1(VALU_DEP_1)
	v_and_b32_e32 v13, 0xfffff, v151
	v_add_nc_u32_e32 v151, v13, v162
                                        ; implicit-def: $vgpr13
	s_delay_alu instid0(VALU_DEP_3)
	v_cmpx_ne_u32_e64 v160, v161
	s_xor_b32 s14, exec_lo, s14
; %bb.2747:                             ;   in Loop: Header=BB2_2491 Depth=3
	s_delay_alu instid0(VALU_DEP_2) | instskip(SKIP_2) | instid1(VALU_DEP_2)
	v_cmp_lt_u32_e32 vcc_lo, 0xffffff, v151
	v_sub_nc_u32_e32 v13, v160, v161
	v_cndmask_b32_e64 v160, 0, 1, vcc_lo
	v_add_co_ci_u32_e32 v13, vcc_lo, 0, v13, vcc_lo
	s_delay_alu instid0(VALU_DEP_2)
	v_lshrrev_b32_e32 v151, v160, v151
; %bb.2748:                             ;   in Loop: Header=BB2_2491 Depth=3
	s_and_not1_saveexec_b32 s14, s14
; %bb.2749:                             ;   in Loop: Header=BB2_2491 Depth=3
	s_delay_alu instid0(VALU_DEP_1)
	v_bfe_u32 v13, v151, 23, 1
; %bb.2750:                             ;   in Loop: Header=BB2_2491 Depth=3
	s_or_b32 exec_lo, exec_lo, s14
	v_lshrrev_b32_e32 v151, 20, v151
	s_delay_alu instid0(VALU_DEP_2) | instskip(SKIP_2) | instid1(VALU_DEP_2)
	v_cmp_gt_i32_e32 vcc_lo, 16, v13
	v_lshrrev_b32_e32 v150, 24, v150
	v_min_i32_e32 v160, 15, v13
	v_dual_cndmask_b32 v151, 7, v151 :: v_dual_and_b32 v150, 0x80, v150
	s_delay_alu instid0(VALU_DEP_1) | instskip(SKIP_1) | instid1(VALU_DEP_2)
	v_or_b32_e32 v13, v13, v151
	v_and_b32_e32 v161, 7, v151
	v_cmp_ne_u32_e32 vcc_lo, 0, v13
	v_lshlrev_b32_e32 v160, 3, v160
	s_delay_alu instid0(VALU_DEP_1) | instskip(NEXT) | instid1(VALU_DEP_1)
	v_or3_b32 v150, v160, v150, v161
	v_cndmask_b32_e32 v13, 0, v150, vcc_lo
.LBB2_2751:                             ;   in Loop: Header=BB2_2491 Depth=3
	s_or_b32 exec_lo, exec_lo, s34
.LBB2_2752:                             ;   in Loop: Header=BB2_2491 Depth=3
	s_delay_alu instid0(SALU_CYCLE_1) | instskip(SKIP_3) | instid1(VALU_DEP_2)
	s_or_b32 exec_lo, exec_lo, s15
	v_lshrrev_b16 v151, 8, v14
	v_lshrrev_b16 v150, 8, v10
	s_and_b32 vcc_lo, exec_lo, s31
	v_cmp_lt_i16_e64 s14, 0x7f, v151
	s_cbranch_vccz .LBB2_2762
; %bb.2753:                             ;   in Loop: Header=BB2_2491 Depth=3
	s_mov_b32 s15, 0
                                        ; implicit-def: $sgpr34
	s_delay_alu instid0(VALU_DEP_1) | instskip(NEXT) | instid1(SALU_CYCLE_1)
	s_and_saveexec_b32 vcc_lo, s14
	s_xor_b32 s14, exec_lo, vcc_lo
	s_cbranch_execnz .LBB2_3102
; %bb.2754:                             ;   in Loop: Header=BB2_2491 Depth=3
	s_or_saveexec_b32 s14, s14
	v_mov_b32_e32 v160, s34
	s_xor_b32 exec_lo, exec_lo, s14
	s_cbranch_execnz .LBB2_3105
.LBB2_2755:                             ;   in Loop: Header=BB2_2491 Depth=3
	s_or_b32 exec_lo, exec_lo, s14
	s_and_saveexec_b32 s14, s15
	s_cbranch_execz .LBB2_2757
.LBB2_2756:                             ;   in Loop: Header=BB2_2491 Depth=3
	v_and_b32_e32 v160, 0xffff, v151
	s_delay_alu instid0(VALU_DEP_1) | instskip(NEXT) | instid1(VALU_DEP_1)
	v_and_b32_e32 v161, 7, v160
	v_clz_i32_u32_e32 v162, v161
	s_delay_alu instid0(VALU_DEP_1) | instskip(NEXT) | instid1(VALU_DEP_1)
	v_min_u32_e32 v162, 32, v162
	v_subrev_nc_u32_e32 v163, 28, v162
	v_sub_nc_u32_e32 v162, 29, v162
	s_delay_alu instid0(VALU_DEP_2) | instskip(SKIP_1) | instid1(VALU_DEP_2)
	v_lshlrev_b32_e32 v163, v163, v160
	v_bfe_u32 v160, v160, 3, 4
	v_and_b32_e32 v163, 7, v163
	s_delay_alu instid0(VALU_DEP_2) | instskip(SKIP_1) | instid1(VALU_DEP_3)
	v_cmp_eq_u32_e32 vcc_lo, 0, v160
	v_cndmask_b32_e32 v160, v160, v162, vcc_lo
	v_dual_cndmask_b32 v161, v161, v163 :: v_dual_lshlrev_b32 v164, 16, v14
	s_delay_alu instid0(VALU_DEP_2) | instskip(NEXT) | instid1(VALU_DEP_2)
	v_lshl_add_u32 v160, v160, 23, 0x3b800000
	v_and_b32_e32 v162, 0x80000000, v164
	s_delay_alu instid0(VALU_DEP_3) | instskip(NEXT) | instid1(VALU_DEP_1)
	v_lshlrev_b32_e32 v161, 20, v161
	v_or3_b32 v160, v162, v160, v161
.LBB2_2757:                             ;   in Loop: Header=BB2_2491 Depth=3
	s_or_b32 exec_lo, exec_lo, s14
	s_mov_b32 s14, 0
	s_mov_b32 s34, exec_lo
                                        ; implicit-def: $sgpr15
	v_cmpx_lt_i16_e64 0x7f, v150
	s_xor_b32 s34, exec_lo, s34
	s_cbranch_execnz .LBB2_3106
; %bb.2758:                             ;   in Loop: Header=BB2_2491 Depth=3
	s_or_saveexec_b32 s34, s34
	v_mov_b32_e32 v161, s15
	s_xor_b32 exec_lo, exec_lo, s34
	s_cbranch_execnz .LBB2_3109
.LBB2_2759:                             ;   in Loop: Header=BB2_2491 Depth=3
	s_or_b32 exec_lo, exec_lo, s34
	s_and_saveexec_b32 s15, s14
	s_cbranch_execz .LBB2_2761
.LBB2_2760:                             ;   in Loop: Header=BB2_2491 Depth=3
	v_and_b32_e32 v161, 0xffff, v150
	v_lshlrev_b32_e32 v165, 16, v10
	s_delay_alu instid0(VALU_DEP_2) | instskip(NEXT) | instid1(VALU_DEP_1)
	v_and_b32_e32 v162, 7, v161
	v_clz_i32_u32_e32 v163, v162
	s_delay_alu instid0(VALU_DEP_1) | instskip(NEXT) | instid1(VALU_DEP_1)
	v_min_u32_e32 v163, 32, v163
	v_subrev_nc_u32_e32 v164, 28, v163
	v_sub_nc_u32_e32 v163, 29, v163
	s_delay_alu instid0(VALU_DEP_2) | instskip(SKIP_1) | instid1(VALU_DEP_2)
	v_lshlrev_b32_e32 v164, v164, v161
	v_bfe_u32 v161, v161, 3, 4
	v_and_b32_e32 v164, 7, v164
	s_delay_alu instid0(VALU_DEP_2) | instskip(NEXT) | instid1(VALU_DEP_2)
	v_cmp_eq_u32_e32 vcc_lo, 0, v161
	v_dual_cndmask_b32 v161, v161, v163 :: v_dual_cndmask_b32 v162, v162, v164
	v_and_b32_e32 v163, 0x80000000, v165
	s_delay_alu instid0(VALU_DEP_2) | instskip(NEXT) | instid1(VALU_DEP_3)
	v_lshl_add_u32 v161, v161, 23, 0x3b800000
	v_lshlrev_b32_e32 v162, 20, v162
	s_delay_alu instid0(VALU_DEP_1)
	v_or3_b32 v161, v163, v161, v162
.LBB2_2761:                             ;   in Loop: Header=BB2_2491 Depth=3
	s_or_b32 exec_lo, exec_lo, s15
	s_delay_alu instid0(VALU_DEP_1) | instskip(SKIP_1) | instid1(VALU_DEP_1)
	v_dual_max_f32 v161, v161, v161 :: v_dual_max_f32 v160, v160, v160
	s_mov_b32 s14, 0
	v_max_f32_e32 v160, v160, v161
	s_branch .LBB2_2763
.LBB2_2762:                             ;   in Loop: Header=BB2_2491 Depth=3
	s_mov_b32 s14, -1
                                        ; implicit-def: $vgpr160
.LBB2_2763:                             ;   in Loop: Header=BB2_2491 Depth=3
	s_delay_alu instid0(SALU_CYCLE_1)
	s_and_b32 vcc_lo, exec_lo, s14
	s_cbranch_vccz .LBB2_2773
; %bb.2764:                             ;   in Loop: Header=BB2_2491 Depth=3
	s_mov_b32 s14, 0
	s_mov_b32 s34, exec_lo
                                        ; implicit-def: $sgpr15
	v_cmpx_lt_i16_e64 0x7f, v151
	s_xor_b32 s34, exec_lo, s34
	s_cbranch_execnz .LBB2_3110
; %bb.2765:                             ;   in Loop: Header=BB2_2491 Depth=3
	s_or_saveexec_b32 s34, s34
	v_mov_b32_e32 v160, s15
	s_xor_b32 exec_lo, exec_lo, s34
	s_cbranch_execnz .LBB2_3113
.LBB2_2766:                             ;   in Loop: Header=BB2_2491 Depth=3
	s_or_b32 exec_lo, exec_lo, s34
	s_and_saveexec_b32 s15, s14
	s_cbranch_execz .LBB2_2768
.LBB2_2767:                             ;   in Loop: Header=BB2_2491 Depth=3
	v_and_b32_e32 v151, 0xffff, v151
	v_lshlrev_b32_e32 v163, 16, v14
	s_delay_alu instid0(VALU_DEP_2) | instskip(NEXT) | instid1(VALU_DEP_1)
	v_and_b32_e32 v160, 7, v151
	v_clz_i32_u32_e32 v161, v160
	s_delay_alu instid0(VALU_DEP_1) | instskip(NEXT) | instid1(VALU_DEP_1)
	v_min_u32_e32 v161, 32, v161
	v_subrev_nc_u32_e32 v162, 28, v161
	v_sub_nc_u32_e32 v161, 29, v161
	s_delay_alu instid0(VALU_DEP_2) | instskip(SKIP_1) | instid1(VALU_DEP_2)
	v_lshlrev_b32_e32 v162, v162, v151
	v_bfe_u32 v151, v151, 3, 4
	v_and_b32_e32 v162, 7, v162
	s_delay_alu instid0(VALU_DEP_2) | instskip(NEXT) | instid1(VALU_DEP_2)
	v_cmp_eq_u32_e32 vcc_lo, 0, v151
	v_dual_cndmask_b32 v151, v151, v161 :: v_dual_cndmask_b32 v160, v160, v162
	v_and_b32_e32 v161, 0x80000000, v163
	s_delay_alu instid0(VALU_DEP_2) | instskip(NEXT) | instid1(VALU_DEP_3)
	v_lshl_add_u32 v151, v151, 23, 0x3b800000
	v_lshlrev_b32_e32 v160, 20, v160
	s_delay_alu instid0(VALU_DEP_1)
	v_or3_b32 v160, v161, v151, v160
.LBB2_2768:                             ;   in Loop: Header=BB2_2491 Depth=3
	s_or_b32 exec_lo, exec_lo, s15
	s_mov_b32 s14, 0
	s_mov_b32 s34, exec_lo
                                        ; implicit-def: $sgpr15
	v_cmpx_lt_i16_e64 0x7f, v150
	s_xor_b32 s34, exec_lo, s34
	s_cbranch_execnz .LBB2_3114
; %bb.2769:                             ;   in Loop: Header=BB2_2491 Depth=3
	s_or_saveexec_b32 s34, s34
	v_mov_b32_e32 v151, s15
	s_xor_b32 exec_lo, exec_lo, s34
	s_cbranch_execnz .LBB2_3117
.LBB2_2770:                             ;   in Loop: Header=BB2_2491 Depth=3
	s_or_b32 exec_lo, exec_lo, s34
	s_and_saveexec_b32 s15, s14
	s_cbranch_execz .LBB2_2772
.LBB2_2771:                             ;   in Loop: Header=BB2_2491 Depth=3
	v_and_b32_e32 v150, 0xffff, v150
	v_lshlrev_b32_e32 v163, 16, v10
	s_delay_alu instid0(VALU_DEP_2) | instskip(NEXT) | instid1(VALU_DEP_1)
	v_and_b32_e32 v151, 7, v150
	v_clz_i32_u32_e32 v161, v151
	s_delay_alu instid0(VALU_DEP_1) | instskip(NEXT) | instid1(VALU_DEP_1)
	v_min_u32_e32 v161, 32, v161
	v_subrev_nc_u32_e32 v162, 28, v161
	v_sub_nc_u32_e32 v161, 29, v161
	s_delay_alu instid0(VALU_DEP_2) | instskip(SKIP_1) | instid1(VALU_DEP_2)
	v_lshlrev_b32_e32 v162, v162, v150
	v_bfe_u32 v150, v150, 3, 4
	v_and_b32_e32 v162, 7, v162
	s_delay_alu instid0(VALU_DEP_2) | instskip(NEXT) | instid1(VALU_DEP_2)
	v_cmp_eq_u32_e32 vcc_lo, 0, v150
	v_dual_cndmask_b32 v150, v150, v161 :: v_dual_cndmask_b32 v151, v151, v162
	v_and_b32_e32 v161, 0x80000000, v163
	s_delay_alu instid0(VALU_DEP_2) | instskip(NEXT) | instid1(VALU_DEP_3)
	v_lshl_add_u32 v150, v150, 23, 0x3b800000
	v_lshlrev_b32_e32 v151, 20, v151
	s_delay_alu instid0(VALU_DEP_1)
	v_or3_b32 v151, v161, v150, v151
.LBB2_2772:                             ;   in Loop: Header=BB2_2491 Depth=3
	s_or_b32 exec_lo, exec_lo, s15
	s_delay_alu instid0(VALU_DEP_1) | instskip(NEXT) | instid1(VALU_DEP_1)
	v_dual_max_f32 v150, v151, v151 :: v_dual_max_f32 v151, v160, v160
	v_min_f32_e32 v160, v151, v150
.LBB2_2773:                             ;   in Loop: Header=BB2_2491 Depth=3
	s_delay_alu instid0(VALU_DEP_1) | instskip(NEXT) | instid1(VALU_DEP_1)
	v_and_b32_e32 v150, 0x7f800000, v160
	v_cmp_ne_u32_e32 vcc_lo, 0x7f800000, v150
	v_mov_b32_e32 v150, 0x80
	s_and_saveexec_b32 s15, vcc_lo
	s_cbranch_execz .LBB2_2781
; %bb.2774:                             ;   in Loop: Header=BB2_2491 Depth=3
	v_mov_b32_e32 v150, 0
	s_mov_b32 s34, exec_lo
	v_cmpx_ne_u32_e32 0, v160
	s_cbranch_execz .LBB2_2780
; %bb.2775:                             ;   in Loop: Header=BB2_2491 Depth=3
	v_bfe_u32 v150, v160, 23, 8
	v_and_b32_e32 v151, 0x7fffff, v160
	s_delay_alu instid0(VALU_DEP_2) | instskip(SKIP_1) | instid1(VALU_DEP_3)
	v_sub_nc_u32_e32 v161, 0x78, v150
	v_cmp_gt_u32_e32 vcc_lo, 0x79, v150
	v_or_b32_e32 v162, 0x800000, v151
	s_delay_alu instid0(VALU_DEP_3) | instskip(SKIP_2) | instid1(VALU_DEP_3)
	v_cndmask_b32_e32 v161, 0, v161, vcc_lo
	v_cmp_eq_u32_e32 vcc_lo, 0, v150
	v_add_nc_u32_e32 v150, 0xffffff89, v150
	v_cndmask_b32_e64 v161, v161, 0x77, vcc_lo
	v_cndmask_b32_e32 v151, v162, v151, vcc_lo
	s_delay_alu instid0(VALU_DEP_3) | instskip(NEXT) | instid1(VALU_DEP_3)
	v_cndmask_b32_e64 v150, v150, 0xffffff8a, vcc_lo
	v_lshl_add_u32 v162, 0x100000, v161, -1
	s_delay_alu instid0(VALU_DEP_3) | instskip(SKIP_1) | instid1(VALU_DEP_4)
	v_lshrrev_b32_e32 v163, v161, v151
	v_lshlrev_b32_e64 v165, v161, 0x80000
	v_add_nc_u32_e32 v161, v161, v150
	s_delay_alu instid0(VALU_DEP_4) | instskip(NEXT) | instid1(VALU_DEP_4)
	v_and_b32_e32 v151, v162, v151
	v_bfe_u32 v164, v163, 20, 1
	s_delay_alu instid0(VALU_DEP_2) | instskip(NEXT) | instid1(VALU_DEP_2)
	v_cmp_eq_u32_e64 s14, v151, v165
	v_add_nc_u32_e32 v162, -1, v164
	s_delay_alu instid0(VALU_DEP_1) | instskip(SKIP_2) | instid1(VALU_DEP_2)
	v_cndmask_b32_e64 v151, 0, v162, s14
	v_lshrrev_b32_e32 v162, 23, v163
	s_mov_b32 s14, exec_lo
	v_add_nc_u32_e32 v151, v151, v163
	s_delay_alu instid0(VALU_DEP_2) | instskip(NEXT) | instid1(VALU_DEP_2)
	v_xor_b32_e32 v162, 1, v162
	v_and_b32_e32 v150, 0xfffff, v151
	s_delay_alu instid0(VALU_DEP_1) | instskip(NEXT) | instid1(VALU_DEP_3)
	v_add_nc_u32_e32 v151, v150, v163
                                        ; implicit-def: $vgpr150
	v_cmpx_ne_u32_e64 v161, v162
	s_xor_b32 s14, exec_lo, s14
; %bb.2776:                             ;   in Loop: Header=BB2_2491 Depth=3
	s_delay_alu instid0(VALU_DEP_2) | instskip(SKIP_2) | instid1(VALU_DEP_2)
	v_cmp_lt_u32_e32 vcc_lo, 0xffffff, v151
	v_sub_nc_u32_e32 v150, v161, v162
	v_cndmask_b32_e64 v161, 0, 1, vcc_lo
	v_add_co_ci_u32_e32 v150, vcc_lo, 0, v150, vcc_lo
	s_delay_alu instid0(VALU_DEP_2)
	v_lshrrev_b32_e32 v151, v161, v151
; %bb.2777:                             ;   in Loop: Header=BB2_2491 Depth=3
	s_and_not1_saveexec_b32 s14, s14
; %bb.2778:                             ;   in Loop: Header=BB2_2491 Depth=3
	s_delay_alu instid0(VALU_DEP_1)
	v_bfe_u32 v150, v151, 23, 1
; %bb.2779:                             ;   in Loop: Header=BB2_2491 Depth=3
	s_or_b32 exec_lo, exec_lo, s14
	v_lshrrev_b32_e32 v151, 20, v151
	s_delay_alu instid0(VALU_DEP_2) | instskip(SKIP_2) | instid1(VALU_DEP_2)
	v_cmp_gt_i32_e32 vcc_lo, 16, v150
	v_lshrrev_b32_e32 v160, 24, v160
	v_min_i32_e32 v161, 15, v150
	v_dual_cndmask_b32 v151, 7, v151 :: v_dual_and_b32 v160, 0x80, v160
	s_delay_alu instid0(VALU_DEP_1) | instskip(SKIP_1) | instid1(VALU_DEP_2)
	v_or_b32_e32 v150, v150, v151
	v_and_b32_e32 v162, 7, v151
	v_cmp_ne_u32_e32 vcc_lo, 0, v150
	v_lshlrev_b32_e32 v161, 3, v161
	s_delay_alu instid0(VALU_DEP_1) | instskip(NEXT) | instid1(VALU_DEP_1)
	v_or3_b32 v151, v161, v160, v162
	v_cndmask_b32_e32 v150, 0, v151, vcc_lo
.LBB2_2780:                             ;   in Loop: Header=BB2_2491 Depth=3
	s_or_b32 exec_lo, exec_lo, s34
.LBB2_2781:                             ;   in Loop: Header=BB2_2491 Depth=3
	s_delay_alu instid0(SALU_CYCLE_1) | instskip(SKIP_3) | instid1(VALU_DEP_2)
	s_or_b32 exec_lo, exec_lo, s15
	v_lshrrev_b32_e32 v160, 16, v14
	v_lshrrev_b32_e32 v151, 16, v10
	s_and_b32 vcc_lo, exec_lo, s31
	v_and_b32_e32 v161, 0xff, v160
	s_delay_alu instid0(VALU_DEP_1)
	v_cmp_lt_i16_e64 s14, 0x7f, v161
	s_cbranch_vccz .LBB2_2791
; %bb.2782:                             ;   in Loop: Header=BB2_2491 Depth=3
	s_mov_b32 s15, 0
                                        ; implicit-def: $sgpr34
	s_delay_alu instid0(VALU_DEP_1) | instskip(NEXT) | instid1(SALU_CYCLE_1)
	s_and_saveexec_b32 vcc_lo, s14
	s_xor_b32 s14, exec_lo, vcc_lo
	s_cbranch_execnz .LBB2_3118
; %bb.2783:                             ;   in Loop: Header=BB2_2491 Depth=3
	s_or_saveexec_b32 s14, s14
	v_mov_b32_e32 v162, s34
	s_xor_b32 exec_lo, exec_lo, s14
	s_cbranch_execnz .LBB2_3121
.LBB2_2784:                             ;   in Loop: Header=BB2_2491 Depth=3
	s_or_b32 exec_lo, exec_lo, s14
	s_and_saveexec_b32 s14, s15
	s_cbranch_execz .LBB2_2786
.LBB2_2785:                             ;   in Loop: Header=BB2_2491 Depth=3
	v_bfe_u32 v162, v14, 16, 3
	v_bfe_u32 v165, v14, 19, 4
	v_lshlrev_b32_e32 v166, 24, v160
	s_delay_alu instid0(VALU_DEP_3) | instskip(NEXT) | instid1(VALU_DEP_3)
	v_clz_i32_u32_e32 v163, v162
	v_cmp_eq_u32_e32 vcc_lo, 0, v165
	s_delay_alu instid0(VALU_DEP_2) | instskip(NEXT) | instid1(VALU_DEP_1)
	v_min_u32_e32 v163, 32, v163
	v_subrev_nc_u32_e32 v164, 28, v163
	v_sub_nc_u32_e32 v163, 29, v163
	s_delay_alu instid0(VALU_DEP_1) | instskip(NEXT) | instid1(VALU_DEP_1)
	v_dual_cndmask_b32 v163, v165, v163 :: v_dual_lshlrev_b32 v164, v164, v160
	v_and_b32_e32 v164, 7, v164
	s_delay_alu instid0(VALU_DEP_2) | instskip(NEXT) | instid1(VALU_DEP_2)
	v_lshl_add_u32 v163, v163, 23, 0x3b800000
	v_cndmask_b32_e32 v162, v162, v164, vcc_lo
	v_and_b32_e32 v164, 0x80000000, v166
	s_delay_alu instid0(VALU_DEP_2) | instskip(NEXT) | instid1(VALU_DEP_1)
	v_lshlrev_b32_e32 v162, 20, v162
	v_or3_b32 v162, v164, v163, v162
.LBB2_2786:                             ;   in Loop: Header=BB2_2491 Depth=3
	s_or_b32 exec_lo, exec_lo, s14
	v_and_b32_e32 v164, 0xff, v151
	s_mov_b32 s14, 0
	s_mov_b32 s34, exec_lo
                                        ; implicit-def: $sgpr15
	s_delay_alu instid0(VALU_DEP_1)
	v_cmpx_lt_i16_e64 0x7f, v164
	s_xor_b32 s34, exec_lo, s34
	s_cbranch_execnz .LBB2_3122
; %bb.2787:                             ;   in Loop: Header=BB2_2491 Depth=3
	s_or_saveexec_b32 s34, s34
	v_mov_b32_e32 v163, s15
	s_xor_b32 exec_lo, exec_lo, s34
	s_cbranch_execnz .LBB2_3125
.LBB2_2788:                             ;   in Loop: Header=BB2_2491 Depth=3
	s_or_b32 exec_lo, exec_lo, s34
	s_and_saveexec_b32 s15, s14
	s_cbranch_execz .LBB2_2790
.LBB2_2789:                             ;   in Loop: Header=BB2_2491 Depth=3
	v_bfe_u32 v163, v10, 16, 3
	v_bfe_u32 v166, v10, 19, 4
	v_lshlrev_b32_e32 v167, 24, v151
	s_delay_alu instid0(VALU_DEP_3) | instskip(NEXT) | instid1(VALU_DEP_3)
	v_clz_i32_u32_e32 v164, v163
	v_cmp_eq_u32_e32 vcc_lo, 0, v166
	s_delay_alu instid0(VALU_DEP_2) | instskip(NEXT) | instid1(VALU_DEP_1)
	v_min_u32_e32 v164, 32, v164
	v_subrev_nc_u32_e32 v165, 28, v164
	v_sub_nc_u32_e32 v164, 29, v164
	s_delay_alu instid0(VALU_DEP_1) | instskip(NEXT) | instid1(VALU_DEP_1)
	v_dual_cndmask_b32 v164, v166, v164 :: v_dual_lshlrev_b32 v165, v165, v151
	v_and_b32_e32 v165, 7, v165
	s_delay_alu instid0(VALU_DEP_2) | instskip(NEXT) | instid1(VALU_DEP_2)
	v_lshl_add_u32 v164, v164, 23, 0x3b800000
	v_cndmask_b32_e32 v163, v163, v165, vcc_lo
	v_and_b32_e32 v165, 0x80000000, v167
	s_delay_alu instid0(VALU_DEP_2) | instskip(NEXT) | instid1(VALU_DEP_1)
	v_lshlrev_b32_e32 v163, 20, v163
	v_or3_b32 v163, v165, v164, v163
.LBB2_2790:                             ;   in Loop: Header=BB2_2491 Depth=3
	s_or_b32 exec_lo, exec_lo, s15
	s_delay_alu instid0(VALU_DEP_1) | instskip(SKIP_1) | instid1(VALU_DEP_1)
	v_dual_max_f32 v163, v163, v163 :: v_dual_max_f32 v162, v162, v162
	s_mov_b32 s14, 0
	v_max_f32_e32 v162, v162, v163
	s_branch .LBB2_2792
.LBB2_2791:                             ;   in Loop: Header=BB2_2491 Depth=3
	s_mov_b32 s14, -1
                                        ; implicit-def: $vgpr162
.LBB2_2792:                             ;   in Loop: Header=BB2_2491 Depth=3
	s_delay_alu instid0(SALU_CYCLE_1)
	s_and_b32 vcc_lo, exec_lo, s14
	s_cbranch_vccz .LBB2_2802
; %bb.2793:                             ;   in Loop: Header=BB2_2491 Depth=3
	s_mov_b32 s14, 0
	s_mov_b32 s34, exec_lo
                                        ; implicit-def: $sgpr15
	v_cmpx_lt_i16_e64 0x7f, v161
	s_xor_b32 s34, exec_lo, s34
	s_cbranch_execnz .LBB2_3126
; %bb.2794:                             ;   in Loop: Header=BB2_2491 Depth=3
	s_or_saveexec_b32 s34, s34
	v_mov_b32_e32 v162, s15
	s_xor_b32 exec_lo, exec_lo, s34
	s_cbranch_execnz .LBB2_3129
.LBB2_2795:                             ;   in Loop: Header=BB2_2491 Depth=3
	s_or_b32 exec_lo, exec_lo, s34
	s_and_saveexec_b32 s15, s14
	s_cbranch_execz .LBB2_2797
.LBB2_2796:                             ;   in Loop: Header=BB2_2491 Depth=3
	v_bfe_u32 v161, v14, 16, 3
	v_bfe_u32 v164, v14, 19, 4
	s_delay_alu instid0(VALU_DEP_2) | instskip(NEXT) | instid1(VALU_DEP_2)
	v_clz_i32_u32_e32 v162, v161
	v_cmp_eq_u32_e32 vcc_lo, 0, v164
	s_delay_alu instid0(VALU_DEP_2) | instskip(NEXT) | instid1(VALU_DEP_1)
	v_min_u32_e32 v162, 32, v162
	v_subrev_nc_u32_e32 v163, 28, v162
	v_sub_nc_u32_e32 v162, 29, v162
	s_delay_alu instid0(VALU_DEP_1) | instskip(NEXT) | instid1(VALU_DEP_1)
	v_dual_cndmask_b32 v162, v164, v162 :: v_dual_lshlrev_b32 v163, v163, v160
	v_and_b32_e32 v163, 7, v163
	v_lshlrev_b32_e32 v160, 24, v160
	s_delay_alu instid0(VALU_DEP_3) | instskip(NEXT) | instid1(VALU_DEP_2)
	v_lshl_add_u32 v162, v162, 23, 0x3b800000
	v_dual_cndmask_b32 v161, v161, v163 :: v_dual_and_b32 v160, 0x80000000, v160
	s_delay_alu instid0(VALU_DEP_1) | instskip(NEXT) | instid1(VALU_DEP_1)
	v_lshlrev_b32_e32 v161, 20, v161
	v_or3_b32 v162, v160, v162, v161
.LBB2_2797:                             ;   in Loop: Header=BB2_2491 Depth=3
	s_or_b32 exec_lo, exec_lo, s15
	v_and_b32_e32 v161, 0xff, v151
	s_mov_b32 s14, 0
	s_mov_b32 s34, exec_lo
                                        ; implicit-def: $sgpr15
	s_delay_alu instid0(VALU_DEP_1)
	v_cmpx_lt_i16_e64 0x7f, v161
	s_xor_b32 s34, exec_lo, s34
	s_cbranch_execnz .LBB2_3130
; %bb.2798:                             ;   in Loop: Header=BB2_2491 Depth=3
	s_or_saveexec_b32 s34, s34
	v_mov_b32_e32 v160, s15
	s_xor_b32 exec_lo, exec_lo, s34
	s_cbranch_execnz .LBB2_3133
.LBB2_2799:                             ;   in Loop: Header=BB2_2491 Depth=3
	s_or_b32 exec_lo, exec_lo, s34
	s_and_saveexec_b32 s15, s14
	s_cbranch_execz .LBB2_2801
.LBB2_2800:                             ;   in Loop: Header=BB2_2491 Depth=3
	v_bfe_u32 v160, v10, 16, 3
	v_bfe_u32 v164, v10, 19, 4
	s_delay_alu instid0(VALU_DEP_2) | instskip(NEXT) | instid1(VALU_DEP_2)
	v_clz_i32_u32_e32 v161, v160
	v_cmp_eq_u32_e32 vcc_lo, 0, v164
	s_delay_alu instid0(VALU_DEP_2) | instskip(NEXT) | instid1(VALU_DEP_1)
	v_min_u32_e32 v161, 32, v161
	v_subrev_nc_u32_e32 v163, 28, v161
	v_sub_nc_u32_e32 v161, 29, v161
	s_delay_alu instid0(VALU_DEP_2) | instskip(SKIP_1) | instid1(VALU_DEP_2)
	v_lshlrev_b32_e32 v163, v163, v151
	v_lshlrev_b32_e32 v151, 24, v151
	v_and_b32_e32 v163, 7, v163
	s_delay_alu instid0(VALU_DEP_2) | instskip(NEXT) | instid1(VALU_DEP_2)
	v_and_b32_e32 v151, 0x80000000, v151
	v_cndmask_b32_e32 v160, v160, v163, vcc_lo
	s_delay_alu instid0(VALU_DEP_1) | instskip(NEXT) | instid1(VALU_DEP_1)
	v_dual_cndmask_b32 v161, v164, v161 :: v_dual_lshlrev_b32 v160, 20, v160
	v_lshl_add_u32 v161, v161, 23, 0x3b800000
	s_delay_alu instid0(VALU_DEP_1)
	v_or3_b32 v160, v151, v161, v160
.LBB2_2801:                             ;   in Loop: Header=BB2_2491 Depth=3
	s_or_b32 exec_lo, exec_lo, s15
	s_delay_alu instid0(VALU_DEP_1) | instskip(NEXT) | instid1(VALU_DEP_1)
	v_dual_max_f32 v151, v160, v160 :: v_dual_max_f32 v160, v162, v162
	v_min_f32_e32 v162, v160, v151
.LBB2_2802:                             ;   in Loop: Header=BB2_2491 Depth=3
	s_delay_alu instid0(VALU_DEP_1) | instskip(NEXT) | instid1(VALU_DEP_1)
	v_and_b32_e32 v151, 0x7f800000, v162
	v_cmp_ne_u32_e32 vcc_lo, 0x7f800000, v151
	v_mov_b32_e32 v151, 0x80
	s_and_saveexec_b32 s15, vcc_lo
	s_cbranch_execz .LBB2_2810
; %bb.2803:                             ;   in Loop: Header=BB2_2491 Depth=3
	v_mov_b32_e32 v151, 0
	s_mov_b32 s34, exec_lo
	v_cmpx_ne_u32_e32 0, v162
	s_cbranch_execz .LBB2_2809
; %bb.2804:                             ;   in Loop: Header=BB2_2491 Depth=3
	v_bfe_u32 v151, v162, 23, 8
	s_delay_alu instid0(VALU_DEP_1) | instskip(SKIP_1) | instid1(VALU_DEP_2)
	v_sub_nc_u32_e32 v161, 0x78, v151
	v_cmp_gt_u32_e32 vcc_lo, 0x79, v151
	v_dual_cndmask_b32 v161, 0, v161 :: v_dual_and_b32 v160, 0x7fffff, v162
	s_delay_alu instid0(VALU_DEP_1) | instskip(SKIP_2) | instid1(VALU_DEP_4)
	v_or_b32_e32 v163, 0x800000, v160
	v_cmp_eq_u32_e32 vcc_lo, 0, v151
	v_add_nc_u32_e32 v151, 0xffffff89, v151
	v_cndmask_b32_e64 v161, v161, 0x77, vcc_lo
	s_delay_alu instid0(VALU_DEP_4) | instskip(NEXT) | instid1(VALU_DEP_3)
	v_cndmask_b32_e32 v160, v163, v160, vcc_lo
	v_cndmask_b32_e64 v151, v151, 0xffffff8a, vcc_lo
	s_delay_alu instid0(VALU_DEP_3) | instskip(NEXT) | instid1(VALU_DEP_3)
	v_lshl_add_u32 v163, 0x100000, v161, -1
	v_lshrrev_b32_e32 v164, v161, v160
	v_lshlrev_b32_e64 v166, v161, 0x80000
	s_delay_alu instid0(VALU_DEP_4) | instskip(NEXT) | instid1(VALU_DEP_4)
	v_add_nc_u32_e32 v161, v161, v151
	v_and_b32_e32 v160, v163, v160
	s_delay_alu instid0(VALU_DEP_4) | instskip(NEXT) | instid1(VALU_DEP_2)
	v_bfe_u32 v165, v164, 20, 1
	v_cmp_eq_u32_e64 s14, v160, v166
	s_delay_alu instid0(VALU_DEP_2) | instskip(NEXT) | instid1(VALU_DEP_1)
	v_add_nc_u32_e32 v163, -1, v165
	v_cndmask_b32_e64 v160, 0, v163, s14
	v_lshrrev_b32_e32 v163, 23, v164
	s_mov_b32 s14, exec_lo
	s_delay_alu instid0(VALU_DEP_2) | instskip(NEXT) | instid1(VALU_DEP_2)
	v_add_nc_u32_e32 v160, v160, v164
	v_xor_b32_e32 v163, 1, v163
	s_delay_alu instid0(VALU_DEP_2) | instskip(NEXT) | instid1(VALU_DEP_1)
	v_and_b32_e32 v151, 0xfffff, v160
	v_add_nc_u32_e32 v160, v151, v164
                                        ; implicit-def: $vgpr151
	s_delay_alu instid0(VALU_DEP_3)
	v_cmpx_ne_u32_e64 v161, v163
	s_xor_b32 s14, exec_lo, s14
; %bb.2805:                             ;   in Loop: Header=BB2_2491 Depth=3
	s_delay_alu instid0(VALU_DEP_2) | instskip(SKIP_2) | instid1(VALU_DEP_2)
	v_cmp_lt_u32_e32 vcc_lo, 0xffffff, v160
	v_sub_nc_u32_e32 v151, v161, v163
	v_cndmask_b32_e64 v161, 0, 1, vcc_lo
	v_add_co_ci_u32_e32 v151, vcc_lo, 0, v151, vcc_lo
	s_delay_alu instid0(VALU_DEP_2)
	v_lshrrev_b32_e32 v160, v161, v160
; %bb.2806:                             ;   in Loop: Header=BB2_2491 Depth=3
	s_and_not1_saveexec_b32 s14, s14
; %bb.2807:                             ;   in Loop: Header=BB2_2491 Depth=3
	s_delay_alu instid0(VALU_DEP_1)
	v_bfe_u32 v151, v160, 23, 1
; %bb.2808:                             ;   in Loop: Header=BB2_2491 Depth=3
	s_or_b32 exec_lo, exec_lo, s14
	v_lshrrev_b32_e32 v160, 20, v160
	s_delay_alu instid0(VALU_DEP_2) | instskip(SKIP_2) | instid1(VALU_DEP_2)
	v_cmp_gt_i32_e32 vcc_lo, 16, v151
	v_lshrrev_b32_e32 v161, 24, v162
	v_min_i32_e32 v162, 15, v151
	v_dual_cndmask_b32 v160, 7, v160 :: v_dual_and_b32 v161, 0x80, v161
	s_delay_alu instid0(VALU_DEP_1) | instskip(SKIP_1) | instid1(VALU_DEP_2)
	v_or_b32_e32 v151, v151, v160
	v_and_b32_e32 v163, 7, v160
	v_cmp_ne_u32_e32 vcc_lo, 0, v151
	v_lshlrev_b32_e32 v162, 3, v162
	s_delay_alu instid0(VALU_DEP_1) | instskip(NEXT) | instid1(VALU_DEP_1)
	v_or3_b32 v160, v162, v161, v163
	v_cndmask_b32_e32 v151, 0, v160, vcc_lo
.LBB2_2809:                             ;   in Loop: Header=BB2_2491 Depth=3
	s_or_b32 exec_lo, exec_lo, s34
.LBB2_2810:                             ;   in Loop: Header=BB2_2491 Depth=3
	s_delay_alu instid0(SALU_CYCLE_1) | instskip(SKIP_3) | instid1(VALU_DEP_2)
	s_or_b32 exec_lo, exec_lo, s15
	v_lshrrev_b32_e32 v161, 24, v14
	v_lshrrev_b32_e32 v160, 24, v10
	s_and_b32 vcc_lo, exec_lo, s31
	v_cmp_lt_i16_e64 s14, 0x7f, v161
	s_cbranch_vccz .LBB2_2820
; %bb.2811:                             ;   in Loop: Header=BB2_2491 Depth=3
	s_mov_b32 s15, 0
                                        ; implicit-def: $sgpr34
	s_delay_alu instid0(VALU_DEP_1) | instskip(NEXT) | instid1(SALU_CYCLE_1)
	s_and_saveexec_b32 vcc_lo, s14
	s_xor_b32 s14, exec_lo, vcc_lo
	s_cbranch_execnz .LBB2_3134
; %bb.2812:                             ;   in Loop: Header=BB2_2491 Depth=3
	s_or_saveexec_b32 s14, s14
	v_mov_b32_e32 v162, s34
	s_xor_b32 exec_lo, exec_lo, s14
	s_cbranch_execnz .LBB2_3137
.LBB2_2813:                             ;   in Loop: Header=BB2_2491 Depth=3
	s_or_b32 exec_lo, exec_lo, s14
	s_and_saveexec_b32 s14, s15
	s_cbranch_execz .LBB2_2815
.LBB2_2814:                             ;   in Loop: Header=BB2_2491 Depth=3
	v_bfe_u32 v162, v14, 24, 3
	v_bfe_u32 v165, v14, 27, 4
	s_delay_alu instid0(VALU_DEP_2) | instskip(NEXT) | instid1(VALU_DEP_2)
	v_clz_i32_u32_e32 v163, v162
	v_cmp_eq_u32_e32 vcc_lo, 0, v165
	s_delay_alu instid0(VALU_DEP_2) | instskip(NEXT) | instid1(VALU_DEP_1)
	v_min_u32_e32 v163, 32, v163
	v_subrev_nc_u32_e32 v164, 28, v163
	v_sub_nc_u32_e32 v163, 29, v163
	s_delay_alu instid0(VALU_DEP_1) | instskip(NEXT) | instid1(VALU_DEP_1)
	v_dual_cndmask_b32 v163, v165, v163 :: v_dual_lshlrev_b32 v164, v164, v161
	v_and_b32_e32 v164, 7, v164
	s_delay_alu instid0(VALU_DEP_2) | instskip(NEXT) | instid1(VALU_DEP_2)
	v_lshl_add_u32 v163, v163, 23, 0x3b800000
	v_cndmask_b32_e32 v162, v162, v164, vcc_lo
	v_and_b32_e32 v164, 0x80000000, v14
	s_delay_alu instid0(VALU_DEP_2) | instskip(NEXT) | instid1(VALU_DEP_1)
	v_lshlrev_b32_e32 v162, 20, v162
	v_or3_b32 v162, v164, v163, v162
.LBB2_2815:                             ;   in Loop: Header=BB2_2491 Depth=3
	s_or_b32 exec_lo, exec_lo, s14
	s_mov_b32 s14, 0
	s_mov_b32 s34, exec_lo
                                        ; implicit-def: $sgpr15
	v_cmpx_lt_i16_e64 0x7f, v160
	s_xor_b32 s34, exec_lo, s34
	s_cbranch_execnz .LBB2_3138
; %bb.2816:                             ;   in Loop: Header=BB2_2491 Depth=3
	s_or_saveexec_b32 s34, s34
	v_mov_b32_e32 v163, s15
	s_xor_b32 exec_lo, exec_lo, s34
	s_cbranch_execnz .LBB2_3141
.LBB2_2817:                             ;   in Loop: Header=BB2_2491 Depth=3
	s_or_b32 exec_lo, exec_lo, s34
	s_and_saveexec_b32 s15, s14
	s_cbranch_execz .LBB2_2819
.LBB2_2818:                             ;   in Loop: Header=BB2_2491 Depth=3
	v_bfe_u32 v163, v10, 24, 3
	v_bfe_u32 v166, v10, 27, 4
	s_delay_alu instid0(VALU_DEP_2) | instskip(NEXT) | instid1(VALU_DEP_2)
	v_clz_i32_u32_e32 v164, v163
	v_cmp_eq_u32_e32 vcc_lo, 0, v166
	s_delay_alu instid0(VALU_DEP_2) | instskip(NEXT) | instid1(VALU_DEP_1)
	v_min_u32_e32 v164, 32, v164
	v_subrev_nc_u32_e32 v165, 28, v164
	v_sub_nc_u32_e32 v164, 29, v164
	s_delay_alu instid0(VALU_DEP_2) | instskip(NEXT) | instid1(VALU_DEP_1)
	v_lshlrev_b32_e32 v165, v165, v160
	v_dual_cndmask_b32 v164, v166, v164 :: v_dual_and_b32 v165, 7, v165
	s_delay_alu instid0(VALU_DEP_1) | instskip(NEXT) | instid1(VALU_DEP_2)
	v_lshl_add_u32 v164, v164, 23, 0x3b800000
	v_cndmask_b32_e32 v163, v163, v165, vcc_lo
	v_and_b32_e32 v165, 0x80000000, v10
	s_delay_alu instid0(VALU_DEP_2) | instskip(NEXT) | instid1(VALU_DEP_1)
	v_lshlrev_b32_e32 v163, 20, v163
	v_or3_b32 v163, v165, v164, v163
.LBB2_2819:                             ;   in Loop: Header=BB2_2491 Depth=3
	s_or_b32 exec_lo, exec_lo, s15
	s_delay_alu instid0(VALU_DEP_1) | instskip(SKIP_1) | instid1(VALU_DEP_1)
	v_dual_max_f32 v163, v163, v163 :: v_dual_max_f32 v162, v162, v162
	s_mov_b32 s14, 0
	v_max_f32_e32 v162, v162, v163
	s_branch .LBB2_2821
.LBB2_2820:                             ;   in Loop: Header=BB2_2491 Depth=3
	s_mov_b32 s14, -1
                                        ; implicit-def: $vgpr162
.LBB2_2821:                             ;   in Loop: Header=BB2_2491 Depth=3
	s_delay_alu instid0(SALU_CYCLE_1)
	s_and_b32 vcc_lo, exec_lo, s14
	s_cbranch_vccz .LBB2_2831
; %bb.2822:                             ;   in Loop: Header=BB2_2491 Depth=3
	s_mov_b32 s14, 0
	s_mov_b32 s34, exec_lo
                                        ; implicit-def: $sgpr15
	v_cmpx_lt_i16_e64 0x7f, v161
	s_xor_b32 s34, exec_lo, s34
	s_cbranch_execnz .LBB2_3142
; %bb.2823:                             ;   in Loop: Header=BB2_2491 Depth=3
	s_or_saveexec_b32 s34, s34
	v_mov_b32_e32 v162, s15
	s_xor_b32 exec_lo, exec_lo, s34
	s_cbranch_execnz .LBB2_3145
.LBB2_2824:                             ;   in Loop: Header=BB2_2491 Depth=3
	s_or_b32 exec_lo, exec_lo, s34
	s_and_saveexec_b32 s15, s14
	s_cbranch_execz .LBB2_2826
.LBB2_2825:                             ;   in Loop: Header=BB2_2491 Depth=3
	v_bfe_u32 v162, v14, 24, 3
	s_delay_alu instid0(VALU_DEP_1) | instskip(NEXT) | instid1(VALU_DEP_1)
	v_clz_i32_u32_e32 v163, v162
	v_min_u32_e32 v163, 32, v163
	s_delay_alu instid0(VALU_DEP_1) | instskip(SKIP_1) | instid1(VALU_DEP_2)
	v_subrev_nc_u32_e32 v164, 28, v163
	v_sub_nc_u32_e32 v163, 29, v163
	v_lshlrev_b32_e32 v161, v164, v161
	v_bfe_u32 v164, v14, 27, 4
	v_and_b32_e32 v14, 0x80000000, v14
	s_delay_alu instid0(VALU_DEP_3) | instskip(NEXT) | instid1(VALU_DEP_3)
	v_and_b32_e32 v161, 7, v161
	v_cmp_eq_u32_e32 vcc_lo, 0, v164
	v_cndmask_b32_e32 v163, v164, v163, vcc_lo
	s_delay_alu instid0(VALU_DEP_3) | instskip(NEXT) | instid1(VALU_DEP_2)
	v_cndmask_b32_e32 v161, v162, v161, vcc_lo
	v_lshl_add_u32 v162, v163, 23, 0x3b800000
	s_delay_alu instid0(VALU_DEP_2) | instskip(NEXT) | instid1(VALU_DEP_1)
	v_lshlrev_b32_e32 v161, 20, v161
	v_or3_b32 v162, v14, v162, v161
.LBB2_2826:                             ;   in Loop: Header=BB2_2491 Depth=3
	s_or_b32 exec_lo, exec_lo, s15
	s_mov_b32 s14, 0
	s_mov_b32 s34, exec_lo
                                        ; implicit-def: $sgpr15
	v_cmpx_lt_i16_e64 0x7f, v160
	s_xor_b32 s34, exec_lo, s34
	s_cbranch_execnz .LBB2_3146
; %bb.2827:                             ;   in Loop: Header=BB2_2491 Depth=3
	s_or_saveexec_b32 s34, s34
	v_mov_b32_e32 v14, s15
	s_xor_b32 exec_lo, exec_lo, s34
	s_cbranch_execnz .LBB2_3149
.LBB2_2828:                             ;   in Loop: Header=BB2_2491 Depth=3
	s_or_b32 exec_lo, exec_lo, s34
	s_and_saveexec_b32 s15, s14
	s_cbranch_execz .LBB2_2830
.LBB2_2829:                             ;   in Loop: Header=BB2_2491 Depth=3
	v_bfe_u32 v14, v10, 24, 3
	s_delay_alu instid0(VALU_DEP_1) | instskip(NEXT) | instid1(VALU_DEP_1)
	v_clz_i32_u32_e32 v161, v14
	v_min_u32_e32 v161, 32, v161
	s_delay_alu instid0(VALU_DEP_1) | instskip(SKIP_1) | instid1(VALU_DEP_2)
	v_subrev_nc_u32_e32 v163, 28, v161
	v_sub_nc_u32_e32 v161, 29, v161
	v_lshlrev_b32_e32 v160, v163, v160
	v_bfe_u32 v163, v10, 27, 4
	v_and_b32_e32 v10, 0x80000000, v10
	s_delay_alu instid0(VALU_DEP_2) | instskip(NEXT) | instid1(VALU_DEP_4)
	v_cmp_eq_u32_e32 vcc_lo, 0, v163
	v_dual_cndmask_b32 v161, v163, v161 :: v_dual_and_b32 v160, 7, v160
	s_delay_alu instid0(VALU_DEP_1) | instskip(NEXT) | instid1(VALU_DEP_2)
	v_cndmask_b32_e32 v14, v14, v160, vcc_lo
	v_lshl_add_u32 v160, v161, 23, 0x3b800000
	s_delay_alu instid0(VALU_DEP_2) | instskip(NEXT) | instid1(VALU_DEP_1)
	v_lshlrev_b32_e32 v14, 20, v14
	v_or3_b32 v14, v10, v160, v14
.LBB2_2830:                             ;   in Loop: Header=BB2_2491 Depth=3
	s_or_b32 exec_lo, exec_lo, s15
	s_delay_alu instid0(VALU_DEP_1) | instskip(SKIP_1) | instid1(VALU_DEP_1)
	v_max_f32_e32 v10, v14, v14
	v_max_f32_e32 v14, v162, v162
	v_min_f32_e32 v162, v14, v10
.LBB2_2831:                             ;   in Loop: Header=BB2_2491 Depth=3
	s_delay_alu instid0(VALU_DEP_1) | instskip(NEXT) | instid1(VALU_DEP_1)
	v_and_b32_e32 v10, 0x7f800000, v162
	v_cmp_ne_u32_e32 vcc_lo, 0x7f800000, v10
	v_mov_b32_e32 v10, 0x80
	s_and_saveexec_b32 s15, vcc_lo
	s_cbranch_execz .LBB2_2839
; %bb.2832:                             ;   in Loop: Header=BB2_2491 Depth=3
	v_mov_b32_e32 v10, 0
	s_mov_b32 s34, exec_lo
	v_cmpx_ne_u32_e32 0, v162
	s_cbranch_execz .LBB2_2838
; %bb.2833:                             ;   in Loop: Header=BB2_2491 Depth=3
	v_bfe_u32 v10, v162, 23, 8
	v_and_b32_e32 v14, 0x7fffff, v162
	s_delay_alu instid0(VALU_DEP_2) | instskip(SKIP_1) | instid1(VALU_DEP_3)
	v_sub_nc_u32_e32 v160, 0x78, v10
	v_cmp_gt_u32_e32 vcc_lo, 0x79, v10
	v_or_b32_e32 v161, 0x800000, v14
	s_delay_alu instid0(VALU_DEP_3) | instskip(SKIP_2) | instid1(VALU_DEP_3)
	v_cndmask_b32_e32 v160, 0, v160, vcc_lo
	v_cmp_eq_u32_e32 vcc_lo, 0, v10
	v_add_nc_u32_e32 v10, 0xffffff89, v10
	v_cndmask_b32_e64 v160, v160, 0x77, vcc_lo
	v_cndmask_b32_e32 v14, v161, v14, vcc_lo
	s_delay_alu instid0(VALU_DEP_3) | instskip(NEXT) | instid1(VALU_DEP_3)
	v_cndmask_b32_e64 v10, v10, 0xffffff8a, vcc_lo
	v_lshl_add_u32 v161, 0x100000, v160, -1
	s_delay_alu instid0(VALU_DEP_3) | instskip(SKIP_1) | instid1(VALU_DEP_4)
	v_lshrrev_b32_e32 v163, v160, v14
	v_lshlrev_b32_e64 v165, v160, 0x80000
	v_add_nc_u32_e32 v160, v160, v10
	s_delay_alu instid0(VALU_DEP_4) | instskip(NEXT) | instid1(VALU_DEP_4)
	v_and_b32_e32 v14, v161, v14
	v_bfe_u32 v164, v163, 20, 1
	s_delay_alu instid0(VALU_DEP_2) | instskip(NEXT) | instid1(VALU_DEP_2)
	v_cmp_eq_u32_e64 s14, v14, v165
	v_add_nc_u32_e32 v161, -1, v164
	s_delay_alu instid0(VALU_DEP_1) | instskip(SKIP_2) | instid1(VALU_DEP_2)
	v_cndmask_b32_e64 v14, 0, v161, s14
	v_lshrrev_b32_e32 v161, 23, v163
	s_mov_b32 s14, exec_lo
	v_add_nc_u32_e32 v14, v14, v163
	s_delay_alu instid0(VALU_DEP_2) | instskip(NEXT) | instid1(VALU_DEP_2)
	v_xor_b32_e32 v161, 1, v161
	v_and_b32_e32 v10, 0xfffff, v14
	s_delay_alu instid0(VALU_DEP_1) | instskip(NEXT) | instid1(VALU_DEP_3)
	v_add_nc_u32_e32 v14, v10, v163
                                        ; implicit-def: $vgpr10
	v_cmpx_ne_u32_e64 v160, v161
	s_xor_b32 s14, exec_lo, s14
; %bb.2834:                             ;   in Loop: Header=BB2_2491 Depth=3
	s_delay_alu instid0(VALU_DEP_2) | instskip(SKIP_2) | instid1(VALU_DEP_2)
	v_cmp_lt_u32_e32 vcc_lo, 0xffffff, v14
	v_sub_nc_u32_e32 v10, v160, v161
	v_cndmask_b32_e64 v160, 0, 1, vcc_lo
	v_add_co_ci_u32_e32 v10, vcc_lo, 0, v10, vcc_lo
	s_delay_alu instid0(VALU_DEP_2)
	v_lshrrev_b32_e32 v14, v160, v14
; %bb.2835:                             ;   in Loop: Header=BB2_2491 Depth=3
	s_and_not1_saveexec_b32 s14, s14
; %bb.2836:                             ;   in Loop: Header=BB2_2491 Depth=3
	s_delay_alu instid0(VALU_DEP_1)
	v_bfe_u32 v10, v14, 23, 1
; %bb.2837:                             ;   in Loop: Header=BB2_2491 Depth=3
	s_or_b32 exec_lo, exec_lo, s14
	v_lshrrev_b32_e32 v14, 20, v14
	s_delay_alu instid0(VALU_DEP_2) | instskip(SKIP_2) | instid1(VALU_DEP_4)
	v_cmp_gt_i32_e32 vcc_lo, 16, v10
	v_lshrrev_b32_e32 v160, 24, v162
	v_min_i32_e32 v161, 15, v10
	v_cndmask_b32_e32 v14, 7, v14, vcc_lo
	s_delay_alu instid0(VALU_DEP_3) | instskip(NEXT) | instid1(VALU_DEP_3)
	v_and_b32_e32 v160, 0x80, v160
	v_lshlrev_b32_e32 v161, 3, v161
	s_delay_alu instid0(VALU_DEP_3) | instskip(SKIP_1) | instid1(VALU_DEP_2)
	v_and_b32_e32 v162, 7, v14
	v_or_b32_e32 v10, v10, v14
	v_or3_b32 v14, v161, v160, v162
	s_delay_alu instid0(VALU_DEP_2) | instskip(NEXT) | instid1(VALU_DEP_2)
	v_cmp_ne_u32_e32 vcc_lo, 0, v10
	v_cndmask_b32_e32 v10, 0, v14, vcc_lo
.LBB2_2838:                             ;   in Loop: Header=BB2_2491 Depth=3
	s_or_b32 exec_lo, exec_lo, s34
.LBB2_2839:                             ;   in Loop: Header=BB2_2491 Depth=3
	s_delay_alu instid0(SALU_CYCLE_1) | instskip(SKIP_2) | instid1(VALU_DEP_1)
	s_or_b32 exec_lo, exec_lo, s15
	v_and_b32_e32 v14, 0xff, v15
	s_and_b32 vcc_lo, exec_lo, s31
	v_cmp_lt_i16_e64 s14, 0x7f, v14
	s_cbranch_vccz .LBB2_2849
; %bb.2840:                             ;   in Loop: Header=BB2_2491 Depth=3
	s_mov_b32 s15, 0
                                        ; implicit-def: $sgpr34
	s_delay_alu instid0(VALU_DEP_1) | instskip(NEXT) | instid1(SALU_CYCLE_1)
	s_and_saveexec_b32 vcc_lo, s14
	s_xor_b32 s14, exec_lo, vcc_lo
	s_cbranch_execnz .LBB2_3150
; %bb.2841:                             ;   in Loop: Header=BB2_2491 Depth=3
	s_or_saveexec_b32 s14, s14
	v_mov_b32_e32 v160, s34
	s_xor_b32 exec_lo, exec_lo, s14
	s_cbranch_execnz .LBB2_3153
.LBB2_2842:                             ;   in Loop: Header=BB2_2491 Depth=3
	s_or_b32 exec_lo, exec_lo, s14
	s_and_saveexec_b32 s14, s15
	s_cbranch_execz .LBB2_2844
.LBB2_2843:                             ;   in Loop: Header=BB2_2491 Depth=3
	v_bfe_u32 v163, v15, 3, 4
	v_lshlrev_b32_e32 v164, 24, v15
	s_delay_alu instid0(VALU_DEP_2) | instskip(SKIP_1) | instid1(VALU_DEP_1)
	v_cmp_eq_u32_e32 vcc_lo, 0, v163
	v_and_b32_e32 v160, 7, v15
	v_clz_i32_u32_e32 v161, v160
	s_delay_alu instid0(VALU_DEP_1) | instskip(NEXT) | instid1(VALU_DEP_1)
	v_min_u32_e32 v161, 32, v161
	v_subrev_nc_u32_e32 v162, 28, v161
	v_sub_nc_u32_e32 v161, 29, v161
	s_delay_alu instid0(VALU_DEP_1) | instskip(NEXT) | instid1(VALU_DEP_1)
	v_dual_cndmask_b32 v161, v163, v161 :: v_dual_lshlrev_b32 v162, v162, v15
	v_and_b32_e32 v162, 7, v162
	s_delay_alu instid0(VALU_DEP_2) | instskip(NEXT) | instid1(VALU_DEP_2)
	v_lshl_add_u32 v161, v161, 23, 0x3b800000
	v_cndmask_b32_e32 v160, v160, v162, vcc_lo
	v_and_b32_e32 v162, 0x80000000, v164
	s_delay_alu instid0(VALU_DEP_2) | instskip(NEXT) | instid1(VALU_DEP_1)
	v_lshlrev_b32_e32 v160, 20, v160
	v_or3_b32 v160, v162, v161, v160
.LBB2_2844:                             ;   in Loop: Header=BB2_2491 Depth=3
	s_or_b32 exec_lo, exec_lo, s14
	v_and_b32_e32 v162, 0xff, v11
	s_mov_b32 s14, 0
	s_mov_b32 s34, exec_lo
                                        ; implicit-def: $sgpr15
	s_delay_alu instid0(VALU_DEP_1)
	v_cmpx_lt_i16_e64 0x7f, v162
	s_xor_b32 s34, exec_lo, s34
	s_cbranch_execnz .LBB2_3154
; %bb.2845:                             ;   in Loop: Header=BB2_2491 Depth=3
	s_or_saveexec_b32 s34, s34
	v_mov_b32_e32 v161, s15
	s_xor_b32 exec_lo, exec_lo, s34
	s_cbranch_execnz .LBB2_3157
.LBB2_2846:                             ;   in Loop: Header=BB2_2491 Depth=3
	s_or_b32 exec_lo, exec_lo, s34
	s_and_saveexec_b32 s15, s14
	s_cbranch_execz .LBB2_2848
.LBB2_2847:                             ;   in Loop: Header=BB2_2491 Depth=3
	v_bfe_u32 v164, v11, 3, 4
	v_lshlrev_b32_e32 v165, 24, v11
	s_delay_alu instid0(VALU_DEP_2) | instskip(SKIP_1) | instid1(VALU_DEP_1)
	v_cmp_eq_u32_e32 vcc_lo, 0, v164
	v_and_b32_e32 v161, 7, v11
	v_clz_i32_u32_e32 v162, v161
	s_delay_alu instid0(VALU_DEP_1) | instskip(NEXT) | instid1(VALU_DEP_1)
	v_min_u32_e32 v162, 32, v162
	v_subrev_nc_u32_e32 v163, 28, v162
	v_sub_nc_u32_e32 v162, 29, v162
	s_delay_alu instid0(VALU_DEP_1) | instskip(NEXT) | instid1(VALU_DEP_1)
	v_dual_cndmask_b32 v162, v164, v162 :: v_dual_lshlrev_b32 v163, v163, v11
	v_and_b32_e32 v163, 7, v163
	s_delay_alu instid0(VALU_DEP_2) | instskip(NEXT) | instid1(VALU_DEP_2)
	v_lshl_add_u32 v162, v162, 23, 0x3b800000
	v_cndmask_b32_e32 v161, v161, v163, vcc_lo
	v_and_b32_e32 v163, 0x80000000, v165
	s_delay_alu instid0(VALU_DEP_2) | instskip(NEXT) | instid1(VALU_DEP_1)
	v_lshlrev_b32_e32 v161, 20, v161
	v_or3_b32 v161, v163, v162, v161
.LBB2_2848:                             ;   in Loop: Header=BB2_2491 Depth=3
	s_or_b32 exec_lo, exec_lo, s15
	s_delay_alu instid0(VALU_DEP_1) | instskip(SKIP_1) | instid1(VALU_DEP_1)
	v_dual_max_f32 v161, v161, v161 :: v_dual_max_f32 v160, v160, v160
	s_mov_b32 s14, 0
	v_max_f32_e32 v160, v160, v161
	s_branch .LBB2_2850
.LBB2_2849:                             ;   in Loop: Header=BB2_2491 Depth=3
	s_mov_b32 s14, -1
                                        ; implicit-def: $vgpr160
.LBB2_2850:                             ;   in Loop: Header=BB2_2491 Depth=3
	s_delay_alu instid0(SALU_CYCLE_1)
	s_and_b32 vcc_lo, exec_lo, s14
	s_cbranch_vccz .LBB2_2860
; %bb.2851:                             ;   in Loop: Header=BB2_2491 Depth=3
	s_mov_b32 s14, 0
	s_mov_b32 s34, exec_lo
                                        ; implicit-def: $sgpr15
	v_cmpx_lt_i16_e32 0x7f, v14
	s_xor_b32 s34, exec_lo, s34
	s_cbranch_execnz .LBB2_3158
; %bb.2852:                             ;   in Loop: Header=BB2_2491 Depth=3
	s_or_saveexec_b32 s34, s34
	v_mov_b32_e32 v160, s15
	s_xor_b32 exec_lo, exec_lo, s34
	s_cbranch_execnz .LBB2_3161
.LBB2_2853:                             ;   in Loop: Header=BB2_2491 Depth=3
	s_or_b32 exec_lo, exec_lo, s34
	s_and_saveexec_b32 s15, s14
	s_cbranch_execz .LBB2_2855
.LBB2_2854:                             ;   in Loop: Header=BB2_2491 Depth=3
	v_and_b32_e32 v14, 7, v15
	v_bfe_u32 v162, v15, 3, 4
	s_delay_alu instid0(VALU_DEP_2) | instskip(NEXT) | instid1(VALU_DEP_2)
	v_clz_i32_u32_e32 v160, v14
	v_cmp_eq_u32_e32 vcc_lo, 0, v162
	s_delay_alu instid0(VALU_DEP_2) | instskip(NEXT) | instid1(VALU_DEP_1)
	v_min_u32_e32 v160, 32, v160
	v_subrev_nc_u32_e32 v161, 28, v160
	v_sub_nc_u32_e32 v160, 29, v160
	s_delay_alu instid0(VALU_DEP_1) | instskip(NEXT) | instid1(VALU_DEP_1)
	v_dual_cndmask_b32 v160, v162, v160 :: v_dual_lshlrev_b32 v161, v161, v15
	v_and_b32_e32 v161, 7, v161
	v_lshlrev_b32_e32 v163, 24, v15
	s_delay_alu instid0(VALU_DEP_3) | instskip(NEXT) | instid1(VALU_DEP_2)
	v_lshl_add_u32 v160, v160, 23, 0x3b800000
	v_dual_cndmask_b32 v14, v14, v161 :: v_dual_and_b32 v161, 0x80000000, v163
	s_delay_alu instid0(VALU_DEP_1) | instskip(NEXT) | instid1(VALU_DEP_1)
	v_lshlrev_b32_e32 v14, 20, v14
	v_or3_b32 v160, v161, v160, v14
.LBB2_2855:                             ;   in Loop: Header=BB2_2491 Depth=3
	s_or_b32 exec_lo, exec_lo, s15
	v_and_b32_e32 v161, 0xff, v11
	s_mov_b32 s14, 0
	s_mov_b32 s34, exec_lo
                                        ; implicit-def: $sgpr15
	s_delay_alu instid0(VALU_DEP_1)
	v_cmpx_lt_i16_e64 0x7f, v161
	s_xor_b32 s34, exec_lo, s34
	s_cbranch_execnz .LBB2_3162
; %bb.2856:                             ;   in Loop: Header=BB2_2491 Depth=3
	s_or_saveexec_b32 s34, s34
	v_mov_b32_e32 v14, s15
	s_xor_b32 exec_lo, exec_lo, s34
	s_cbranch_execnz .LBB2_3165
.LBB2_2857:                             ;   in Loop: Header=BB2_2491 Depth=3
	s_or_b32 exec_lo, exec_lo, s34
	s_and_saveexec_b32 s15, s14
	s_cbranch_execz .LBB2_2859
.LBB2_2858:                             ;   in Loop: Header=BB2_2491 Depth=3
	v_bfe_u32 v163, v11, 3, 4
	v_lshlrev_b32_e32 v164, 24, v11
	s_delay_alu instid0(VALU_DEP_2) | instskip(SKIP_1) | instid1(VALU_DEP_1)
	v_cmp_eq_u32_e32 vcc_lo, 0, v163
	v_and_b32_e32 v14, 7, v11
	v_clz_i32_u32_e32 v161, v14
	s_delay_alu instid0(VALU_DEP_1) | instskip(NEXT) | instid1(VALU_DEP_1)
	v_min_u32_e32 v161, 32, v161
	v_subrev_nc_u32_e32 v162, 28, v161
	v_sub_nc_u32_e32 v161, 29, v161
	s_delay_alu instid0(VALU_DEP_1) | instskip(NEXT) | instid1(VALU_DEP_1)
	v_dual_cndmask_b32 v161, v163, v161 :: v_dual_lshlrev_b32 v162, v162, v11
	v_and_b32_e32 v162, 7, v162
	s_delay_alu instid0(VALU_DEP_2) | instskip(NEXT) | instid1(VALU_DEP_2)
	v_lshl_add_u32 v161, v161, 23, 0x3b800000
	v_cndmask_b32_e32 v14, v14, v162, vcc_lo
	v_and_b32_e32 v162, 0x80000000, v164
	s_delay_alu instid0(VALU_DEP_2) | instskip(NEXT) | instid1(VALU_DEP_1)
	v_lshlrev_b32_e32 v14, 20, v14
	v_or3_b32 v14, v162, v161, v14
.LBB2_2859:                             ;   in Loop: Header=BB2_2491 Depth=3
	s_or_b32 exec_lo, exec_lo, s15
	s_delay_alu instid0(VALU_DEP_1) | instskip(SKIP_1) | instid1(VALU_DEP_1)
	v_max_f32_e32 v14, v14, v14
	v_max_f32_e32 v160, v160, v160
	v_min_f32_e32 v160, v160, v14
.LBB2_2860:                             ;   in Loop: Header=BB2_2491 Depth=3
	s_delay_alu instid0(VALU_DEP_1) | instskip(NEXT) | instid1(VALU_DEP_1)
	v_and_b32_e32 v14, 0x7f800000, v160
	v_cmp_ne_u32_e32 vcc_lo, 0x7f800000, v14
	v_mov_b32_e32 v14, 0x80
	s_and_saveexec_b32 s15, vcc_lo
	s_cbranch_execz .LBB2_2868
; %bb.2861:                             ;   in Loop: Header=BB2_2491 Depth=3
	v_mov_b32_e32 v14, 0
	s_mov_b32 s34, exec_lo
	v_cmpx_ne_u32_e32 0, v160
	s_cbranch_execz .LBB2_2867
; %bb.2862:                             ;   in Loop: Header=BB2_2491 Depth=3
	v_bfe_u32 v14, v160, 23, 8
	s_delay_alu instid0(VALU_DEP_1) | instskip(SKIP_1) | instid1(VALU_DEP_2)
	v_sub_nc_u32_e32 v162, 0x78, v14
	v_cmp_gt_u32_e32 vcc_lo, 0x79, v14
	v_dual_cndmask_b32 v162, 0, v162 :: v_dual_and_b32 v161, 0x7fffff, v160
	s_delay_alu instid0(VALU_DEP_1) | instskip(SKIP_2) | instid1(VALU_DEP_4)
	v_or_b32_e32 v163, 0x800000, v161
	v_cmp_eq_u32_e32 vcc_lo, 0, v14
	v_add_nc_u32_e32 v14, 0xffffff89, v14
	v_cndmask_b32_e64 v162, v162, 0x77, vcc_lo
	s_delay_alu instid0(VALU_DEP_4) | instskip(NEXT) | instid1(VALU_DEP_3)
	v_cndmask_b32_e32 v161, v163, v161, vcc_lo
	v_cndmask_b32_e64 v14, v14, 0xffffff8a, vcc_lo
	s_delay_alu instid0(VALU_DEP_3) | instskip(NEXT) | instid1(VALU_DEP_3)
	v_lshl_add_u32 v163, 0x100000, v162, -1
	v_lshrrev_b32_e32 v164, v162, v161
	v_lshlrev_b32_e64 v166, v162, 0x80000
	s_delay_alu instid0(VALU_DEP_4) | instskip(NEXT) | instid1(VALU_DEP_4)
	v_add_nc_u32_e32 v162, v162, v14
	v_and_b32_e32 v161, v163, v161
	s_delay_alu instid0(VALU_DEP_4) | instskip(NEXT) | instid1(VALU_DEP_2)
	v_bfe_u32 v165, v164, 20, 1
	v_cmp_eq_u32_e64 s14, v161, v166
	s_delay_alu instid0(VALU_DEP_2) | instskip(NEXT) | instid1(VALU_DEP_1)
	v_add_nc_u32_e32 v163, -1, v165
	v_cndmask_b32_e64 v161, 0, v163, s14
	v_lshrrev_b32_e32 v163, 23, v164
	s_mov_b32 s14, exec_lo
	s_delay_alu instid0(VALU_DEP_2) | instskip(NEXT) | instid1(VALU_DEP_2)
	v_add_nc_u32_e32 v161, v161, v164
	v_xor_b32_e32 v163, 1, v163
	s_delay_alu instid0(VALU_DEP_2) | instskip(NEXT) | instid1(VALU_DEP_1)
	v_and_b32_e32 v14, 0xfffff, v161
	v_add_nc_u32_e32 v161, v14, v164
                                        ; implicit-def: $vgpr14
	s_delay_alu instid0(VALU_DEP_3)
	v_cmpx_ne_u32_e64 v162, v163
	s_xor_b32 s14, exec_lo, s14
; %bb.2863:                             ;   in Loop: Header=BB2_2491 Depth=3
	s_delay_alu instid0(VALU_DEP_2) | instskip(SKIP_2) | instid1(VALU_DEP_2)
	v_cmp_lt_u32_e32 vcc_lo, 0xffffff, v161
	v_sub_nc_u32_e32 v14, v162, v163
	v_cndmask_b32_e64 v162, 0, 1, vcc_lo
	v_add_co_ci_u32_e32 v14, vcc_lo, 0, v14, vcc_lo
	s_delay_alu instid0(VALU_DEP_2)
	v_lshrrev_b32_e32 v161, v162, v161
; %bb.2864:                             ;   in Loop: Header=BB2_2491 Depth=3
	s_and_not1_saveexec_b32 s14, s14
; %bb.2865:                             ;   in Loop: Header=BB2_2491 Depth=3
	s_delay_alu instid0(VALU_DEP_1)
	v_bfe_u32 v14, v161, 23, 1
; %bb.2866:                             ;   in Loop: Header=BB2_2491 Depth=3
	s_or_b32 exec_lo, exec_lo, s14
	v_lshrrev_b32_e32 v161, 20, v161
	s_delay_alu instid0(VALU_DEP_2) | instskip(SKIP_2) | instid1(VALU_DEP_2)
	v_cmp_gt_i32_e32 vcc_lo, 16, v14
	v_lshrrev_b32_e32 v160, 24, v160
	v_min_i32_e32 v162, 15, v14
	v_dual_cndmask_b32 v161, 7, v161 :: v_dual_and_b32 v160, 0x80, v160
	s_delay_alu instid0(VALU_DEP_2) | instskip(NEXT) | instid1(VALU_DEP_2)
	v_lshlrev_b32_e32 v162, 3, v162
	v_or_b32_e32 v14, v14, v161
	s_delay_alu instid0(VALU_DEP_1) | instskip(SKIP_1) | instid1(VALU_DEP_1)
	v_cmp_ne_u32_e32 vcc_lo, 0, v14
	v_and_b32_e32 v163, 7, v161
	v_or3_b32 v160, v162, v160, v163
	s_delay_alu instid0(VALU_DEP_1)
	v_cndmask_b32_e32 v14, 0, v160, vcc_lo
.LBB2_2867:                             ;   in Loop: Header=BB2_2491 Depth=3
	s_or_b32 exec_lo, exec_lo, s34
.LBB2_2868:                             ;   in Loop: Header=BB2_2491 Depth=3
	s_delay_alu instid0(SALU_CYCLE_1) | instskip(SKIP_3) | instid1(VALU_DEP_2)
	s_or_b32 exec_lo, exec_lo, s15
	v_lshrrev_b16 v161, 8, v15
	v_lshrrev_b16 v160, 8, v11
	s_and_b32 vcc_lo, exec_lo, s31
	v_cmp_lt_i16_e64 s14, 0x7f, v161
	s_cbranch_vccz .LBB2_2878
; %bb.2869:                             ;   in Loop: Header=BB2_2491 Depth=3
	s_mov_b32 s15, 0
                                        ; implicit-def: $sgpr34
	s_delay_alu instid0(VALU_DEP_1) | instskip(NEXT) | instid1(SALU_CYCLE_1)
	s_and_saveexec_b32 vcc_lo, s14
	s_xor_b32 s14, exec_lo, vcc_lo
	s_cbranch_execnz .LBB2_3166
; %bb.2870:                             ;   in Loop: Header=BB2_2491 Depth=3
	s_or_saveexec_b32 s14, s14
	v_mov_b32_e32 v162, s34
	s_xor_b32 exec_lo, exec_lo, s14
	s_cbranch_execnz .LBB2_3169
.LBB2_2871:                             ;   in Loop: Header=BB2_2491 Depth=3
	s_or_b32 exec_lo, exec_lo, s14
	s_and_saveexec_b32 s14, s15
	s_cbranch_execz .LBB2_2873
.LBB2_2872:                             ;   in Loop: Header=BB2_2491 Depth=3
	v_and_b32_e32 v162, 0xffff, v161
	s_delay_alu instid0(VALU_DEP_1) | instskip(NEXT) | instid1(VALU_DEP_1)
	v_and_b32_e32 v163, 7, v162
	v_clz_i32_u32_e32 v164, v163
	s_delay_alu instid0(VALU_DEP_1) | instskip(NEXT) | instid1(VALU_DEP_1)
	v_min_u32_e32 v164, 32, v164
	v_subrev_nc_u32_e32 v165, 28, v164
	v_sub_nc_u32_e32 v164, 29, v164
	s_delay_alu instid0(VALU_DEP_2) | instskip(SKIP_1) | instid1(VALU_DEP_2)
	v_lshlrev_b32_e32 v165, v165, v162
	v_bfe_u32 v162, v162, 3, 4
	v_and_b32_e32 v165, 7, v165
	s_delay_alu instid0(VALU_DEP_2) | instskip(SKIP_1) | instid1(VALU_DEP_3)
	v_cmp_eq_u32_e32 vcc_lo, 0, v162
	v_cndmask_b32_e32 v162, v162, v164, vcc_lo
	v_dual_cndmask_b32 v163, v163, v165 :: v_dual_lshlrev_b32 v166, 16, v15
	s_delay_alu instid0(VALU_DEP_2) | instskip(NEXT) | instid1(VALU_DEP_2)
	v_lshl_add_u32 v162, v162, 23, 0x3b800000
	v_and_b32_e32 v164, 0x80000000, v166
	s_delay_alu instid0(VALU_DEP_3) | instskip(NEXT) | instid1(VALU_DEP_1)
	v_lshlrev_b32_e32 v163, 20, v163
	v_or3_b32 v162, v164, v162, v163
.LBB2_2873:                             ;   in Loop: Header=BB2_2491 Depth=3
	s_or_b32 exec_lo, exec_lo, s14
	s_mov_b32 s14, 0
	s_mov_b32 s34, exec_lo
                                        ; implicit-def: $sgpr15
	v_cmpx_lt_i16_e64 0x7f, v160
	s_xor_b32 s34, exec_lo, s34
	s_cbranch_execnz .LBB2_3170
; %bb.2874:                             ;   in Loop: Header=BB2_2491 Depth=3
	s_or_saveexec_b32 s34, s34
	v_mov_b32_e32 v163, s15
	s_xor_b32 exec_lo, exec_lo, s34
	s_cbranch_execnz .LBB2_3173
.LBB2_2875:                             ;   in Loop: Header=BB2_2491 Depth=3
	s_or_b32 exec_lo, exec_lo, s34
	s_and_saveexec_b32 s15, s14
	s_cbranch_execz .LBB2_2877
.LBB2_2876:                             ;   in Loop: Header=BB2_2491 Depth=3
	v_and_b32_e32 v163, 0xffff, v160
	v_lshlrev_b32_e32 v167, 16, v11
	s_delay_alu instid0(VALU_DEP_2) | instskip(NEXT) | instid1(VALU_DEP_1)
	v_and_b32_e32 v164, 7, v163
	v_clz_i32_u32_e32 v165, v164
	s_delay_alu instid0(VALU_DEP_1) | instskip(NEXT) | instid1(VALU_DEP_1)
	v_min_u32_e32 v165, 32, v165
	v_subrev_nc_u32_e32 v166, 28, v165
	v_sub_nc_u32_e32 v165, 29, v165
	s_delay_alu instid0(VALU_DEP_2) | instskip(SKIP_1) | instid1(VALU_DEP_2)
	v_lshlrev_b32_e32 v166, v166, v163
	v_bfe_u32 v163, v163, 3, 4
	v_and_b32_e32 v166, 7, v166
	s_delay_alu instid0(VALU_DEP_2) | instskip(NEXT) | instid1(VALU_DEP_2)
	v_cmp_eq_u32_e32 vcc_lo, 0, v163
	v_dual_cndmask_b32 v163, v163, v165 :: v_dual_cndmask_b32 v164, v164, v166
	v_and_b32_e32 v165, 0x80000000, v167
	s_delay_alu instid0(VALU_DEP_2) | instskip(NEXT) | instid1(VALU_DEP_3)
	v_lshl_add_u32 v163, v163, 23, 0x3b800000
	v_lshlrev_b32_e32 v164, 20, v164
	s_delay_alu instid0(VALU_DEP_1)
	v_or3_b32 v163, v165, v163, v164
.LBB2_2877:                             ;   in Loop: Header=BB2_2491 Depth=3
	s_or_b32 exec_lo, exec_lo, s15
	s_delay_alu instid0(VALU_DEP_1) | instskip(SKIP_1) | instid1(VALU_DEP_1)
	v_dual_max_f32 v163, v163, v163 :: v_dual_max_f32 v162, v162, v162
	s_mov_b32 s14, 0
	v_max_f32_e32 v162, v162, v163
	s_branch .LBB2_2879
.LBB2_2878:                             ;   in Loop: Header=BB2_2491 Depth=3
	s_mov_b32 s14, -1
                                        ; implicit-def: $vgpr162
.LBB2_2879:                             ;   in Loop: Header=BB2_2491 Depth=3
	s_delay_alu instid0(SALU_CYCLE_1)
	s_and_b32 vcc_lo, exec_lo, s14
	s_cbranch_vccz .LBB2_2889
; %bb.2880:                             ;   in Loop: Header=BB2_2491 Depth=3
	s_mov_b32 s14, 0
	s_mov_b32 s34, exec_lo
                                        ; implicit-def: $sgpr15
	v_cmpx_lt_i16_e64 0x7f, v161
	s_xor_b32 s34, exec_lo, s34
	s_cbranch_execnz .LBB2_3174
; %bb.2881:                             ;   in Loop: Header=BB2_2491 Depth=3
	s_or_saveexec_b32 s34, s34
	v_mov_b32_e32 v162, s15
	s_xor_b32 exec_lo, exec_lo, s34
	s_cbranch_execnz .LBB2_3177
.LBB2_2882:                             ;   in Loop: Header=BB2_2491 Depth=3
	s_or_b32 exec_lo, exec_lo, s34
	s_and_saveexec_b32 s15, s14
	s_cbranch_execz .LBB2_2884
.LBB2_2883:                             ;   in Loop: Header=BB2_2491 Depth=3
	v_and_b32_e32 v161, 0xffff, v161
	v_lshlrev_b32_e32 v165, 16, v15
	s_delay_alu instid0(VALU_DEP_2) | instskip(NEXT) | instid1(VALU_DEP_1)
	v_and_b32_e32 v162, 7, v161
	v_clz_i32_u32_e32 v163, v162
	s_delay_alu instid0(VALU_DEP_1) | instskip(NEXT) | instid1(VALU_DEP_1)
	v_min_u32_e32 v163, 32, v163
	v_subrev_nc_u32_e32 v164, 28, v163
	v_sub_nc_u32_e32 v163, 29, v163
	s_delay_alu instid0(VALU_DEP_2) | instskip(SKIP_1) | instid1(VALU_DEP_2)
	v_lshlrev_b32_e32 v164, v164, v161
	v_bfe_u32 v161, v161, 3, 4
	v_and_b32_e32 v164, 7, v164
	s_delay_alu instid0(VALU_DEP_2) | instskip(NEXT) | instid1(VALU_DEP_2)
	v_cmp_eq_u32_e32 vcc_lo, 0, v161
	v_dual_cndmask_b32 v161, v161, v163 :: v_dual_cndmask_b32 v162, v162, v164
	v_and_b32_e32 v163, 0x80000000, v165
	s_delay_alu instid0(VALU_DEP_2) | instskip(NEXT) | instid1(VALU_DEP_3)
	v_lshl_add_u32 v161, v161, 23, 0x3b800000
	v_lshlrev_b32_e32 v162, 20, v162
	s_delay_alu instid0(VALU_DEP_1)
	v_or3_b32 v162, v163, v161, v162
.LBB2_2884:                             ;   in Loop: Header=BB2_2491 Depth=3
	s_or_b32 exec_lo, exec_lo, s15
	s_mov_b32 s14, 0
	s_mov_b32 s34, exec_lo
                                        ; implicit-def: $sgpr15
	v_cmpx_lt_i16_e64 0x7f, v160
	s_xor_b32 s34, exec_lo, s34
	s_cbranch_execnz .LBB2_3178
; %bb.2885:                             ;   in Loop: Header=BB2_2491 Depth=3
	s_or_saveexec_b32 s34, s34
	v_mov_b32_e32 v161, s15
	s_xor_b32 exec_lo, exec_lo, s34
	s_cbranch_execnz .LBB2_3181
.LBB2_2886:                             ;   in Loop: Header=BB2_2491 Depth=3
	s_or_b32 exec_lo, exec_lo, s34
	s_and_saveexec_b32 s15, s14
	s_cbranch_execz .LBB2_2888
.LBB2_2887:                             ;   in Loop: Header=BB2_2491 Depth=3
	v_and_b32_e32 v160, 0xffff, v160
	v_lshlrev_b32_e32 v165, 16, v11
	s_delay_alu instid0(VALU_DEP_2) | instskip(NEXT) | instid1(VALU_DEP_1)
	v_and_b32_e32 v161, 7, v160
	v_clz_i32_u32_e32 v163, v161
	s_delay_alu instid0(VALU_DEP_1) | instskip(NEXT) | instid1(VALU_DEP_1)
	v_min_u32_e32 v163, 32, v163
	v_subrev_nc_u32_e32 v164, 28, v163
	v_sub_nc_u32_e32 v163, 29, v163
	s_delay_alu instid0(VALU_DEP_2) | instskip(SKIP_1) | instid1(VALU_DEP_2)
	v_lshlrev_b32_e32 v164, v164, v160
	v_bfe_u32 v160, v160, 3, 4
	v_and_b32_e32 v164, 7, v164
	s_delay_alu instid0(VALU_DEP_2) | instskip(NEXT) | instid1(VALU_DEP_2)
	v_cmp_eq_u32_e32 vcc_lo, 0, v160
	v_dual_cndmask_b32 v160, v160, v163 :: v_dual_cndmask_b32 v161, v161, v164
	v_and_b32_e32 v163, 0x80000000, v165
	s_delay_alu instid0(VALU_DEP_2) | instskip(NEXT) | instid1(VALU_DEP_3)
	v_lshl_add_u32 v160, v160, 23, 0x3b800000
	v_lshlrev_b32_e32 v161, 20, v161
	s_delay_alu instid0(VALU_DEP_1)
	v_or3_b32 v161, v163, v160, v161
.LBB2_2888:                             ;   in Loop: Header=BB2_2491 Depth=3
	s_or_b32 exec_lo, exec_lo, s15
	s_delay_alu instid0(VALU_DEP_1) | instskip(NEXT) | instid1(VALU_DEP_1)
	v_dual_max_f32 v160, v161, v161 :: v_dual_max_f32 v161, v162, v162
	v_min_f32_e32 v162, v161, v160
.LBB2_2889:                             ;   in Loop: Header=BB2_2491 Depth=3
	s_delay_alu instid0(VALU_DEP_1) | instskip(NEXT) | instid1(VALU_DEP_1)
	v_and_b32_e32 v160, 0x7f800000, v162
	v_cmp_ne_u32_e32 vcc_lo, 0x7f800000, v160
	v_mov_b32_e32 v160, 0x80
	s_and_saveexec_b32 s15, vcc_lo
	s_cbranch_execz .LBB2_2897
; %bb.2890:                             ;   in Loop: Header=BB2_2491 Depth=3
	v_mov_b32_e32 v160, 0
	s_mov_b32 s34, exec_lo
	v_cmpx_ne_u32_e32 0, v162
	s_cbranch_execz .LBB2_2896
; %bb.2891:                             ;   in Loop: Header=BB2_2491 Depth=3
	v_bfe_u32 v160, v162, 23, 8
	v_and_b32_e32 v161, 0x7fffff, v162
	s_delay_alu instid0(VALU_DEP_2) | instskip(SKIP_1) | instid1(VALU_DEP_3)
	v_sub_nc_u32_e32 v163, 0x78, v160
	v_cmp_gt_u32_e32 vcc_lo, 0x79, v160
	v_or_b32_e32 v164, 0x800000, v161
	s_delay_alu instid0(VALU_DEP_3) | instskip(SKIP_2) | instid1(VALU_DEP_3)
	v_cndmask_b32_e32 v163, 0, v163, vcc_lo
	v_cmp_eq_u32_e32 vcc_lo, 0, v160
	v_add_nc_u32_e32 v160, 0xffffff89, v160
	v_cndmask_b32_e64 v163, v163, 0x77, vcc_lo
	v_cndmask_b32_e32 v161, v164, v161, vcc_lo
	s_delay_alu instid0(VALU_DEP_3) | instskip(NEXT) | instid1(VALU_DEP_3)
	v_cndmask_b32_e64 v160, v160, 0xffffff8a, vcc_lo
	v_lshl_add_u32 v164, 0x100000, v163, -1
	s_delay_alu instid0(VALU_DEP_3) | instskip(SKIP_1) | instid1(VALU_DEP_4)
	v_lshrrev_b32_e32 v165, v163, v161
	v_lshlrev_b32_e64 v167, v163, 0x80000
	v_add_nc_u32_e32 v163, v163, v160
	s_delay_alu instid0(VALU_DEP_4) | instskip(NEXT) | instid1(VALU_DEP_4)
	v_and_b32_e32 v161, v164, v161
	v_bfe_u32 v166, v165, 20, 1
	s_delay_alu instid0(VALU_DEP_2) | instskip(NEXT) | instid1(VALU_DEP_2)
	v_cmp_eq_u32_e64 s14, v161, v167
	v_add_nc_u32_e32 v164, -1, v166
	s_delay_alu instid0(VALU_DEP_1) | instskip(SKIP_2) | instid1(VALU_DEP_2)
	v_cndmask_b32_e64 v161, 0, v164, s14
	v_lshrrev_b32_e32 v164, 23, v165
	s_mov_b32 s14, exec_lo
	v_add_nc_u32_e32 v161, v161, v165
	s_delay_alu instid0(VALU_DEP_2) | instskip(NEXT) | instid1(VALU_DEP_2)
	v_xor_b32_e32 v164, 1, v164
	v_and_b32_e32 v160, 0xfffff, v161
	s_delay_alu instid0(VALU_DEP_1) | instskip(NEXT) | instid1(VALU_DEP_3)
	v_add_nc_u32_e32 v161, v160, v165
                                        ; implicit-def: $vgpr160
	v_cmpx_ne_u32_e64 v163, v164
	s_xor_b32 s14, exec_lo, s14
; %bb.2892:                             ;   in Loop: Header=BB2_2491 Depth=3
	s_delay_alu instid0(VALU_DEP_2) | instskip(SKIP_2) | instid1(VALU_DEP_2)
	v_cmp_lt_u32_e32 vcc_lo, 0xffffff, v161
	v_sub_nc_u32_e32 v160, v163, v164
	v_cndmask_b32_e64 v163, 0, 1, vcc_lo
	v_add_co_ci_u32_e32 v160, vcc_lo, 0, v160, vcc_lo
	s_delay_alu instid0(VALU_DEP_2)
	v_lshrrev_b32_e32 v161, v163, v161
; %bb.2893:                             ;   in Loop: Header=BB2_2491 Depth=3
	s_and_not1_saveexec_b32 s14, s14
; %bb.2894:                             ;   in Loop: Header=BB2_2491 Depth=3
	s_delay_alu instid0(VALU_DEP_1)
	v_bfe_u32 v160, v161, 23, 1
; %bb.2895:                             ;   in Loop: Header=BB2_2491 Depth=3
	s_or_b32 exec_lo, exec_lo, s14
	v_lshrrev_b32_e32 v161, 20, v161
	s_delay_alu instid0(VALU_DEP_2) | instskip(SKIP_2) | instid1(VALU_DEP_2)
	v_cmp_gt_i32_e32 vcc_lo, 16, v160
	v_lshrrev_b32_e32 v162, 24, v162
	v_min_i32_e32 v163, 15, v160
	v_dual_cndmask_b32 v161, 7, v161 :: v_dual_and_b32 v162, 0x80, v162
	s_delay_alu instid0(VALU_DEP_1) | instskip(SKIP_1) | instid1(VALU_DEP_2)
	v_or_b32_e32 v160, v160, v161
	v_and_b32_e32 v164, 7, v161
	v_cmp_ne_u32_e32 vcc_lo, 0, v160
	v_lshlrev_b32_e32 v163, 3, v163
	s_delay_alu instid0(VALU_DEP_1) | instskip(NEXT) | instid1(VALU_DEP_1)
	v_or3_b32 v161, v163, v162, v164
	v_cndmask_b32_e32 v160, 0, v161, vcc_lo
.LBB2_2896:                             ;   in Loop: Header=BB2_2491 Depth=3
	s_or_b32 exec_lo, exec_lo, s34
.LBB2_2897:                             ;   in Loop: Header=BB2_2491 Depth=3
	s_delay_alu instid0(SALU_CYCLE_1) | instskip(SKIP_3) | instid1(VALU_DEP_2)
	s_or_b32 exec_lo, exec_lo, s15
	v_lshrrev_b32_e32 v162, 16, v15
	v_lshrrev_b32_e32 v161, 16, v11
	s_and_b32 vcc_lo, exec_lo, s31
	v_and_b32_e32 v163, 0xff, v162
	s_delay_alu instid0(VALU_DEP_1)
	v_cmp_lt_i16_e64 s14, 0x7f, v163
	s_cbranch_vccz .LBB2_2907
; %bb.2898:                             ;   in Loop: Header=BB2_2491 Depth=3
	s_mov_b32 s15, 0
                                        ; implicit-def: $sgpr34
	s_delay_alu instid0(VALU_DEP_1) | instskip(NEXT) | instid1(SALU_CYCLE_1)
	s_and_saveexec_b32 vcc_lo, s14
	s_xor_b32 s14, exec_lo, vcc_lo
	s_cbranch_execnz .LBB2_3182
; %bb.2899:                             ;   in Loop: Header=BB2_2491 Depth=3
	s_or_saveexec_b32 s14, s14
	v_mov_b32_e32 v164, s34
	s_xor_b32 exec_lo, exec_lo, s14
	s_cbranch_execnz .LBB2_3185
.LBB2_2900:                             ;   in Loop: Header=BB2_2491 Depth=3
	s_or_b32 exec_lo, exec_lo, s14
	s_and_saveexec_b32 s14, s15
	s_cbranch_execz .LBB2_2902
.LBB2_2901:                             ;   in Loop: Header=BB2_2491 Depth=3
	v_bfe_u32 v164, v15, 16, 3
	v_bfe_u32 v167, v15, 19, 4
	v_lshlrev_b32_e32 v176, 24, v162
	s_delay_alu instid0(VALU_DEP_3) | instskip(NEXT) | instid1(VALU_DEP_3)
	v_clz_i32_u32_e32 v165, v164
	v_cmp_eq_u32_e32 vcc_lo, 0, v167
	s_delay_alu instid0(VALU_DEP_2) | instskip(NEXT) | instid1(VALU_DEP_1)
	v_min_u32_e32 v165, 32, v165
	v_subrev_nc_u32_e32 v166, 28, v165
	v_sub_nc_u32_e32 v165, 29, v165
	s_delay_alu instid0(VALU_DEP_1) | instskip(NEXT) | instid1(VALU_DEP_1)
	v_dual_cndmask_b32 v165, v167, v165 :: v_dual_lshlrev_b32 v166, v166, v162
	v_and_b32_e32 v166, 7, v166
	s_delay_alu instid0(VALU_DEP_2) | instskip(NEXT) | instid1(VALU_DEP_2)
	v_lshl_add_u32 v165, v165, 23, 0x3b800000
	v_cndmask_b32_e32 v164, v164, v166, vcc_lo
	v_and_b32_e32 v166, 0x80000000, v176
	s_delay_alu instid0(VALU_DEP_2) | instskip(NEXT) | instid1(VALU_DEP_1)
	v_lshlrev_b32_e32 v164, 20, v164
	v_or3_b32 v164, v166, v165, v164
.LBB2_2902:                             ;   in Loop: Header=BB2_2491 Depth=3
	s_or_b32 exec_lo, exec_lo, s14
	v_and_b32_e32 v166, 0xff, v161
	s_mov_b32 s14, 0
	s_mov_b32 s34, exec_lo
                                        ; implicit-def: $sgpr15
	s_delay_alu instid0(VALU_DEP_1)
	v_cmpx_lt_i16_e64 0x7f, v166
	s_xor_b32 s34, exec_lo, s34
	s_cbranch_execnz .LBB2_3186
; %bb.2903:                             ;   in Loop: Header=BB2_2491 Depth=3
	s_or_saveexec_b32 s34, s34
	v_mov_b32_e32 v165, s15
	s_xor_b32 exec_lo, exec_lo, s34
	s_cbranch_execnz .LBB2_3189
.LBB2_2904:                             ;   in Loop: Header=BB2_2491 Depth=3
	s_or_b32 exec_lo, exec_lo, s34
	s_and_saveexec_b32 s15, s14
	s_cbranch_execz .LBB2_2906
.LBB2_2905:                             ;   in Loop: Header=BB2_2491 Depth=3
	v_bfe_u32 v165, v11, 16, 3
	v_bfe_u32 v176, v11, 19, 4
	v_lshlrev_b32_e32 v177, 24, v161
	s_delay_alu instid0(VALU_DEP_3) | instskip(NEXT) | instid1(VALU_DEP_3)
	v_clz_i32_u32_e32 v166, v165
	v_cmp_eq_u32_e32 vcc_lo, 0, v176
	s_delay_alu instid0(VALU_DEP_2) | instskip(NEXT) | instid1(VALU_DEP_1)
	v_min_u32_e32 v166, 32, v166
	v_subrev_nc_u32_e32 v167, 28, v166
	v_sub_nc_u32_e32 v166, 29, v166
	s_delay_alu instid0(VALU_DEP_1) | instskip(NEXT) | instid1(VALU_DEP_1)
	v_dual_cndmask_b32 v166, v176, v166 :: v_dual_lshlrev_b32 v167, v167, v161
	v_and_b32_e32 v167, 7, v167
	s_delay_alu instid0(VALU_DEP_2) | instskip(NEXT) | instid1(VALU_DEP_2)
	v_lshl_add_u32 v166, v166, 23, 0x3b800000
	v_cndmask_b32_e32 v165, v165, v167, vcc_lo
	v_and_b32_e32 v167, 0x80000000, v177
	s_delay_alu instid0(VALU_DEP_2) | instskip(NEXT) | instid1(VALU_DEP_1)
	v_lshlrev_b32_e32 v165, 20, v165
	v_or3_b32 v165, v167, v166, v165
.LBB2_2906:                             ;   in Loop: Header=BB2_2491 Depth=3
	s_or_b32 exec_lo, exec_lo, s15
	s_delay_alu instid0(VALU_DEP_1) | instskip(SKIP_1) | instid1(VALU_DEP_1)
	v_dual_max_f32 v165, v165, v165 :: v_dual_max_f32 v164, v164, v164
	s_mov_b32 s14, 0
	v_max_f32_e32 v164, v164, v165
	s_branch .LBB2_2908
.LBB2_2907:                             ;   in Loop: Header=BB2_2491 Depth=3
	s_mov_b32 s14, -1
                                        ; implicit-def: $vgpr164
.LBB2_2908:                             ;   in Loop: Header=BB2_2491 Depth=3
	s_delay_alu instid0(SALU_CYCLE_1)
	s_and_b32 vcc_lo, exec_lo, s14
	s_cbranch_vccz .LBB2_2918
; %bb.2909:                             ;   in Loop: Header=BB2_2491 Depth=3
	s_mov_b32 s14, 0
	s_mov_b32 s34, exec_lo
                                        ; implicit-def: $sgpr15
	v_cmpx_lt_i16_e64 0x7f, v163
	s_xor_b32 s34, exec_lo, s34
	s_cbranch_execnz .LBB2_3190
; %bb.2910:                             ;   in Loop: Header=BB2_2491 Depth=3
	s_or_saveexec_b32 s34, s34
	v_mov_b32_e32 v164, s15
	s_xor_b32 exec_lo, exec_lo, s34
	s_cbranch_execnz .LBB2_3193
.LBB2_2911:                             ;   in Loop: Header=BB2_2491 Depth=3
	s_or_b32 exec_lo, exec_lo, s34
	s_and_saveexec_b32 s15, s14
	s_cbranch_execz .LBB2_2913
.LBB2_2912:                             ;   in Loop: Header=BB2_2491 Depth=3
	v_bfe_u32 v163, v15, 16, 3
	v_bfe_u32 v166, v15, 19, 4
	s_delay_alu instid0(VALU_DEP_2) | instskip(NEXT) | instid1(VALU_DEP_2)
	v_clz_i32_u32_e32 v164, v163
	v_cmp_eq_u32_e32 vcc_lo, 0, v166
	s_delay_alu instid0(VALU_DEP_2) | instskip(NEXT) | instid1(VALU_DEP_1)
	v_min_u32_e32 v164, 32, v164
	v_subrev_nc_u32_e32 v165, 28, v164
	v_sub_nc_u32_e32 v164, 29, v164
	s_delay_alu instid0(VALU_DEP_1) | instskip(NEXT) | instid1(VALU_DEP_1)
	v_dual_cndmask_b32 v164, v166, v164 :: v_dual_lshlrev_b32 v165, v165, v162
	v_and_b32_e32 v165, 7, v165
	v_lshlrev_b32_e32 v162, 24, v162
	s_delay_alu instid0(VALU_DEP_3) | instskip(NEXT) | instid1(VALU_DEP_2)
	v_lshl_add_u32 v164, v164, 23, 0x3b800000
	v_dual_cndmask_b32 v163, v163, v165 :: v_dual_and_b32 v162, 0x80000000, v162
	s_delay_alu instid0(VALU_DEP_1) | instskip(NEXT) | instid1(VALU_DEP_1)
	v_lshlrev_b32_e32 v163, 20, v163
	v_or3_b32 v164, v162, v164, v163
.LBB2_2913:                             ;   in Loop: Header=BB2_2491 Depth=3
	s_or_b32 exec_lo, exec_lo, s15
	v_and_b32_e32 v163, 0xff, v161
	s_mov_b32 s14, 0
	s_mov_b32 s34, exec_lo
                                        ; implicit-def: $sgpr15
	s_delay_alu instid0(VALU_DEP_1)
	v_cmpx_lt_i16_e64 0x7f, v163
	s_xor_b32 s34, exec_lo, s34
	s_cbranch_execnz .LBB2_3194
; %bb.2914:                             ;   in Loop: Header=BB2_2491 Depth=3
	s_or_saveexec_b32 s34, s34
	v_mov_b32_e32 v162, s15
	s_xor_b32 exec_lo, exec_lo, s34
	s_cbranch_execnz .LBB2_3197
.LBB2_2915:                             ;   in Loop: Header=BB2_2491 Depth=3
	s_or_b32 exec_lo, exec_lo, s34
	s_and_saveexec_b32 s15, s14
	s_cbranch_execz .LBB2_2917
.LBB2_2916:                             ;   in Loop: Header=BB2_2491 Depth=3
	v_bfe_u32 v162, v11, 16, 3
	v_bfe_u32 v166, v11, 19, 4
	s_delay_alu instid0(VALU_DEP_2) | instskip(NEXT) | instid1(VALU_DEP_2)
	v_clz_i32_u32_e32 v163, v162
	v_cmp_eq_u32_e32 vcc_lo, 0, v166
	s_delay_alu instid0(VALU_DEP_2) | instskip(NEXT) | instid1(VALU_DEP_1)
	v_min_u32_e32 v163, 32, v163
	v_subrev_nc_u32_e32 v165, 28, v163
	v_sub_nc_u32_e32 v163, 29, v163
	s_delay_alu instid0(VALU_DEP_2) | instskip(SKIP_1) | instid1(VALU_DEP_2)
	v_lshlrev_b32_e32 v165, v165, v161
	v_lshlrev_b32_e32 v161, 24, v161
	v_and_b32_e32 v165, 7, v165
	s_delay_alu instid0(VALU_DEP_2) | instskip(NEXT) | instid1(VALU_DEP_2)
	v_and_b32_e32 v161, 0x80000000, v161
	v_cndmask_b32_e32 v162, v162, v165, vcc_lo
	s_delay_alu instid0(VALU_DEP_1) | instskip(NEXT) | instid1(VALU_DEP_1)
	v_dual_cndmask_b32 v163, v166, v163 :: v_dual_lshlrev_b32 v162, 20, v162
	v_lshl_add_u32 v163, v163, 23, 0x3b800000
	s_delay_alu instid0(VALU_DEP_1)
	v_or3_b32 v162, v161, v163, v162
.LBB2_2917:                             ;   in Loop: Header=BB2_2491 Depth=3
	s_or_b32 exec_lo, exec_lo, s15
	s_delay_alu instid0(VALU_DEP_1) | instskip(NEXT) | instid1(VALU_DEP_1)
	v_dual_max_f32 v161, v162, v162 :: v_dual_max_f32 v162, v164, v164
	v_min_f32_e32 v164, v162, v161
.LBB2_2918:                             ;   in Loop: Header=BB2_2491 Depth=3
	s_delay_alu instid0(VALU_DEP_1) | instskip(NEXT) | instid1(VALU_DEP_1)
	v_and_b32_e32 v161, 0x7f800000, v164
	v_cmp_ne_u32_e32 vcc_lo, 0x7f800000, v161
	v_mov_b32_e32 v161, 0x80
	s_and_saveexec_b32 s15, vcc_lo
	s_cbranch_execz .LBB2_2926
; %bb.2919:                             ;   in Loop: Header=BB2_2491 Depth=3
	v_mov_b32_e32 v161, 0
	s_mov_b32 s34, exec_lo
	v_cmpx_ne_u32_e32 0, v164
	s_cbranch_execz .LBB2_2925
; %bb.2920:                             ;   in Loop: Header=BB2_2491 Depth=3
	v_bfe_u32 v161, v164, 23, 8
	s_delay_alu instid0(VALU_DEP_1) | instskip(SKIP_1) | instid1(VALU_DEP_2)
	v_sub_nc_u32_e32 v163, 0x78, v161
	v_cmp_gt_u32_e32 vcc_lo, 0x79, v161
	v_dual_cndmask_b32 v163, 0, v163 :: v_dual_and_b32 v162, 0x7fffff, v164
	s_delay_alu instid0(VALU_DEP_1) | instskip(SKIP_2) | instid1(VALU_DEP_4)
	v_or_b32_e32 v165, 0x800000, v162
	v_cmp_eq_u32_e32 vcc_lo, 0, v161
	v_add_nc_u32_e32 v161, 0xffffff89, v161
	v_cndmask_b32_e64 v163, v163, 0x77, vcc_lo
	s_delay_alu instid0(VALU_DEP_4) | instskip(NEXT) | instid1(VALU_DEP_3)
	v_cndmask_b32_e32 v162, v165, v162, vcc_lo
	v_cndmask_b32_e64 v161, v161, 0xffffff8a, vcc_lo
	s_delay_alu instid0(VALU_DEP_3) | instskip(NEXT) | instid1(VALU_DEP_3)
	v_lshl_add_u32 v165, 0x100000, v163, -1
	v_lshrrev_b32_e32 v166, v163, v162
	v_lshlrev_b32_e64 v176, v163, 0x80000
	s_delay_alu instid0(VALU_DEP_4) | instskip(NEXT) | instid1(VALU_DEP_4)
	v_add_nc_u32_e32 v163, v163, v161
	v_and_b32_e32 v162, v165, v162
	s_delay_alu instid0(VALU_DEP_4) | instskip(NEXT) | instid1(VALU_DEP_2)
	v_bfe_u32 v167, v166, 20, 1
	v_cmp_eq_u32_e64 s14, v162, v176
	s_delay_alu instid0(VALU_DEP_2) | instskip(NEXT) | instid1(VALU_DEP_1)
	v_add_nc_u32_e32 v165, -1, v167
	v_cndmask_b32_e64 v162, 0, v165, s14
	v_lshrrev_b32_e32 v165, 23, v166
	s_mov_b32 s14, exec_lo
	s_delay_alu instid0(VALU_DEP_2) | instskip(NEXT) | instid1(VALU_DEP_2)
	v_add_nc_u32_e32 v162, v162, v166
	v_xor_b32_e32 v165, 1, v165
	s_delay_alu instid0(VALU_DEP_2) | instskip(NEXT) | instid1(VALU_DEP_1)
	v_and_b32_e32 v161, 0xfffff, v162
	v_add_nc_u32_e32 v162, v161, v166
                                        ; implicit-def: $vgpr161
	s_delay_alu instid0(VALU_DEP_3)
	v_cmpx_ne_u32_e64 v163, v165
	s_xor_b32 s14, exec_lo, s14
; %bb.2921:                             ;   in Loop: Header=BB2_2491 Depth=3
	s_delay_alu instid0(VALU_DEP_2) | instskip(SKIP_2) | instid1(VALU_DEP_2)
	v_cmp_lt_u32_e32 vcc_lo, 0xffffff, v162
	v_sub_nc_u32_e32 v161, v163, v165
	v_cndmask_b32_e64 v163, 0, 1, vcc_lo
	v_add_co_ci_u32_e32 v161, vcc_lo, 0, v161, vcc_lo
	s_delay_alu instid0(VALU_DEP_2)
	v_lshrrev_b32_e32 v162, v163, v162
; %bb.2922:                             ;   in Loop: Header=BB2_2491 Depth=3
	s_and_not1_saveexec_b32 s14, s14
; %bb.2923:                             ;   in Loop: Header=BB2_2491 Depth=3
	s_delay_alu instid0(VALU_DEP_1)
	v_bfe_u32 v161, v162, 23, 1
; %bb.2924:                             ;   in Loop: Header=BB2_2491 Depth=3
	s_or_b32 exec_lo, exec_lo, s14
	v_lshrrev_b32_e32 v162, 20, v162
	s_delay_alu instid0(VALU_DEP_2) | instskip(SKIP_2) | instid1(VALU_DEP_2)
	v_cmp_gt_i32_e32 vcc_lo, 16, v161
	v_min_i32_e32 v163, 15, v161
	v_lshrrev_b32_e32 v164, 24, v164
	v_dual_cndmask_b32 v162, 7, v162 :: v_dual_lshlrev_b32 v163, 3, v163
	s_delay_alu instid0(VALU_DEP_1) | instskip(SKIP_1) | instid1(VALU_DEP_3)
	v_or_b32_e32 v161, v161, v162
	v_and_b32_e32 v165, 7, v162
	v_and_b32_e32 v163, 0xf8, v163
	s_delay_alu instid0(VALU_DEP_3) | instskip(SKIP_1) | instid1(VALU_DEP_1)
	v_cmp_ne_u32_e32 vcc_lo, 0, v161
	v_and_b32_e32 v164, 0x80, v164
	v_or3_b32 v162, v163, v164, v165
	s_delay_alu instid0(VALU_DEP_1)
	v_cndmask_b32_e32 v161, 0, v162, vcc_lo
.LBB2_2925:                             ;   in Loop: Header=BB2_2491 Depth=3
	s_or_b32 exec_lo, exec_lo, s34
.LBB2_2926:                             ;   in Loop: Header=BB2_2491 Depth=3
	s_delay_alu instid0(SALU_CYCLE_1) | instskip(SKIP_3) | instid1(VALU_DEP_2)
	s_or_b32 exec_lo, exec_lo, s15
	v_lshrrev_b32_e32 v163, 24, v15
	v_lshrrev_b32_e32 v162, 24, v11
	s_and_b32 vcc_lo, exec_lo, s31
	v_cmp_lt_i16_e64 s14, 0x7f, v163
	s_cbranch_vccz .LBB2_2936
; %bb.2927:                             ;   in Loop: Header=BB2_2491 Depth=3
	s_mov_b32 s15, 0
                                        ; implicit-def: $sgpr34
	s_delay_alu instid0(VALU_DEP_1) | instskip(NEXT) | instid1(SALU_CYCLE_1)
	s_and_saveexec_b32 vcc_lo, s14
	s_xor_b32 s14, exec_lo, vcc_lo
	s_cbranch_execnz .LBB2_3198
; %bb.2928:                             ;   in Loop: Header=BB2_2491 Depth=3
	s_or_saveexec_b32 s14, s14
	v_mov_b32_e32 v164, s34
	s_xor_b32 exec_lo, exec_lo, s14
	s_cbranch_execnz .LBB2_3201
.LBB2_2929:                             ;   in Loop: Header=BB2_2491 Depth=3
	s_or_b32 exec_lo, exec_lo, s14
	s_and_saveexec_b32 s14, s15
	s_cbranch_execz .LBB2_2931
.LBB2_2930:                             ;   in Loop: Header=BB2_2491 Depth=3
	v_bfe_u32 v164, v15, 24, 3
	v_bfe_u32 v167, v15, 27, 4
	s_delay_alu instid0(VALU_DEP_2) | instskip(NEXT) | instid1(VALU_DEP_2)
	v_clz_i32_u32_e32 v165, v164
	v_cmp_eq_u32_e32 vcc_lo, 0, v167
	s_delay_alu instid0(VALU_DEP_2) | instskip(NEXT) | instid1(VALU_DEP_1)
	v_min_u32_e32 v165, 32, v165
	v_subrev_nc_u32_e32 v166, 28, v165
	v_sub_nc_u32_e32 v165, 29, v165
	s_delay_alu instid0(VALU_DEP_1) | instskip(NEXT) | instid1(VALU_DEP_1)
	v_dual_cndmask_b32 v165, v167, v165 :: v_dual_lshlrev_b32 v166, v166, v163
	v_and_b32_e32 v166, 7, v166
	s_delay_alu instid0(VALU_DEP_2) | instskip(NEXT) | instid1(VALU_DEP_2)
	v_lshl_add_u32 v165, v165, 23, 0x3b800000
	v_cndmask_b32_e32 v164, v164, v166, vcc_lo
	v_and_b32_e32 v166, 0x80000000, v15
	s_delay_alu instid0(VALU_DEP_2) | instskip(NEXT) | instid1(VALU_DEP_1)
	v_lshlrev_b32_e32 v164, 20, v164
	v_or3_b32 v164, v166, v165, v164
.LBB2_2931:                             ;   in Loop: Header=BB2_2491 Depth=3
	s_or_b32 exec_lo, exec_lo, s14
	s_mov_b32 s14, 0
	s_mov_b32 s34, exec_lo
                                        ; implicit-def: $sgpr15
	v_cmpx_lt_i16_e64 0x7f, v162
	s_xor_b32 s34, exec_lo, s34
	s_cbranch_execnz .LBB2_3202
; %bb.2932:                             ;   in Loop: Header=BB2_2491 Depth=3
	s_or_saveexec_b32 s34, s34
	v_mov_b32_e32 v165, s15
	s_xor_b32 exec_lo, exec_lo, s34
	s_cbranch_execnz .LBB2_3205
.LBB2_2933:                             ;   in Loop: Header=BB2_2491 Depth=3
	s_or_b32 exec_lo, exec_lo, s34
	s_and_saveexec_b32 s15, s14
	s_cbranch_execz .LBB2_2935
.LBB2_2934:                             ;   in Loop: Header=BB2_2491 Depth=3
	v_bfe_u32 v165, v11, 24, 3
	v_bfe_u32 v176, v11, 27, 4
	s_delay_alu instid0(VALU_DEP_2) | instskip(NEXT) | instid1(VALU_DEP_2)
	v_clz_i32_u32_e32 v166, v165
	v_cmp_eq_u32_e32 vcc_lo, 0, v176
	s_delay_alu instid0(VALU_DEP_2) | instskip(NEXT) | instid1(VALU_DEP_1)
	v_min_u32_e32 v166, 32, v166
	v_subrev_nc_u32_e32 v167, 28, v166
	v_sub_nc_u32_e32 v166, 29, v166
	s_delay_alu instid0(VALU_DEP_2) | instskip(NEXT) | instid1(VALU_DEP_1)
	v_lshlrev_b32_e32 v167, v167, v162
	v_dual_cndmask_b32 v166, v176, v166 :: v_dual_and_b32 v167, 7, v167
	s_delay_alu instid0(VALU_DEP_1) | instskip(NEXT) | instid1(VALU_DEP_2)
	v_lshl_add_u32 v166, v166, 23, 0x3b800000
	v_cndmask_b32_e32 v165, v165, v167, vcc_lo
	v_and_b32_e32 v167, 0x80000000, v11
	s_delay_alu instid0(VALU_DEP_2) | instskip(NEXT) | instid1(VALU_DEP_1)
	v_lshlrev_b32_e32 v165, 20, v165
	v_or3_b32 v165, v167, v166, v165
.LBB2_2935:                             ;   in Loop: Header=BB2_2491 Depth=3
	s_or_b32 exec_lo, exec_lo, s15
	s_delay_alu instid0(VALU_DEP_1) | instskip(SKIP_1) | instid1(VALU_DEP_1)
	v_dual_max_f32 v165, v165, v165 :: v_dual_max_f32 v164, v164, v164
	s_mov_b32 s14, 0
	v_max_f32_e32 v164, v164, v165
	s_branch .LBB2_2937
.LBB2_2936:                             ;   in Loop: Header=BB2_2491 Depth=3
	s_mov_b32 s14, -1
                                        ; implicit-def: $vgpr164
.LBB2_2937:                             ;   in Loop: Header=BB2_2491 Depth=3
	s_delay_alu instid0(SALU_CYCLE_1)
	s_and_b32 vcc_lo, exec_lo, s14
	s_cbranch_vccz .LBB2_2947
; %bb.2938:                             ;   in Loop: Header=BB2_2491 Depth=3
	s_mov_b32 s14, 0
	s_mov_b32 s34, exec_lo
                                        ; implicit-def: $sgpr15
	v_cmpx_lt_i16_e64 0x7f, v163
	s_xor_b32 s34, exec_lo, s34
	s_cbranch_execnz .LBB2_3206
; %bb.2939:                             ;   in Loop: Header=BB2_2491 Depth=3
	s_or_saveexec_b32 s34, s34
	v_mov_b32_e32 v164, s15
	s_xor_b32 exec_lo, exec_lo, s34
	s_cbranch_execnz .LBB2_3209
.LBB2_2940:                             ;   in Loop: Header=BB2_2491 Depth=3
	s_or_b32 exec_lo, exec_lo, s34
	s_and_saveexec_b32 s15, s14
	s_cbranch_execz .LBB2_2942
.LBB2_2941:                             ;   in Loop: Header=BB2_2491 Depth=3
	v_bfe_u32 v164, v15, 24, 3
	s_delay_alu instid0(VALU_DEP_1) | instskip(NEXT) | instid1(VALU_DEP_1)
	v_clz_i32_u32_e32 v165, v164
	v_min_u32_e32 v165, 32, v165
	s_delay_alu instid0(VALU_DEP_1) | instskip(SKIP_1) | instid1(VALU_DEP_2)
	v_subrev_nc_u32_e32 v166, 28, v165
	v_sub_nc_u32_e32 v165, 29, v165
	v_lshlrev_b32_e32 v163, v166, v163
	v_bfe_u32 v166, v15, 27, 4
	v_and_b32_e32 v15, 0x80000000, v15
	s_delay_alu instid0(VALU_DEP_3) | instskip(NEXT) | instid1(VALU_DEP_3)
	v_and_b32_e32 v163, 7, v163
	v_cmp_eq_u32_e32 vcc_lo, 0, v166
	v_cndmask_b32_e32 v165, v166, v165, vcc_lo
	s_delay_alu instid0(VALU_DEP_3) | instskip(NEXT) | instid1(VALU_DEP_2)
	v_cndmask_b32_e32 v163, v164, v163, vcc_lo
	v_lshl_add_u32 v164, v165, 23, 0x3b800000
	s_delay_alu instid0(VALU_DEP_2) | instskip(NEXT) | instid1(VALU_DEP_1)
	v_lshlrev_b32_e32 v163, 20, v163
	v_or3_b32 v164, v15, v164, v163
.LBB2_2942:                             ;   in Loop: Header=BB2_2491 Depth=3
	s_or_b32 exec_lo, exec_lo, s15
	s_mov_b32 s14, 0
	s_mov_b32 s34, exec_lo
                                        ; implicit-def: $sgpr15
	v_cmpx_lt_i16_e64 0x7f, v162
	s_xor_b32 s34, exec_lo, s34
	s_cbranch_execnz .LBB2_3210
; %bb.2943:                             ;   in Loop: Header=BB2_2491 Depth=3
	s_or_saveexec_b32 s34, s34
	v_mov_b32_e32 v15, s15
	s_xor_b32 exec_lo, exec_lo, s34
	s_cbranch_execnz .LBB2_3213
.LBB2_2944:                             ;   in Loop: Header=BB2_2491 Depth=3
	s_or_b32 exec_lo, exec_lo, s34
	s_and_saveexec_b32 s15, s14
	s_cbranch_execz .LBB2_2946
.LBB2_2945:                             ;   in Loop: Header=BB2_2491 Depth=3
	v_bfe_u32 v15, v11, 24, 3
	s_delay_alu instid0(VALU_DEP_1) | instskip(NEXT) | instid1(VALU_DEP_1)
	v_clz_i32_u32_e32 v163, v15
	v_min_u32_e32 v163, 32, v163
	s_delay_alu instid0(VALU_DEP_1) | instskip(SKIP_1) | instid1(VALU_DEP_2)
	v_subrev_nc_u32_e32 v165, 28, v163
	v_sub_nc_u32_e32 v163, 29, v163
	v_lshlrev_b32_e32 v162, v165, v162
	v_bfe_u32 v165, v11, 27, 4
	v_and_b32_e32 v11, 0x80000000, v11
	s_delay_alu instid0(VALU_DEP_2) | instskip(NEXT) | instid1(VALU_DEP_4)
	v_cmp_eq_u32_e32 vcc_lo, 0, v165
	v_dual_cndmask_b32 v163, v165, v163 :: v_dual_and_b32 v162, 7, v162
	s_delay_alu instid0(VALU_DEP_1) | instskip(NEXT) | instid1(VALU_DEP_2)
	v_cndmask_b32_e32 v15, v15, v162, vcc_lo
	v_lshl_add_u32 v162, v163, 23, 0x3b800000
	s_delay_alu instid0(VALU_DEP_2) | instskip(NEXT) | instid1(VALU_DEP_1)
	v_lshlrev_b32_e32 v15, 20, v15
	v_or3_b32 v15, v11, v162, v15
.LBB2_2946:                             ;   in Loop: Header=BB2_2491 Depth=3
	s_or_b32 exec_lo, exec_lo, s15
	s_delay_alu instid0(VALU_DEP_1) | instskip(SKIP_1) | instid1(VALU_DEP_1)
	v_max_f32_e32 v11, v15, v15
	v_max_f32_e32 v15, v164, v164
	v_min_f32_e32 v164, v15, v11
.LBB2_2947:                             ;   in Loop: Header=BB2_2491 Depth=3
	s_delay_alu instid0(VALU_DEP_1) | instskip(NEXT) | instid1(VALU_DEP_1)
	v_and_b32_e32 v11, 0x7f800000, v164
	v_cmp_ne_u32_e32 vcc_lo, 0x7f800000, v11
	v_mov_b32_e32 v11, 0x8000
	s_and_saveexec_b32 s15, vcc_lo
	s_cbranch_execz .LBB2_2955
; %bb.2948:                             ;   in Loop: Header=BB2_2491 Depth=3
	v_mov_b32_e32 v11, 0
	s_mov_b32 s34, exec_lo
	v_cmpx_ne_u32_e32 0, v164
	s_cbranch_execz .LBB2_2954
; %bb.2949:                             ;   in Loop: Header=BB2_2491 Depth=3
	v_bfe_u32 v11, v164, 23, 8
	s_delay_alu instid0(VALU_DEP_1) | instskip(SKIP_1) | instid1(VALU_DEP_2)
	v_sub_nc_u32_e32 v162, 0x78, v11
	v_cmp_gt_u32_e32 vcc_lo, 0x79, v11
	v_dual_cndmask_b32 v162, 0, v162 :: v_dual_and_b32 v15, 0x7fffff, v164
	s_delay_alu instid0(VALU_DEP_1) | instskip(SKIP_2) | instid1(VALU_DEP_4)
	v_or_b32_e32 v163, 0x800000, v15
	v_cmp_eq_u32_e32 vcc_lo, 0, v11
	v_add_nc_u32_e32 v11, 0xffffff89, v11
	v_cndmask_b32_e64 v162, v162, 0x77, vcc_lo
	s_delay_alu instid0(VALU_DEP_4) | instskip(NEXT) | instid1(VALU_DEP_3)
	v_cndmask_b32_e32 v15, v163, v15, vcc_lo
	v_cndmask_b32_e64 v11, v11, 0xffffff8a, vcc_lo
	s_delay_alu instid0(VALU_DEP_3) | instskip(NEXT) | instid1(VALU_DEP_3)
	v_lshl_add_u32 v163, 0x100000, v162, -1
	v_lshrrev_b32_e32 v165, v162, v15
	v_lshlrev_b32_e64 v167, v162, 0x80000
	s_delay_alu instid0(VALU_DEP_4) | instskip(NEXT) | instid1(VALU_DEP_4)
	v_add_nc_u32_e32 v162, v162, v11
	v_and_b32_e32 v15, v163, v15
	s_delay_alu instid0(VALU_DEP_4) | instskip(NEXT) | instid1(VALU_DEP_2)
	v_bfe_u32 v166, v165, 20, 1
	v_cmp_eq_u32_e64 s14, v15, v167
	s_delay_alu instid0(VALU_DEP_2) | instskip(NEXT) | instid1(VALU_DEP_1)
	v_add_nc_u32_e32 v163, -1, v166
	v_cndmask_b32_e64 v15, 0, v163, s14
	v_lshrrev_b32_e32 v163, 23, v165
	s_mov_b32 s14, exec_lo
	s_delay_alu instid0(VALU_DEP_2) | instskip(NEXT) | instid1(VALU_DEP_2)
	v_add_nc_u32_e32 v15, v15, v165
	v_xor_b32_e32 v163, 1, v163
	s_delay_alu instid0(VALU_DEP_2) | instskip(NEXT) | instid1(VALU_DEP_1)
	v_and_b32_e32 v11, 0xfffff, v15
	v_add_nc_u32_e32 v15, v11, v165
                                        ; implicit-def: $vgpr11
	s_delay_alu instid0(VALU_DEP_3)
	v_cmpx_ne_u32_e64 v162, v163
	s_xor_b32 s14, exec_lo, s14
; %bb.2950:                             ;   in Loop: Header=BB2_2491 Depth=3
	s_delay_alu instid0(VALU_DEP_2) | instskip(SKIP_2) | instid1(VALU_DEP_2)
	v_cmp_lt_u32_e32 vcc_lo, 0xffffff, v15
	v_sub_nc_u32_e32 v11, v162, v163
	v_cndmask_b32_e64 v162, 0, 1, vcc_lo
	v_add_co_ci_u32_e32 v11, vcc_lo, 0, v11, vcc_lo
	s_delay_alu instid0(VALU_DEP_2)
	v_lshrrev_b32_e32 v15, v162, v15
; %bb.2951:                             ;   in Loop: Header=BB2_2491 Depth=3
	s_and_not1_saveexec_b32 s14, s14
; %bb.2952:                             ;   in Loop: Header=BB2_2491 Depth=3
	s_delay_alu instid0(VALU_DEP_1)
	v_bfe_u32 v11, v15, 23, 1
; %bb.2953:                             ;   in Loop: Header=BB2_2491 Depth=3
	s_or_b32 exec_lo, exec_lo, s14
	v_lshrrev_b32_e32 v15, 20, v15
	s_delay_alu instid0(VALU_DEP_2) | instskip(SKIP_2) | instid1(VALU_DEP_2)
	v_cmp_gt_i32_e32 vcc_lo, 16, v11
	v_min_i32_e32 v162, 15, v11
	v_lshrrev_b32_e32 v163, 24, v164
	v_dual_cndmask_b32 v15, 7, v15 :: v_dual_lshlrev_b32 v162, 3, v162
	s_delay_alu instid0(VALU_DEP_2) | instskip(NEXT) | instid1(VALU_DEP_2)
	v_and_b32_e32 v163, 0x80, v163
	v_or_b32_e32 v11, v11, v15
	v_and_b32_e32 v164, 7, v15
	s_delay_alu instid0(VALU_DEP_2) | instskip(SKIP_1) | instid1(VALU_DEP_1)
	v_cmp_ne_u32_e32 vcc_lo, 0, v11
	v_and_b32_e32 v162, 0xf8, v162
	v_or3_b32 v162, v163, v162, v164
	s_delay_alu instid0(VALU_DEP_1) | instskip(NEXT) | instid1(VALU_DEP_1)
	v_lshlrev_b32_e32 v15, 8, v162
	v_cndmask_b32_e32 v11, 0, v15, vcc_lo
.LBB2_2954:                             ;   in Loop: Header=BB2_2491 Depth=3
	s_or_b32 exec_lo, exec_lo, s34
.LBB2_2955:                             ;   in Loop: Header=BB2_2491 Depth=3
	s_delay_alu instid0(SALU_CYCLE_1)
	s_or_b32 exec_lo, exec_lo, s15
	v_lshlrev_b32_e32 v15, 8, v148
	v_and_b32_e32 v147, 0xff, v147
	v_or_b32_e32 v9, v9, v149
	v_lshlrev_b32_e32 v146, 8, v146
	v_lshlrev_b32_e32 v148, 8, v150
	v_perm_b32 v12, v15, v12, 0xc0c0500
	v_lshlrev_b32_e32 v15, 16, v147
	v_and_b32_e32 v147, 0xff, v151
	v_lshlrev_b32_e32 v149, 8, v160
	v_lshlrev_b32_e32 v8, 24, v8
	v_perm_b32 v145, v146, v145, 0xc0c0500
	v_lshlrev_b32_e32 v10, 24, v10
	v_lshlrev_b32_e32 v146, 16, v147
	v_perm_b32 v13, v148, v13, 0xc0c0500
	v_perm_b32 v14, v149, v14, 0xc0c0500
	v_or_b32_e32 v11, v11, v161
	v_lshl_or_b32 v9, v9, 16, v12
	v_or3_b32 v8, v8, v15, v145
	v_or3_b32 v10, v10, v146, v13
	s_mov_b64 s[14:15], 0
	v_lshl_or_b32 v11, v11, 16, v14
	s_mov_b32 s34, -1
.LBB2_2956:                             ;   Parent Loop BB2_51 Depth=1
                                        ;     Parent Loop BB2_2404 Depth=2
                                        ;       Parent Loop BB2_2491 Depth=3
                                        ; =>      This Inner Loop Header: Depth=4
	s_cmp_eq_u32 s14, 0
	v_cndmask_b32_e64 v14, 0, 1, s34
	s_cselect_b32 vcc_lo, -1, 0
	s_cmp_eq_u32 s14, 1
	s_mov_b32 s34, 0
	s_cselect_b32 s14, -1, 0
	s_delay_alu instid0(SALU_CYCLE_1) | instskip(SKIP_1) | instid1(VALU_DEP_2)
	v_cndmask_b32_e64 v12, v64, v66, s14
	v_cndmask_b32_e64 v13, v65, v67, s14
	v_add_co_u32 v15, s15, 0x200, v12
	s_delay_alu instid0(VALU_DEP_1) | instskip(SKIP_1) | instid1(VALU_DEP_3)
	v_add_co_ci_u32_e64 v145, s15, 0, v13, s15
	v_cmp_ne_u32_e64 s15, 1, v14
	v_cndmask_b32_e64 v66, v66, v15, s14
	v_cndmask_b32_e32 v64, v64, v15, vcc_lo
	s_delay_alu instid0(VALU_DEP_4)
	v_cndmask_b32_e64 v67, v67, v145, s14
	v_cndmask_b32_e32 v65, v65, v145, vcc_lo
	s_and_b32 vcc_lo, exec_lo, s15
	s_mov_b64 s[14:15], 1
	global_store_b128 v[12:13], v[8:11], off glc slc dlc
	s_cbranch_vccz .LBB2_2956
; %bb.2957:                             ;   in Loop: Header=BB2_2491 Depth=3
	v_add_co_u32 v68, vcc_lo, v68, v100
	v_add_co_ci_u32_e32 v69, vcc_lo, v69, v101, vcc_lo
	v_add_co_u32 v70, vcc_lo, v70, v100
	v_sub_nc_u32_e32 v134, v134, v86
	v_add_co_ci_u32_e32 v71, vcc_lo, v71, v101, vcc_lo
	v_add_co_u32 v64, vcc_lo, v64, v87
	v_add_co_ci_u32_e32 v65, vcc_lo, v65, v98, vcc_lo
	s_delay_alu instid0(VALU_DEP_4) | instskip(SKIP_1) | instid1(VALU_DEP_1)
	v_cmp_gt_i32_e32 vcc_lo, 16, v134
	v_add_co_u32 v66, s14, v66, v87
	v_add_co_ci_u32_e64 v67, s14, v67, v98, s14
	v_sub_nc_u32_e32 v144, v144, v83
	s_or_b32 s17, vcc_lo, s17
	s_delay_alu instid0(SALU_CYCLE_1)
	s_and_not1_b32 exec_lo, exec_lo, s17
	s_cbranch_execnz .LBB2_2491
	s_branch .LBB2_3215
.LBB2_2958:                             ;   in Loop: Header=BB2_2491 Depth=3
	s_mov_b32 s15, -1
	s_mov_b32 s35, exec_lo
                                        ; implicit-def: $sgpr34
	v_cmpx_eq_u16_e64 0x80, v145
; %bb.2959:                             ;   in Loop: Header=BB2_2491 Depth=3
	s_mov_b32 s34, 0x7f800001
	s_xor_b32 s15, exec_lo, -1
; %bb.2960:                             ;   in Loop: Header=BB2_2491 Depth=3
	s_or_b32 exec_lo, exec_lo, s35
	s_delay_alu instid0(SALU_CYCLE_1)
	s_and_b32 s15, s15, exec_lo
	s_or_saveexec_b32 s14, s14
	v_mov_b32_e32 v146, s34
	s_xor_b32 exec_lo, exec_lo, s14
	s_cbranch_execz .LBB2_2494
.LBB2_2961:                             ;   in Loop: Header=BB2_2491 Depth=3
	v_cmp_ne_u16_e64 vcc_lo, 0, v145
	v_mov_b32_e32 v146, 0
	s_and_not1_b32 s15, s15, exec_lo
	s_delay_alu instid0(VALU_DEP_2) | instskip(NEXT) | instid1(SALU_CYCLE_1)
	s_and_b32 vcc_lo, vcc_lo, exec_lo
	s_or_b32 s15, s15, vcc_lo
	s_or_b32 exec_lo, exec_lo, s14
	s_and_saveexec_b32 s14, s15
	s_cbranch_execnz .LBB2_2495
	s_branch .LBB2_2496
.LBB2_2962:                             ;   in Loop: Header=BB2_2491 Depth=3
	s_mov_b32 s14, -1
	s_mov_b32 s35, exec_lo
                                        ; implicit-def: $sgpr15
	v_cmpx_eq_u16_e64 0x80, v148
; %bb.2963:                             ;   in Loop: Header=BB2_2491 Depth=3
	s_mov_b32 s15, 0x7f800001
	s_xor_b32 s14, exec_lo, -1
; %bb.2964:                             ;   in Loop: Header=BB2_2491 Depth=3
	s_or_b32 exec_lo, exec_lo, s35
	s_delay_alu instid0(SALU_CYCLE_1)
	s_and_b32 s14, s14, exec_lo
                                        ; implicit-def: $vgpr148
	s_or_saveexec_b32 s34, s34
	v_mov_b32_e32 v147, s15
	s_xor_b32 exec_lo, exec_lo, s34
	s_cbranch_execz .LBB2_2498
.LBB2_2965:                             ;   in Loop: Header=BB2_2491 Depth=3
	v_cmp_ne_u16_e64 vcc_lo, 0, v148
	v_mov_b32_e32 v147, 0
	s_and_not1_b32 s14, s14, exec_lo
	s_delay_alu instid0(VALU_DEP_2) | instskip(NEXT) | instid1(SALU_CYCLE_1)
	s_and_b32 s15, vcc_lo, exec_lo
	s_or_b32 s14, s14, s15
	s_or_b32 exec_lo, exec_lo, s34
	s_and_saveexec_b32 s15, s14
	s_cbranch_execnz .LBB2_2499
	s_branch .LBB2_2500
.LBB2_2966:                             ;   in Loop: Header=BB2_2491 Depth=3
	s_mov_b32 s14, -1
	s_mov_b32 s35, exec_lo
                                        ; implicit-def: $sgpr15
	v_cmpx_eq_u16_e64 0x80, v145
; %bb.2967:                             ;   in Loop: Header=BB2_2491 Depth=3
	s_mov_b32 s15, 0x7f800001
	s_xor_b32 s14, exec_lo, -1
; %bb.2968:                             ;   in Loop: Header=BB2_2491 Depth=3
	s_or_b32 exec_lo, exec_lo, s35
	s_delay_alu instid0(SALU_CYCLE_1)
	s_and_b32 s14, s14, exec_lo
                                        ; implicit-def: $vgpr145
	s_or_saveexec_b32 s34, s34
	v_mov_b32_e32 v146, s15
	s_xor_b32 exec_lo, exec_lo, s34
	s_cbranch_execz .LBB2_2505
.LBB2_2969:                             ;   in Loop: Header=BB2_2491 Depth=3
	v_cmp_ne_u16_e64 vcc_lo, 0, v145
	v_mov_b32_e32 v146, 0
	s_and_not1_b32 s14, s14, exec_lo
	s_delay_alu instid0(VALU_DEP_2) | instskip(NEXT) | instid1(SALU_CYCLE_1)
	s_and_b32 s15, vcc_lo, exec_lo
	s_or_b32 s14, s14, s15
	s_or_b32 exec_lo, exec_lo, s34
	s_and_saveexec_b32 s15, s14
	s_cbranch_execnz .LBB2_2506
	s_branch .LBB2_2507
.LBB2_2970:                             ;   in Loop: Header=BB2_2491 Depth=3
	s_mov_b32 s14, -1
	s_mov_b32 s35, exec_lo
                                        ; implicit-def: $sgpr15
	v_cmpx_eq_u16_e64 0x80, v147
; %bb.2971:                             ;   in Loop: Header=BB2_2491 Depth=3
	s_mov_b32 s15, 0x7f800001
	s_xor_b32 s14, exec_lo, -1
; %bb.2972:                             ;   in Loop: Header=BB2_2491 Depth=3
	s_or_b32 exec_lo, exec_lo, s35
	s_delay_alu instid0(SALU_CYCLE_1)
	s_and_b32 s14, s14, exec_lo
                                        ; implicit-def: $vgpr147
	s_or_saveexec_b32 s34, s34
	v_mov_b32_e32 v145, s15
	s_xor_b32 exec_lo, exec_lo, s34
	s_cbranch_execz .LBB2_2509
.LBB2_2973:                             ;   in Loop: Header=BB2_2491 Depth=3
	v_cmp_ne_u16_e64 vcc_lo, 0, v147
	v_mov_b32_e32 v145, 0
	s_and_not1_b32 s14, s14, exec_lo
	s_delay_alu instid0(VALU_DEP_2) | instskip(NEXT) | instid1(SALU_CYCLE_1)
	s_and_b32 s15, vcc_lo, exec_lo
	s_or_b32 s14, s14, s15
	s_or_b32 exec_lo, exec_lo, s34
	s_and_saveexec_b32 s15, s14
	s_cbranch_execnz .LBB2_2510
	s_branch .LBB2_2511
.LBB2_2974:                             ;   in Loop: Header=BB2_2491 Depth=3
	s_mov_b32 s15, -1
	s_mov_b32 s35, exec_lo
                                        ; implicit-def: $sgpr34
	v_cmpx_eq_u16_e64 0x80, v147
; %bb.2975:                             ;   in Loop: Header=BB2_2491 Depth=3
	s_mov_b32 s34, 0x7f800001
	s_xor_b32 s15, exec_lo, -1
; %bb.2976:                             ;   in Loop: Header=BB2_2491 Depth=3
	s_or_b32 exec_lo, exec_lo, s35
	s_delay_alu instid0(SALU_CYCLE_1)
	s_and_b32 s15, s15, exec_lo
	s_or_saveexec_b32 s14, s14
	v_mov_b32_e32 v148, s34
	s_xor_b32 exec_lo, exec_lo, s14
	s_cbranch_execz .LBB2_2523
.LBB2_2977:                             ;   in Loop: Header=BB2_2491 Depth=3
	v_cmp_ne_u16_e64 vcc_lo, 0, v147
	v_mov_b32_e32 v148, 0
	s_and_not1_b32 s15, s15, exec_lo
	s_delay_alu instid0(VALU_DEP_2) | instskip(NEXT) | instid1(SALU_CYCLE_1)
	s_and_b32 vcc_lo, vcc_lo, exec_lo
	s_or_b32 s15, s15, vcc_lo
	s_or_b32 exec_lo, exec_lo, s14
	s_and_saveexec_b32 s14, s15
	s_cbranch_execnz .LBB2_2524
	s_branch .LBB2_2525
.LBB2_2978:                             ;   in Loop: Header=BB2_2491 Depth=3
	s_mov_b32 s14, -1
	s_mov_b32 s35, exec_lo
                                        ; implicit-def: $sgpr15
	v_cmpx_eq_u16_e64 0x80, v146
; %bb.2979:                             ;   in Loop: Header=BB2_2491 Depth=3
	s_mov_b32 s15, 0x7f800001
	s_xor_b32 s14, exec_lo, -1
; %bb.2980:                             ;   in Loop: Header=BB2_2491 Depth=3
	s_or_b32 exec_lo, exec_lo, s35
	s_delay_alu instid0(SALU_CYCLE_1)
	s_and_b32 s14, s14, exec_lo
	s_or_saveexec_b32 s34, s34
	v_mov_b32_e32 v149, s15
	s_xor_b32 exec_lo, exec_lo, s34
	s_cbranch_execz .LBB2_2527
.LBB2_2981:                             ;   in Loop: Header=BB2_2491 Depth=3
	v_cmp_ne_u16_e64 vcc_lo, 0, v146
	v_mov_b32_e32 v149, 0
	s_and_not1_b32 s14, s14, exec_lo
	s_delay_alu instid0(VALU_DEP_2) | instskip(NEXT) | instid1(SALU_CYCLE_1)
	s_and_b32 s15, vcc_lo, exec_lo
	s_or_b32 s14, s14, s15
	s_or_b32 exec_lo, exec_lo, s34
	s_and_saveexec_b32 s15, s14
	s_cbranch_execnz .LBB2_2528
	s_branch .LBB2_2529
.LBB2_2982:                             ;   in Loop: Header=BB2_2491 Depth=3
	s_mov_b32 s14, -1
	s_mov_b32 s35, exec_lo
                                        ; implicit-def: $sgpr15
	v_cmpx_eq_u16_e64 0x80, v147
; %bb.2983:                             ;   in Loop: Header=BB2_2491 Depth=3
	s_mov_b32 s15, 0x7f800001
	s_xor_b32 s14, exec_lo, -1
; %bb.2984:                             ;   in Loop: Header=BB2_2491 Depth=3
	s_or_b32 exec_lo, exec_lo, s35
	s_delay_alu instid0(SALU_CYCLE_1)
	s_and_b32 s14, s14, exec_lo
	s_or_saveexec_b32 s34, s34
	v_mov_b32_e32 v148, s15
	s_xor_b32 exec_lo, exec_lo, s34
	s_cbranch_execz .LBB2_2534
.LBB2_2985:                             ;   in Loop: Header=BB2_2491 Depth=3
	v_cmp_ne_u16_e64 vcc_lo, 0, v147
	v_mov_b32_e32 v148, 0
	s_and_not1_b32 s14, s14, exec_lo
	s_delay_alu instid0(VALU_DEP_2) | instskip(NEXT) | instid1(SALU_CYCLE_1)
	s_and_b32 s15, vcc_lo, exec_lo
	s_or_b32 s14, s14, s15
	s_or_b32 exec_lo, exec_lo, s34
	s_and_saveexec_b32 s15, s14
	s_cbranch_execnz .LBB2_2535
	s_branch .LBB2_2536
.LBB2_2986:                             ;   in Loop: Header=BB2_2491 Depth=3
	s_mov_b32 s14, -1
	s_mov_b32 s35, exec_lo
                                        ; implicit-def: $sgpr15
	v_cmpx_eq_u16_e64 0x80, v146
; %bb.2987:                             ;   in Loop: Header=BB2_2491 Depth=3
	s_mov_b32 s15, 0x7f800001
	s_xor_b32 s14, exec_lo, -1
; %bb.2988:                             ;   in Loop: Header=BB2_2491 Depth=3
	s_or_b32 exec_lo, exec_lo, s35
	s_delay_alu instid0(SALU_CYCLE_1)
	s_and_b32 s14, s14, exec_lo
	s_or_saveexec_b32 s34, s34
	v_mov_b32_e32 v147, s15
	s_xor_b32 exec_lo, exec_lo, s34
	s_cbranch_execz .LBB2_2538
.LBB2_2989:                             ;   in Loop: Header=BB2_2491 Depth=3
	v_cmp_ne_u16_e64 vcc_lo, 0, v146
	v_mov_b32_e32 v147, 0
	s_and_not1_b32 s14, s14, exec_lo
	s_delay_alu instid0(VALU_DEP_2) | instskip(NEXT) | instid1(SALU_CYCLE_1)
	s_and_b32 s15, vcc_lo, exec_lo
	s_or_b32 s14, s14, s15
	s_or_b32 exec_lo, exec_lo, s34
	s_and_saveexec_b32 s15, s14
	s_cbranch_execnz .LBB2_2539
	s_branch .LBB2_2540
.LBB2_2990:                             ;   in Loop: Header=BB2_2491 Depth=3
	s_mov_b32 s15, -1
	s_mov_b32 s35, exec_lo
                                        ; implicit-def: $sgpr34
	v_cmpx_eq_u16_e64 0x80, v149
; %bb.2991:                             ;   in Loop: Header=BB2_2491 Depth=3
	s_mov_b32 s34, 0x7f800001
	s_xor_b32 s15, exec_lo, -1
; %bb.2992:                             ;   in Loop: Header=BB2_2491 Depth=3
	s_or_b32 exec_lo, exec_lo, s35
	s_delay_alu instid0(SALU_CYCLE_1)
	s_and_b32 s15, s15, exec_lo
	s_or_saveexec_b32 s14, s14
	v_mov_b32_e32 v150, s34
	s_xor_b32 exec_lo, exec_lo, s14
	s_cbranch_execz .LBB2_2552
.LBB2_2993:                             ;   in Loop: Header=BB2_2491 Depth=3
	v_cmp_ne_u16_e64 vcc_lo, 0, v149
	v_mov_b32_e32 v150, 0
	s_and_not1_b32 s15, s15, exec_lo
	s_delay_alu instid0(VALU_DEP_2) | instskip(NEXT) | instid1(SALU_CYCLE_1)
	s_and_b32 vcc_lo, vcc_lo, exec_lo
	s_or_b32 s15, s15, vcc_lo
	s_or_b32 exec_lo, exec_lo, s14
	s_and_saveexec_b32 s14, s15
	s_cbranch_execnz .LBB2_2553
	s_branch .LBB2_2554
.LBB2_2994:                             ;   in Loop: Header=BB2_2491 Depth=3
	s_mov_b32 s14, -1
	s_mov_b32 s35, exec_lo
                                        ; implicit-def: $sgpr15
	v_cmpx_eq_u16_e64 0x80, v160
; %bb.2995:                             ;   in Loop: Header=BB2_2491 Depth=3
	s_mov_b32 s15, 0x7f800001
	s_xor_b32 s14, exec_lo, -1
; %bb.2996:                             ;   in Loop: Header=BB2_2491 Depth=3
	s_or_b32 exec_lo, exec_lo, s35
	s_delay_alu instid0(SALU_CYCLE_1)
	s_and_b32 s14, s14, exec_lo
                                        ; implicit-def: $vgpr160
	s_or_saveexec_b32 s34, s34
	v_mov_b32_e32 v151, s15
	s_xor_b32 exec_lo, exec_lo, s34
	s_cbranch_execz .LBB2_2556
.LBB2_2997:                             ;   in Loop: Header=BB2_2491 Depth=3
	v_cmp_ne_u16_e64 vcc_lo, 0, v160
	v_mov_b32_e32 v151, 0
	s_and_not1_b32 s14, s14, exec_lo
	s_delay_alu instid0(VALU_DEP_2) | instskip(NEXT) | instid1(SALU_CYCLE_1)
	s_and_b32 s15, vcc_lo, exec_lo
	s_or_b32 s14, s14, s15
	s_or_b32 exec_lo, exec_lo, s34
	s_and_saveexec_b32 s15, s14
	s_cbranch_execnz .LBB2_2557
	s_branch .LBB2_2558
.LBB2_2998:                             ;   in Loop: Header=BB2_2491 Depth=3
	s_mov_b32 s14, -1
	s_mov_b32 s35, exec_lo
                                        ; implicit-def: $sgpr15
	v_cmpx_eq_u16_e64 0x80, v149
; %bb.2999:                             ;   in Loop: Header=BB2_2491 Depth=3
	s_mov_b32 s15, 0x7f800001
	s_xor_b32 s14, exec_lo, -1
; %bb.3000:                             ;   in Loop: Header=BB2_2491 Depth=3
	s_or_b32 exec_lo, exec_lo, s35
	s_delay_alu instid0(SALU_CYCLE_1)
	s_and_b32 s14, s14, exec_lo
                                        ; implicit-def: $vgpr149
	s_or_saveexec_b32 s34, s34
	v_mov_b32_e32 v150, s15
	s_xor_b32 exec_lo, exec_lo, s34
	s_cbranch_execz .LBB2_2563
.LBB2_3001:                             ;   in Loop: Header=BB2_2491 Depth=3
	v_cmp_ne_u16_e64 vcc_lo, 0, v149
	v_mov_b32_e32 v150, 0
	s_and_not1_b32 s14, s14, exec_lo
	s_delay_alu instid0(VALU_DEP_2) | instskip(NEXT) | instid1(SALU_CYCLE_1)
	s_and_b32 s15, vcc_lo, exec_lo
	s_or_b32 s14, s14, s15
	s_or_b32 exec_lo, exec_lo, s34
	s_and_saveexec_b32 s15, s14
	s_cbranch_execnz .LBB2_2564
	s_branch .LBB2_2565
.LBB2_3002:                             ;   in Loop: Header=BB2_2491 Depth=3
	s_mov_b32 s14, -1
	s_mov_b32 s35, exec_lo
                                        ; implicit-def: $sgpr15
	v_cmpx_eq_u16_e64 0x80, v149
; %bb.3003:                             ;   in Loop: Header=BB2_2491 Depth=3
	s_mov_b32 s15, 0x7f800001
	s_xor_b32 s14, exec_lo, -1
; %bb.3004:                             ;   in Loop: Header=BB2_2491 Depth=3
	s_or_b32 exec_lo, exec_lo, s35
	s_delay_alu instid0(SALU_CYCLE_1)
	s_and_b32 s14, s14, exec_lo
                                        ; implicit-def: $vgpr149
	s_or_saveexec_b32 s34, s34
	v_mov_b32_e32 v148, s15
	s_xor_b32 exec_lo, exec_lo, s34
	s_cbranch_execz .LBB2_2567
.LBB2_3005:                             ;   in Loop: Header=BB2_2491 Depth=3
	v_cmp_ne_u16_e64 vcc_lo, 0, v149
	v_mov_b32_e32 v148, 0
	s_and_not1_b32 s14, s14, exec_lo
	s_delay_alu instid0(VALU_DEP_2) | instskip(NEXT) | instid1(SALU_CYCLE_1)
	s_and_b32 s15, vcc_lo, exec_lo
	s_or_b32 s14, s14, s15
	s_or_b32 exec_lo, exec_lo, s34
	s_and_saveexec_b32 s15, s14
	s_cbranch_execnz .LBB2_2568
	s_branch .LBB2_2569
.LBB2_3006:                             ;   in Loop: Header=BB2_2491 Depth=3
	s_mov_b32 s15, -1
	s_mov_b32 s35, exec_lo
                                        ; implicit-def: $sgpr34
	v_cmpx_eq_u16_e64 0x80, v149
; %bb.3007:                             ;   in Loop: Header=BB2_2491 Depth=3
	s_mov_b32 s34, 0x7f800001
	s_xor_b32 s15, exec_lo, -1
; %bb.3008:                             ;   in Loop: Header=BB2_2491 Depth=3
	s_or_b32 exec_lo, exec_lo, s35
	s_delay_alu instid0(SALU_CYCLE_1)
	s_and_b32 s15, s15, exec_lo
	s_or_saveexec_b32 s14, s14
	v_mov_b32_e32 v150, s34
	s_xor_b32 exec_lo, exec_lo, s14
	s_cbranch_execz .LBB2_2581
.LBB2_3009:                             ;   in Loop: Header=BB2_2491 Depth=3
	v_cmp_ne_u16_e64 vcc_lo, 0, v149
	v_mov_b32_e32 v150, 0
	s_and_not1_b32 s15, s15, exec_lo
	s_delay_alu instid0(VALU_DEP_2) | instskip(NEXT) | instid1(SALU_CYCLE_1)
	s_and_b32 vcc_lo, vcc_lo, exec_lo
	s_or_b32 s15, s15, vcc_lo
	s_or_b32 exec_lo, exec_lo, s14
	s_and_saveexec_b32 s14, s15
	s_cbranch_execnz .LBB2_2582
	s_branch .LBB2_2583
.LBB2_3010:                             ;   in Loop: Header=BB2_2491 Depth=3
	s_mov_b32 s14, -1
	s_mov_b32 s35, exec_lo
                                        ; implicit-def: $sgpr15
	v_cmpx_eq_u16_e64 0x80, v148
; %bb.3011:                             ;   in Loop: Header=BB2_2491 Depth=3
	s_mov_b32 s15, 0x7f800001
	s_xor_b32 s14, exec_lo, -1
; %bb.3012:                             ;   in Loop: Header=BB2_2491 Depth=3
	s_or_b32 exec_lo, exec_lo, s35
	s_delay_alu instid0(SALU_CYCLE_1)
	s_and_b32 s14, s14, exec_lo
	s_or_saveexec_b32 s34, s34
	v_mov_b32_e32 v151, s15
	s_xor_b32 exec_lo, exec_lo, s34
	s_cbranch_execz .LBB2_2585
.LBB2_3013:                             ;   in Loop: Header=BB2_2491 Depth=3
	v_cmp_ne_u16_e64 vcc_lo, 0, v148
	v_mov_b32_e32 v151, 0
	s_and_not1_b32 s14, s14, exec_lo
	s_delay_alu instid0(VALU_DEP_2) | instskip(NEXT) | instid1(SALU_CYCLE_1)
	s_and_b32 s15, vcc_lo, exec_lo
	s_or_b32 s14, s14, s15
	s_or_b32 exec_lo, exec_lo, s34
	s_and_saveexec_b32 s15, s14
	s_cbranch_execnz .LBB2_2586
	s_branch .LBB2_2587
.LBB2_3014:                             ;   in Loop: Header=BB2_2491 Depth=3
	s_mov_b32 s14, -1
	s_mov_b32 s35, exec_lo
                                        ; implicit-def: $sgpr15
	v_cmpx_eq_u16_e64 0x80, v149
; %bb.3015:                             ;   in Loop: Header=BB2_2491 Depth=3
	s_mov_b32 s15, 0x7f800001
	s_xor_b32 s14, exec_lo, -1
; %bb.3016:                             ;   in Loop: Header=BB2_2491 Depth=3
	s_or_b32 exec_lo, exec_lo, s35
	s_delay_alu instid0(SALU_CYCLE_1)
	s_and_b32 s14, s14, exec_lo
	s_or_saveexec_b32 s34, s34
	v_mov_b32_e32 v150, s15
	s_xor_b32 exec_lo, exec_lo, s34
	s_cbranch_execz .LBB2_2592
.LBB2_3017:                             ;   in Loop: Header=BB2_2491 Depth=3
	v_cmp_ne_u16_e64 vcc_lo, 0, v149
	v_mov_b32_e32 v150, 0
	s_and_not1_b32 s14, s14, exec_lo
	s_delay_alu instid0(VALU_DEP_2) | instskip(NEXT) | instid1(SALU_CYCLE_1)
	s_and_b32 s15, vcc_lo, exec_lo
	s_or_b32 s14, s14, s15
	s_or_b32 exec_lo, exec_lo, s34
	s_and_saveexec_b32 s15, s14
	s_cbranch_execnz .LBB2_2593
	s_branch .LBB2_2594
.LBB2_3018:                             ;   in Loop: Header=BB2_2491 Depth=3
	s_mov_b32 s14, -1
	s_mov_b32 s35, exec_lo
                                        ; implicit-def: $sgpr15
	v_cmpx_eq_u16_e64 0x80, v148
; %bb.3019:                             ;   in Loop: Header=BB2_2491 Depth=3
	s_mov_b32 s15, 0x7f800001
	s_xor_b32 s14, exec_lo, -1
; %bb.3020:                             ;   in Loop: Header=BB2_2491 Depth=3
	s_or_b32 exec_lo, exec_lo, s35
	s_delay_alu instid0(SALU_CYCLE_1)
	s_and_b32 s14, s14, exec_lo
	s_or_saveexec_b32 s34, s34
	v_mov_b32_e32 v12, s15
	s_xor_b32 exec_lo, exec_lo, s34
	s_cbranch_execz .LBB2_2596
.LBB2_3021:                             ;   in Loop: Header=BB2_2491 Depth=3
	v_cmp_ne_u16_e64 vcc_lo, 0, v148
	v_mov_b32_e32 v12, 0
	s_and_not1_b32 s14, s14, exec_lo
	s_delay_alu instid0(VALU_DEP_2) | instskip(NEXT) | instid1(SALU_CYCLE_1)
	s_and_b32 s15, vcc_lo, exec_lo
	s_or_b32 s14, s14, s15
	s_or_b32 exec_lo, exec_lo, s34
	s_and_saveexec_b32 s15, s14
	s_cbranch_execnz .LBB2_2597
	s_branch .LBB2_2598
.LBB2_3022:                             ;   in Loop: Header=BB2_2491 Depth=3
	s_mov_b32 s15, -1
	s_mov_b32 s35, exec_lo
                                        ; implicit-def: $sgpr34
	v_cmpx_eq_u16_e32 0x80, v12
; %bb.3023:                             ;   in Loop: Header=BB2_2491 Depth=3
	s_mov_b32 s34, 0x7f800001
	s_xor_b32 s15, exec_lo, -1
; %bb.3024:                             ;   in Loop: Header=BB2_2491 Depth=3
	s_or_b32 exec_lo, exec_lo, s35
	s_delay_alu instid0(SALU_CYCLE_1)
	s_and_b32 s15, s15, exec_lo
	s_or_saveexec_b32 s14, s14
	v_mov_b32_e32 v148, s34
	s_xor_b32 exec_lo, exec_lo, s14
	s_cbranch_execz .LBB2_2610
.LBB2_3025:                             ;   in Loop: Header=BB2_2491 Depth=3
	v_cmp_ne_u16_e32 vcc_lo, 0, v12
	v_mov_b32_e32 v148, 0
	s_and_not1_b32 s15, s15, exec_lo
	s_and_b32 vcc_lo, vcc_lo, exec_lo
	s_delay_alu instid0(SALU_CYCLE_1)
	s_or_b32 s15, s15, vcc_lo
	s_or_b32 exec_lo, exec_lo, s14
	s_and_saveexec_b32 s14, s15
	s_cbranch_execnz .LBB2_2611
	s_branch .LBB2_2612
.LBB2_3026:                             ;   in Loop: Header=BB2_2491 Depth=3
	s_mov_b32 s14, -1
	s_mov_b32 s35, exec_lo
                                        ; implicit-def: $sgpr15
	v_cmpx_eq_u16_e64 0x80, v150
; %bb.3027:                             ;   in Loop: Header=BB2_2491 Depth=3
	s_mov_b32 s15, 0x7f800001
	s_xor_b32 s14, exec_lo, -1
; %bb.3028:                             ;   in Loop: Header=BB2_2491 Depth=3
	s_or_b32 exec_lo, exec_lo, s35
	s_delay_alu instid0(SALU_CYCLE_1)
	s_and_b32 s14, s14, exec_lo
                                        ; implicit-def: $vgpr150
	s_or_saveexec_b32 s34, s34
	v_mov_b32_e32 v149, s15
	s_xor_b32 exec_lo, exec_lo, s34
	s_cbranch_execz .LBB2_2614
.LBB2_3029:                             ;   in Loop: Header=BB2_2491 Depth=3
	v_cmp_ne_u16_e64 vcc_lo, 0, v150
	v_mov_b32_e32 v149, 0
	s_and_not1_b32 s14, s14, exec_lo
	s_delay_alu instid0(VALU_DEP_2) | instskip(NEXT) | instid1(SALU_CYCLE_1)
	s_and_b32 s15, vcc_lo, exec_lo
	s_or_b32 s14, s14, s15
	s_or_b32 exec_lo, exec_lo, s34
	s_and_saveexec_b32 s15, s14
	s_cbranch_execnz .LBB2_2615
	s_branch .LBB2_2616
.LBB2_3030:                             ;   in Loop: Header=BB2_2491 Depth=3
	s_mov_b32 s14, -1
	s_mov_b32 s35, exec_lo
                                        ; implicit-def: $sgpr15
	v_cmpx_eq_u16_e32 0x80, v12
; %bb.3031:                             ;   in Loop: Header=BB2_2491 Depth=3
	s_mov_b32 s15, 0x7f800001
	s_xor_b32 s14, exec_lo, -1
; %bb.3032:                             ;   in Loop: Header=BB2_2491 Depth=3
	s_or_b32 exec_lo, exec_lo, s35
	s_delay_alu instid0(SALU_CYCLE_1)
	s_and_b32 s14, s14, exec_lo
                                        ; implicit-def: $vgpr12
	s_or_saveexec_b32 s34, s34
	v_mov_b32_e32 v148, s15
	s_xor_b32 exec_lo, exec_lo, s34
	s_cbranch_execz .LBB2_2621
.LBB2_3033:                             ;   in Loop: Header=BB2_2491 Depth=3
	v_cmp_ne_u16_e32 vcc_lo, 0, v12
	v_mov_b32_e32 v148, 0
	s_and_not1_b32 s14, s14, exec_lo
	s_and_b32 s15, vcc_lo, exec_lo
	s_delay_alu instid0(SALU_CYCLE_1)
	s_or_b32 s14, s14, s15
	s_or_b32 exec_lo, exec_lo, s34
	s_and_saveexec_b32 s15, s14
	s_cbranch_execnz .LBB2_2622
	s_branch .LBB2_2623
.LBB2_3034:                             ;   in Loop: Header=BB2_2491 Depth=3
	s_mov_b32 s14, -1
	s_mov_b32 s35, exec_lo
                                        ; implicit-def: $sgpr15
	v_cmpx_eq_u16_e64 0x80, v149
; %bb.3035:                             ;   in Loop: Header=BB2_2491 Depth=3
	s_mov_b32 s15, 0x7f800001
	s_xor_b32 s14, exec_lo, -1
; %bb.3036:                             ;   in Loop: Header=BB2_2491 Depth=3
	s_or_b32 exec_lo, exec_lo, s35
	s_delay_alu instid0(SALU_CYCLE_1)
	s_and_b32 s14, s14, exec_lo
                                        ; implicit-def: $vgpr149
	s_or_saveexec_b32 s34, s34
	v_mov_b32_e32 v12, s15
	s_xor_b32 exec_lo, exec_lo, s34
	s_cbranch_execz .LBB2_2625
.LBB2_3037:                             ;   in Loop: Header=BB2_2491 Depth=3
	v_cmp_ne_u16_e64 vcc_lo, 0, v149
	v_mov_b32_e32 v12, 0
	s_and_not1_b32 s14, s14, exec_lo
	s_delay_alu instid0(VALU_DEP_2) | instskip(NEXT) | instid1(SALU_CYCLE_1)
	s_and_b32 s15, vcc_lo, exec_lo
	s_or_b32 s14, s14, s15
	s_or_b32 exec_lo, exec_lo, s34
	s_and_saveexec_b32 s15, s14
	s_cbranch_execnz .LBB2_2626
	s_branch .LBB2_2627
.LBB2_3038:                             ;   in Loop: Header=BB2_2491 Depth=3
	s_mov_b32 s15, -1
	s_mov_b32 s35, exec_lo
                                        ; implicit-def: $sgpr34
	v_cmpx_eq_u16_e64 0x80, v149
; %bb.3039:                             ;   in Loop: Header=BB2_2491 Depth=3
	s_mov_b32 s34, 0x7f800001
	s_xor_b32 s15, exec_lo, -1
; %bb.3040:                             ;   in Loop: Header=BB2_2491 Depth=3
	s_or_b32 exec_lo, exec_lo, s35
	s_delay_alu instid0(SALU_CYCLE_1)
	s_and_b32 s15, s15, exec_lo
	s_or_saveexec_b32 s14, s14
	v_mov_b32_e32 v150, s34
	s_xor_b32 exec_lo, exec_lo, s14
	s_cbranch_execz .LBB2_2639
.LBB2_3041:                             ;   in Loop: Header=BB2_2491 Depth=3
	v_cmp_ne_u16_e64 vcc_lo, 0, v149
	v_mov_b32_e32 v150, 0
	s_and_not1_b32 s15, s15, exec_lo
	s_delay_alu instid0(VALU_DEP_2) | instskip(NEXT) | instid1(SALU_CYCLE_1)
	s_and_b32 vcc_lo, vcc_lo, exec_lo
	s_or_b32 s15, s15, vcc_lo
	s_or_b32 exec_lo, exec_lo, s14
	s_and_saveexec_b32 s14, s15
	s_cbranch_execnz .LBB2_2640
	s_branch .LBB2_2641
.LBB2_3042:                             ;   in Loop: Header=BB2_2491 Depth=3
	s_mov_b32 s14, -1
	s_mov_b32 s35, exec_lo
                                        ; implicit-def: $sgpr15
	v_cmpx_eq_u16_e64 0x80, v148
; %bb.3043:                             ;   in Loop: Header=BB2_2491 Depth=3
	s_mov_b32 s15, 0x7f800001
	s_xor_b32 s14, exec_lo, -1
; %bb.3044:                             ;   in Loop: Header=BB2_2491 Depth=3
	s_or_b32 exec_lo, exec_lo, s35
	s_delay_alu instid0(SALU_CYCLE_1)
	s_and_b32 s14, s14, exec_lo
	s_or_saveexec_b32 s34, s34
	v_mov_b32_e32 v151, s15
	s_xor_b32 exec_lo, exec_lo, s34
	s_cbranch_execz .LBB2_2643
.LBB2_3045:                             ;   in Loop: Header=BB2_2491 Depth=3
	v_cmp_ne_u16_e64 vcc_lo, 0, v148
	v_mov_b32_e32 v151, 0
	s_and_not1_b32 s14, s14, exec_lo
	s_delay_alu instid0(VALU_DEP_2) | instskip(NEXT) | instid1(SALU_CYCLE_1)
	s_and_b32 s15, vcc_lo, exec_lo
	s_or_b32 s14, s14, s15
	s_or_b32 exec_lo, exec_lo, s34
	s_and_saveexec_b32 s15, s14
	s_cbranch_execnz .LBB2_2644
	s_branch .LBB2_2645
.LBB2_3046:                             ;   in Loop: Header=BB2_2491 Depth=3
	s_mov_b32 s14, -1
	s_mov_b32 s35, exec_lo
                                        ; implicit-def: $sgpr15
	v_cmpx_eq_u16_e64 0x80, v149
; %bb.3047:                             ;   in Loop: Header=BB2_2491 Depth=3
	s_mov_b32 s15, 0x7f800001
	s_xor_b32 s14, exec_lo, -1
; %bb.3048:                             ;   in Loop: Header=BB2_2491 Depth=3
	s_or_b32 exec_lo, exec_lo, s35
	s_delay_alu instid0(SALU_CYCLE_1)
	s_and_b32 s14, s14, exec_lo
	s_or_saveexec_b32 s34, s34
	v_mov_b32_e32 v150, s15
	s_xor_b32 exec_lo, exec_lo, s34
	s_cbranch_execz .LBB2_2650
.LBB2_3049:                             ;   in Loop: Header=BB2_2491 Depth=3
	v_cmp_ne_u16_e64 vcc_lo, 0, v149
	v_mov_b32_e32 v150, 0
	s_and_not1_b32 s14, s14, exec_lo
	s_delay_alu instid0(VALU_DEP_2) | instskip(NEXT) | instid1(SALU_CYCLE_1)
	s_and_b32 s15, vcc_lo, exec_lo
	s_or_b32 s14, s14, s15
	s_or_b32 exec_lo, exec_lo, s34
	s_and_saveexec_b32 s15, s14
	s_cbranch_execnz .LBB2_2651
	s_branch .LBB2_2652
.LBB2_3050:                             ;   in Loop: Header=BB2_2491 Depth=3
	s_mov_b32 s14, -1
	s_mov_b32 s35, exec_lo
                                        ; implicit-def: $sgpr15
	v_cmpx_eq_u16_e64 0x80, v148
; %bb.3051:                             ;   in Loop: Header=BB2_2491 Depth=3
	s_mov_b32 s15, 0x7f800001
	s_xor_b32 s14, exec_lo, -1
; %bb.3052:                             ;   in Loop: Header=BB2_2491 Depth=3
	s_or_b32 exec_lo, exec_lo, s35
	s_delay_alu instid0(SALU_CYCLE_1)
	s_and_b32 s14, s14, exec_lo
	s_or_saveexec_b32 s34, s34
	v_mov_b32_e32 v149, s15
	s_xor_b32 exec_lo, exec_lo, s34
	s_cbranch_execz .LBB2_2654
.LBB2_3053:                             ;   in Loop: Header=BB2_2491 Depth=3
	v_cmp_ne_u16_e64 vcc_lo, 0, v148
	v_mov_b32_e32 v149, 0
	s_and_not1_b32 s14, s14, exec_lo
	s_delay_alu instid0(VALU_DEP_2) | instskip(NEXT) | instid1(SALU_CYCLE_1)
	s_and_b32 s15, vcc_lo, exec_lo
	s_or_b32 s14, s14, s15
	s_or_b32 exec_lo, exec_lo, s34
	s_and_saveexec_b32 s15, s14
	s_cbranch_execnz .LBB2_2655
	s_branch .LBB2_2656
.LBB2_3054:                             ;   in Loop: Header=BB2_2491 Depth=3
	s_mov_b32 s15, -1
	s_mov_b32 s35, exec_lo
                                        ; implicit-def: $sgpr34
	v_cmpx_eq_u16_e64 0x80, v151
; %bb.3055:                             ;   in Loop: Header=BB2_2491 Depth=3
	s_mov_b32 s34, 0x7f800001
	s_xor_b32 s15, exec_lo, -1
; %bb.3056:                             ;   in Loop: Header=BB2_2491 Depth=3
	s_or_b32 exec_lo, exec_lo, s35
	s_delay_alu instid0(SALU_CYCLE_1)
	s_and_b32 s15, s15, exec_lo
	s_or_saveexec_b32 s14, s14
	v_mov_b32_e32 v160, s34
	s_xor_b32 exec_lo, exec_lo, s14
	s_cbranch_execz .LBB2_2668
.LBB2_3057:                             ;   in Loop: Header=BB2_2491 Depth=3
	v_cmp_ne_u16_e64 vcc_lo, 0, v151
	v_mov_b32_e32 v160, 0
	s_and_not1_b32 s15, s15, exec_lo
	s_delay_alu instid0(VALU_DEP_2) | instskip(NEXT) | instid1(SALU_CYCLE_1)
	s_and_b32 vcc_lo, vcc_lo, exec_lo
	s_or_b32 s15, s15, vcc_lo
	s_or_b32 exec_lo, exec_lo, s14
	s_and_saveexec_b32 s14, s15
	s_cbranch_execnz .LBB2_2669
	s_branch .LBB2_2670
.LBB2_3058:                             ;   in Loop: Header=BB2_2491 Depth=3
	s_mov_b32 s14, -1
	s_mov_b32 s35, exec_lo
                                        ; implicit-def: $sgpr15
	v_cmpx_eq_u16_e64 0x80, v162
; %bb.3059:                             ;   in Loop: Header=BB2_2491 Depth=3
	s_mov_b32 s15, 0x7f800001
	s_xor_b32 s14, exec_lo, -1
; %bb.3060:                             ;   in Loop: Header=BB2_2491 Depth=3
	s_or_b32 exec_lo, exec_lo, s35
	s_delay_alu instid0(SALU_CYCLE_1)
	s_and_b32 s14, s14, exec_lo
                                        ; implicit-def: $vgpr162
	s_or_saveexec_b32 s34, s34
	v_mov_b32_e32 v161, s15
	s_xor_b32 exec_lo, exec_lo, s34
	s_cbranch_execz .LBB2_2672
.LBB2_3061:                             ;   in Loop: Header=BB2_2491 Depth=3
	v_cmp_ne_u16_e64 vcc_lo, 0, v162
	v_mov_b32_e32 v161, 0
	s_and_not1_b32 s14, s14, exec_lo
	s_delay_alu instid0(VALU_DEP_2) | instskip(NEXT) | instid1(SALU_CYCLE_1)
	s_and_b32 s15, vcc_lo, exec_lo
	s_or_b32 s14, s14, s15
	s_or_b32 exec_lo, exec_lo, s34
	s_and_saveexec_b32 s15, s14
	s_cbranch_execnz .LBB2_2673
	s_branch .LBB2_2674
.LBB2_3062:                             ;   in Loop: Header=BB2_2491 Depth=3
	s_mov_b32 s14, -1
	s_mov_b32 s35, exec_lo
                                        ; implicit-def: $sgpr15
	v_cmpx_eq_u16_e64 0x80, v151
; %bb.3063:                             ;   in Loop: Header=BB2_2491 Depth=3
	s_mov_b32 s15, 0x7f800001
	s_xor_b32 s14, exec_lo, -1
; %bb.3064:                             ;   in Loop: Header=BB2_2491 Depth=3
	s_or_b32 exec_lo, exec_lo, s35
	s_delay_alu instid0(SALU_CYCLE_1)
	s_and_b32 s14, s14, exec_lo
                                        ; implicit-def: $vgpr151
	s_or_saveexec_b32 s34, s34
	v_mov_b32_e32 v160, s15
	s_xor_b32 exec_lo, exec_lo, s34
	s_cbranch_execz .LBB2_2679
.LBB2_3065:                             ;   in Loop: Header=BB2_2491 Depth=3
	v_cmp_ne_u16_e64 vcc_lo, 0, v151
	v_mov_b32_e32 v160, 0
	s_and_not1_b32 s14, s14, exec_lo
	s_delay_alu instid0(VALU_DEP_2) | instskip(NEXT) | instid1(SALU_CYCLE_1)
	s_and_b32 s15, vcc_lo, exec_lo
	s_or_b32 s14, s14, s15
	s_or_b32 exec_lo, exec_lo, s34
	s_and_saveexec_b32 s15, s14
	s_cbranch_execnz .LBB2_2680
	s_branch .LBB2_2681
.LBB2_3066:                             ;   in Loop: Header=BB2_2491 Depth=3
	s_mov_b32 s14, -1
	s_mov_b32 s35, exec_lo
                                        ; implicit-def: $sgpr15
	v_cmpx_eq_u16_e64 0x80, v151
; %bb.3067:                             ;   in Loop: Header=BB2_2491 Depth=3
	s_mov_b32 s15, 0x7f800001
	s_xor_b32 s14, exec_lo, -1
; %bb.3068:                             ;   in Loop: Header=BB2_2491 Depth=3
	s_or_b32 exec_lo, exec_lo, s35
	s_delay_alu instid0(SALU_CYCLE_1)
	s_and_b32 s14, s14, exec_lo
                                        ; implicit-def: $vgpr151
	s_or_saveexec_b32 s34, s34
	v_mov_b32_e32 v150, s15
	s_xor_b32 exec_lo, exec_lo, s34
	s_cbranch_execz .LBB2_2683
.LBB2_3069:                             ;   in Loop: Header=BB2_2491 Depth=3
	v_cmp_ne_u16_e64 vcc_lo, 0, v151
	v_mov_b32_e32 v150, 0
	s_and_not1_b32 s14, s14, exec_lo
	s_delay_alu instid0(VALU_DEP_2) | instskip(NEXT) | instid1(SALU_CYCLE_1)
	s_and_b32 s15, vcc_lo, exec_lo
	s_or_b32 s14, s14, s15
	s_or_b32 exec_lo, exec_lo, s34
	s_and_saveexec_b32 s15, s14
	s_cbranch_execnz .LBB2_2684
	s_branch .LBB2_2685
.LBB2_3070:                             ;   in Loop: Header=BB2_2491 Depth=3
	s_mov_b32 s15, -1
	s_mov_b32 s35, exec_lo
                                        ; implicit-def: $sgpr34
	v_cmpx_eq_u16_e64 0x80, v151
; %bb.3071:                             ;   in Loop: Header=BB2_2491 Depth=3
	s_mov_b32 s34, 0x7f800001
	s_xor_b32 s15, exec_lo, -1
; %bb.3072:                             ;   in Loop: Header=BB2_2491 Depth=3
	s_or_b32 exec_lo, exec_lo, s35
	s_delay_alu instid0(SALU_CYCLE_1)
	s_and_b32 s15, s15, exec_lo
	s_or_saveexec_b32 s14, s14
	v_mov_b32_e32 v160, s34
	s_xor_b32 exec_lo, exec_lo, s14
	s_cbranch_execz .LBB2_2697
.LBB2_3073:                             ;   in Loop: Header=BB2_2491 Depth=3
	v_cmp_ne_u16_e64 vcc_lo, 0, v151
	v_mov_b32_e32 v160, 0
	s_and_not1_b32 s15, s15, exec_lo
	s_delay_alu instid0(VALU_DEP_2) | instskip(NEXT) | instid1(SALU_CYCLE_1)
	s_and_b32 vcc_lo, vcc_lo, exec_lo
	s_or_b32 s15, s15, vcc_lo
	s_or_b32 exec_lo, exec_lo, s14
	s_and_saveexec_b32 s14, s15
	s_cbranch_execnz .LBB2_2698
	s_branch .LBB2_2699
.LBB2_3074:                             ;   in Loop: Header=BB2_2491 Depth=3
	s_mov_b32 s14, -1
	s_mov_b32 s35, exec_lo
                                        ; implicit-def: $sgpr15
	v_cmpx_eq_u16_e64 0x80, v150
; %bb.3075:                             ;   in Loop: Header=BB2_2491 Depth=3
	s_mov_b32 s15, 0x7f800001
	s_xor_b32 s14, exec_lo, -1
; %bb.3076:                             ;   in Loop: Header=BB2_2491 Depth=3
	s_or_b32 exec_lo, exec_lo, s35
	s_delay_alu instid0(SALU_CYCLE_1)
	s_and_b32 s14, s14, exec_lo
	s_or_saveexec_b32 s34, s34
	v_mov_b32_e32 v161, s15
	s_xor_b32 exec_lo, exec_lo, s34
	s_cbranch_execz .LBB2_2701
.LBB2_3077:                             ;   in Loop: Header=BB2_2491 Depth=3
	v_cmp_ne_u16_e64 vcc_lo, 0, v150
	v_mov_b32_e32 v161, 0
	s_and_not1_b32 s14, s14, exec_lo
	s_delay_alu instid0(VALU_DEP_2) | instskip(NEXT) | instid1(SALU_CYCLE_1)
	s_and_b32 s15, vcc_lo, exec_lo
	s_or_b32 s14, s14, s15
	s_or_b32 exec_lo, exec_lo, s34
	s_and_saveexec_b32 s15, s14
	s_cbranch_execnz .LBB2_2702
	s_branch .LBB2_2703
.LBB2_3078:                             ;   in Loop: Header=BB2_2491 Depth=3
	s_mov_b32 s14, -1
	s_mov_b32 s35, exec_lo
                                        ; implicit-def: $sgpr15
	v_cmpx_eq_u16_e64 0x80, v151
; %bb.3079:                             ;   in Loop: Header=BB2_2491 Depth=3
	s_mov_b32 s15, 0x7f800001
	s_xor_b32 s14, exec_lo, -1
; %bb.3080:                             ;   in Loop: Header=BB2_2491 Depth=3
	s_or_b32 exec_lo, exec_lo, s35
	s_delay_alu instid0(SALU_CYCLE_1)
	s_and_b32 s14, s14, exec_lo
	s_or_saveexec_b32 s34, s34
	v_mov_b32_e32 v160, s15
	s_xor_b32 exec_lo, exec_lo, s34
	s_cbranch_execz .LBB2_2708
.LBB2_3081:                             ;   in Loop: Header=BB2_2491 Depth=3
	v_cmp_ne_u16_e64 vcc_lo, 0, v151
	v_mov_b32_e32 v160, 0
	s_and_not1_b32 s14, s14, exec_lo
	s_delay_alu instid0(VALU_DEP_2) | instskip(NEXT) | instid1(SALU_CYCLE_1)
	s_and_b32 s15, vcc_lo, exec_lo
	s_or_b32 s14, s14, s15
	s_or_b32 exec_lo, exec_lo, s34
	s_and_saveexec_b32 s15, s14
	s_cbranch_execnz .LBB2_2709
	s_branch .LBB2_2710
.LBB2_3082:                             ;   in Loop: Header=BB2_2491 Depth=3
	s_mov_b32 s14, -1
	s_mov_b32 s35, exec_lo
                                        ; implicit-def: $sgpr15
	v_cmpx_eq_u16_e64 0x80, v150
; %bb.3083:                             ;   in Loop: Header=BB2_2491 Depth=3
	s_mov_b32 s15, 0x7f800001
	s_xor_b32 s14, exec_lo, -1
; %bb.3084:                             ;   in Loop: Header=BB2_2491 Depth=3
	s_or_b32 exec_lo, exec_lo, s35
	s_delay_alu instid0(SALU_CYCLE_1)
	s_and_b32 s14, s14, exec_lo
	s_or_saveexec_b32 s34, s34
	v_mov_b32_e32 v13, s15
	s_xor_b32 exec_lo, exec_lo, s34
	s_cbranch_execz .LBB2_2712
.LBB2_3085:                             ;   in Loop: Header=BB2_2491 Depth=3
	v_cmp_ne_u16_e64 vcc_lo, 0, v150
	v_mov_b32_e32 v13, 0
	s_and_not1_b32 s14, s14, exec_lo
	s_delay_alu instid0(VALU_DEP_2) | instskip(NEXT) | instid1(SALU_CYCLE_1)
	s_and_b32 s15, vcc_lo, exec_lo
	s_or_b32 s14, s14, s15
	s_or_b32 exec_lo, exec_lo, s34
	s_and_saveexec_b32 s15, s14
	s_cbranch_execnz .LBB2_2713
	s_branch .LBB2_2714
.LBB2_3086:                             ;   in Loop: Header=BB2_2491 Depth=3
	s_mov_b32 s15, -1
	s_mov_b32 s35, exec_lo
                                        ; implicit-def: $sgpr34
	v_cmpx_eq_u16_e32 0x80, v13
; %bb.3087:                             ;   in Loop: Header=BB2_2491 Depth=3
	s_mov_b32 s34, 0x7f800001
	s_xor_b32 s15, exec_lo, -1
; %bb.3088:                             ;   in Loop: Header=BB2_2491 Depth=3
	s_or_b32 exec_lo, exec_lo, s35
	s_delay_alu instid0(SALU_CYCLE_1)
	s_and_b32 s15, s15, exec_lo
	s_or_saveexec_b32 s14, s14
	v_mov_b32_e32 v150, s34
	s_xor_b32 exec_lo, exec_lo, s14
	s_cbranch_execz .LBB2_2726
.LBB2_3089:                             ;   in Loop: Header=BB2_2491 Depth=3
	v_cmp_ne_u16_e32 vcc_lo, 0, v13
	v_mov_b32_e32 v150, 0
	s_and_not1_b32 s15, s15, exec_lo
	s_and_b32 vcc_lo, vcc_lo, exec_lo
	s_delay_alu instid0(SALU_CYCLE_1)
	s_or_b32 s15, s15, vcc_lo
	s_or_b32 exec_lo, exec_lo, s14
	s_and_saveexec_b32 s14, s15
	s_cbranch_execnz .LBB2_2727
	s_branch .LBB2_2728
.LBB2_3090:                             ;   in Loop: Header=BB2_2491 Depth=3
	s_mov_b32 s14, -1
	s_mov_b32 s35, exec_lo
                                        ; implicit-def: $sgpr15
	v_cmpx_eq_u16_e64 0x80, v160
; %bb.3091:                             ;   in Loop: Header=BB2_2491 Depth=3
	s_mov_b32 s15, 0x7f800001
	s_xor_b32 s14, exec_lo, -1
; %bb.3092:                             ;   in Loop: Header=BB2_2491 Depth=3
	s_or_b32 exec_lo, exec_lo, s35
	s_delay_alu instid0(SALU_CYCLE_1)
	s_and_b32 s14, s14, exec_lo
                                        ; implicit-def: $vgpr160
	s_or_saveexec_b32 s34, s34
	v_mov_b32_e32 v151, s15
	s_xor_b32 exec_lo, exec_lo, s34
	s_cbranch_execz .LBB2_2730
.LBB2_3093:                             ;   in Loop: Header=BB2_2491 Depth=3
	v_cmp_ne_u16_e64 vcc_lo, 0, v160
	v_mov_b32_e32 v151, 0
	s_and_not1_b32 s14, s14, exec_lo
	s_delay_alu instid0(VALU_DEP_2) | instskip(NEXT) | instid1(SALU_CYCLE_1)
	s_and_b32 s15, vcc_lo, exec_lo
	s_or_b32 s14, s14, s15
	s_or_b32 exec_lo, exec_lo, s34
	s_and_saveexec_b32 s15, s14
	s_cbranch_execnz .LBB2_2731
	s_branch .LBB2_2732
.LBB2_3094:                             ;   in Loop: Header=BB2_2491 Depth=3
	s_mov_b32 s14, -1
	s_mov_b32 s35, exec_lo
                                        ; implicit-def: $sgpr15
	v_cmpx_eq_u16_e32 0x80, v13
; %bb.3095:                             ;   in Loop: Header=BB2_2491 Depth=3
	s_mov_b32 s15, 0x7f800001
	s_xor_b32 s14, exec_lo, -1
; %bb.3096:                             ;   in Loop: Header=BB2_2491 Depth=3
	s_or_b32 exec_lo, exec_lo, s35
	s_delay_alu instid0(SALU_CYCLE_1)
	s_and_b32 s14, s14, exec_lo
                                        ; implicit-def: $vgpr13
	s_or_saveexec_b32 s34, s34
	v_mov_b32_e32 v150, s15
	s_xor_b32 exec_lo, exec_lo, s34
	s_cbranch_execz .LBB2_2737
.LBB2_3097:                             ;   in Loop: Header=BB2_2491 Depth=3
	v_cmp_ne_u16_e32 vcc_lo, 0, v13
	v_mov_b32_e32 v150, 0
	s_and_not1_b32 s14, s14, exec_lo
	s_and_b32 s15, vcc_lo, exec_lo
	s_delay_alu instid0(SALU_CYCLE_1)
	s_or_b32 s14, s14, s15
	s_or_b32 exec_lo, exec_lo, s34
	s_and_saveexec_b32 s15, s14
	s_cbranch_execnz .LBB2_2738
	s_branch .LBB2_2739
.LBB2_3098:                             ;   in Loop: Header=BB2_2491 Depth=3
	s_mov_b32 s14, -1
	s_mov_b32 s35, exec_lo
                                        ; implicit-def: $sgpr15
	v_cmpx_eq_u16_e64 0x80, v151
; %bb.3099:                             ;   in Loop: Header=BB2_2491 Depth=3
	s_mov_b32 s15, 0x7f800001
	s_xor_b32 s14, exec_lo, -1
; %bb.3100:                             ;   in Loop: Header=BB2_2491 Depth=3
	s_or_b32 exec_lo, exec_lo, s35
	s_delay_alu instid0(SALU_CYCLE_1)
	s_and_b32 s14, s14, exec_lo
                                        ; implicit-def: $vgpr151
	s_or_saveexec_b32 s34, s34
	v_mov_b32_e32 v13, s15
	s_xor_b32 exec_lo, exec_lo, s34
	s_cbranch_execz .LBB2_2741
.LBB2_3101:                             ;   in Loop: Header=BB2_2491 Depth=3
	v_cmp_ne_u16_e64 vcc_lo, 0, v151
	v_mov_b32_e32 v13, 0
	s_and_not1_b32 s14, s14, exec_lo
	s_delay_alu instid0(VALU_DEP_2) | instskip(NEXT) | instid1(SALU_CYCLE_1)
	s_and_b32 s15, vcc_lo, exec_lo
	s_or_b32 s14, s14, s15
	s_or_b32 exec_lo, exec_lo, s34
	s_and_saveexec_b32 s15, s14
	s_cbranch_execnz .LBB2_2742
	s_branch .LBB2_2743
.LBB2_3102:                             ;   in Loop: Header=BB2_2491 Depth=3
	s_mov_b32 s15, -1
	s_mov_b32 s35, exec_lo
                                        ; implicit-def: $sgpr34
	v_cmpx_eq_u16_e64 0x80, v151
; %bb.3103:                             ;   in Loop: Header=BB2_2491 Depth=3
	s_mov_b32 s34, 0x7f800001
	s_xor_b32 s15, exec_lo, -1
; %bb.3104:                             ;   in Loop: Header=BB2_2491 Depth=3
	s_or_b32 exec_lo, exec_lo, s35
	s_delay_alu instid0(SALU_CYCLE_1)
	s_and_b32 s15, s15, exec_lo
	s_or_saveexec_b32 s14, s14
	v_mov_b32_e32 v160, s34
	s_xor_b32 exec_lo, exec_lo, s14
	s_cbranch_execz .LBB2_2755
.LBB2_3105:                             ;   in Loop: Header=BB2_2491 Depth=3
	v_cmp_ne_u16_e64 vcc_lo, 0, v151
	v_mov_b32_e32 v160, 0
	s_and_not1_b32 s15, s15, exec_lo
	s_delay_alu instid0(VALU_DEP_2) | instskip(NEXT) | instid1(SALU_CYCLE_1)
	s_and_b32 vcc_lo, vcc_lo, exec_lo
	s_or_b32 s15, s15, vcc_lo
	s_or_b32 exec_lo, exec_lo, s14
	s_and_saveexec_b32 s14, s15
	s_cbranch_execnz .LBB2_2756
	s_branch .LBB2_2757
.LBB2_3106:                             ;   in Loop: Header=BB2_2491 Depth=3
	s_mov_b32 s14, -1
	s_mov_b32 s35, exec_lo
                                        ; implicit-def: $sgpr15
	v_cmpx_eq_u16_e64 0x80, v150
; %bb.3107:                             ;   in Loop: Header=BB2_2491 Depth=3
	s_mov_b32 s15, 0x7f800001
	s_xor_b32 s14, exec_lo, -1
; %bb.3108:                             ;   in Loop: Header=BB2_2491 Depth=3
	s_or_b32 exec_lo, exec_lo, s35
	s_delay_alu instid0(SALU_CYCLE_1)
	s_and_b32 s14, s14, exec_lo
	s_or_saveexec_b32 s34, s34
	v_mov_b32_e32 v161, s15
	s_xor_b32 exec_lo, exec_lo, s34
	s_cbranch_execz .LBB2_2759
.LBB2_3109:                             ;   in Loop: Header=BB2_2491 Depth=3
	v_cmp_ne_u16_e64 vcc_lo, 0, v150
	v_mov_b32_e32 v161, 0
	s_and_not1_b32 s14, s14, exec_lo
	s_delay_alu instid0(VALU_DEP_2) | instskip(NEXT) | instid1(SALU_CYCLE_1)
	s_and_b32 s15, vcc_lo, exec_lo
	s_or_b32 s14, s14, s15
	s_or_b32 exec_lo, exec_lo, s34
	s_and_saveexec_b32 s15, s14
	s_cbranch_execnz .LBB2_2760
	s_branch .LBB2_2761
.LBB2_3110:                             ;   in Loop: Header=BB2_2491 Depth=3
	s_mov_b32 s14, -1
	s_mov_b32 s35, exec_lo
                                        ; implicit-def: $sgpr15
	v_cmpx_eq_u16_e64 0x80, v151
; %bb.3111:                             ;   in Loop: Header=BB2_2491 Depth=3
	s_mov_b32 s15, 0x7f800001
	s_xor_b32 s14, exec_lo, -1
; %bb.3112:                             ;   in Loop: Header=BB2_2491 Depth=3
	s_or_b32 exec_lo, exec_lo, s35
	s_delay_alu instid0(SALU_CYCLE_1)
	s_and_b32 s14, s14, exec_lo
	s_or_saveexec_b32 s34, s34
	v_mov_b32_e32 v160, s15
	s_xor_b32 exec_lo, exec_lo, s34
	s_cbranch_execz .LBB2_2766
.LBB2_3113:                             ;   in Loop: Header=BB2_2491 Depth=3
	v_cmp_ne_u16_e64 vcc_lo, 0, v151
	v_mov_b32_e32 v160, 0
	s_and_not1_b32 s14, s14, exec_lo
	s_delay_alu instid0(VALU_DEP_2) | instskip(NEXT) | instid1(SALU_CYCLE_1)
	s_and_b32 s15, vcc_lo, exec_lo
	s_or_b32 s14, s14, s15
	s_or_b32 exec_lo, exec_lo, s34
	s_and_saveexec_b32 s15, s14
	s_cbranch_execnz .LBB2_2767
	s_branch .LBB2_2768
.LBB2_3114:                             ;   in Loop: Header=BB2_2491 Depth=3
	s_mov_b32 s14, -1
	s_mov_b32 s35, exec_lo
                                        ; implicit-def: $sgpr15
	v_cmpx_eq_u16_e64 0x80, v150
; %bb.3115:                             ;   in Loop: Header=BB2_2491 Depth=3
	s_mov_b32 s15, 0x7f800001
	s_xor_b32 s14, exec_lo, -1
; %bb.3116:                             ;   in Loop: Header=BB2_2491 Depth=3
	s_or_b32 exec_lo, exec_lo, s35
	s_delay_alu instid0(SALU_CYCLE_1)
	s_and_b32 s14, s14, exec_lo
	s_or_saveexec_b32 s34, s34
	v_mov_b32_e32 v151, s15
	s_xor_b32 exec_lo, exec_lo, s34
	s_cbranch_execz .LBB2_2770
.LBB2_3117:                             ;   in Loop: Header=BB2_2491 Depth=3
	v_cmp_ne_u16_e64 vcc_lo, 0, v150
	v_mov_b32_e32 v151, 0
	s_and_not1_b32 s14, s14, exec_lo
	s_delay_alu instid0(VALU_DEP_2) | instskip(NEXT) | instid1(SALU_CYCLE_1)
	s_and_b32 s15, vcc_lo, exec_lo
	s_or_b32 s14, s14, s15
	s_or_b32 exec_lo, exec_lo, s34
	s_and_saveexec_b32 s15, s14
	s_cbranch_execnz .LBB2_2771
	s_branch .LBB2_2772
.LBB2_3118:                             ;   in Loop: Header=BB2_2491 Depth=3
	s_mov_b32 s15, -1
	s_mov_b32 s35, exec_lo
                                        ; implicit-def: $sgpr34
	v_cmpx_eq_u16_e64 0x80, v161
; %bb.3119:                             ;   in Loop: Header=BB2_2491 Depth=3
	s_mov_b32 s34, 0x7f800001
	s_xor_b32 s15, exec_lo, -1
; %bb.3120:                             ;   in Loop: Header=BB2_2491 Depth=3
	s_or_b32 exec_lo, exec_lo, s35
	s_delay_alu instid0(SALU_CYCLE_1)
	s_and_b32 s15, s15, exec_lo
	s_or_saveexec_b32 s14, s14
	v_mov_b32_e32 v162, s34
	s_xor_b32 exec_lo, exec_lo, s14
	s_cbranch_execz .LBB2_2784
.LBB2_3121:                             ;   in Loop: Header=BB2_2491 Depth=3
	v_cmp_ne_u16_e64 vcc_lo, 0, v161
	v_mov_b32_e32 v162, 0
	s_and_not1_b32 s15, s15, exec_lo
	s_delay_alu instid0(VALU_DEP_2) | instskip(NEXT) | instid1(SALU_CYCLE_1)
	s_and_b32 vcc_lo, vcc_lo, exec_lo
	s_or_b32 s15, s15, vcc_lo
	s_or_b32 exec_lo, exec_lo, s14
	s_and_saveexec_b32 s14, s15
	s_cbranch_execnz .LBB2_2785
	s_branch .LBB2_2786
.LBB2_3122:                             ;   in Loop: Header=BB2_2491 Depth=3
	s_mov_b32 s14, -1
	s_mov_b32 s35, exec_lo
                                        ; implicit-def: $sgpr15
	v_cmpx_eq_u16_e64 0x80, v164
; %bb.3123:                             ;   in Loop: Header=BB2_2491 Depth=3
	s_mov_b32 s15, 0x7f800001
	s_xor_b32 s14, exec_lo, -1
; %bb.3124:                             ;   in Loop: Header=BB2_2491 Depth=3
	s_or_b32 exec_lo, exec_lo, s35
	s_delay_alu instid0(SALU_CYCLE_1)
	s_and_b32 s14, s14, exec_lo
                                        ; implicit-def: $vgpr164
	s_or_saveexec_b32 s34, s34
	v_mov_b32_e32 v163, s15
	s_xor_b32 exec_lo, exec_lo, s34
	s_cbranch_execz .LBB2_2788
.LBB2_3125:                             ;   in Loop: Header=BB2_2491 Depth=3
	v_cmp_ne_u16_e64 vcc_lo, 0, v164
	v_mov_b32_e32 v163, 0
	s_and_not1_b32 s14, s14, exec_lo
	s_delay_alu instid0(VALU_DEP_2) | instskip(NEXT) | instid1(SALU_CYCLE_1)
	s_and_b32 s15, vcc_lo, exec_lo
	s_or_b32 s14, s14, s15
	s_or_b32 exec_lo, exec_lo, s34
	s_and_saveexec_b32 s15, s14
	s_cbranch_execnz .LBB2_2789
	s_branch .LBB2_2790
.LBB2_3126:                             ;   in Loop: Header=BB2_2491 Depth=3
	s_mov_b32 s14, -1
	s_mov_b32 s35, exec_lo
                                        ; implicit-def: $sgpr15
	v_cmpx_eq_u16_e64 0x80, v161
; %bb.3127:                             ;   in Loop: Header=BB2_2491 Depth=3
	s_mov_b32 s15, 0x7f800001
	s_xor_b32 s14, exec_lo, -1
; %bb.3128:                             ;   in Loop: Header=BB2_2491 Depth=3
	s_or_b32 exec_lo, exec_lo, s35
	s_delay_alu instid0(SALU_CYCLE_1)
	s_and_b32 s14, s14, exec_lo
                                        ; implicit-def: $vgpr161
	s_or_saveexec_b32 s34, s34
	v_mov_b32_e32 v162, s15
	s_xor_b32 exec_lo, exec_lo, s34
	s_cbranch_execz .LBB2_2795
.LBB2_3129:                             ;   in Loop: Header=BB2_2491 Depth=3
	v_cmp_ne_u16_e64 vcc_lo, 0, v161
	v_mov_b32_e32 v162, 0
	s_and_not1_b32 s14, s14, exec_lo
	s_delay_alu instid0(VALU_DEP_2) | instskip(NEXT) | instid1(SALU_CYCLE_1)
	s_and_b32 s15, vcc_lo, exec_lo
	s_or_b32 s14, s14, s15
	s_or_b32 exec_lo, exec_lo, s34
	s_and_saveexec_b32 s15, s14
	s_cbranch_execnz .LBB2_2796
	s_branch .LBB2_2797
.LBB2_3130:                             ;   in Loop: Header=BB2_2491 Depth=3
	s_mov_b32 s14, -1
	s_mov_b32 s35, exec_lo
                                        ; implicit-def: $sgpr15
	v_cmpx_eq_u16_e64 0x80, v161
; %bb.3131:                             ;   in Loop: Header=BB2_2491 Depth=3
	s_mov_b32 s15, 0x7f800001
	s_xor_b32 s14, exec_lo, -1
; %bb.3132:                             ;   in Loop: Header=BB2_2491 Depth=3
	s_or_b32 exec_lo, exec_lo, s35
	s_delay_alu instid0(SALU_CYCLE_1)
	s_and_b32 s14, s14, exec_lo
                                        ; implicit-def: $vgpr161
	s_or_saveexec_b32 s34, s34
	v_mov_b32_e32 v160, s15
	s_xor_b32 exec_lo, exec_lo, s34
	s_cbranch_execz .LBB2_2799
.LBB2_3133:                             ;   in Loop: Header=BB2_2491 Depth=3
	v_cmp_ne_u16_e64 vcc_lo, 0, v161
	v_mov_b32_e32 v160, 0
	s_and_not1_b32 s14, s14, exec_lo
	s_delay_alu instid0(VALU_DEP_2) | instskip(NEXT) | instid1(SALU_CYCLE_1)
	s_and_b32 s15, vcc_lo, exec_lo
	s_or_b32 s14, s14, s15
	s_or_b32 exec_lo, exec_lo, s34
	s_and_saveexec_b32 s15, s14
	s_cbranch_execnz .LBB2_2800
	s_branch .LBB2_2801
.LBB2_3134:                             ;   in Loop: Header=BB2_2491 Depth=3
	s_mov_b32 s15, -1
	s_mov_b32 s35, exec_lo
                                        ; implicit-def: $sgpr34
	v_cmpx_eq_u16_e64 0x80, v161
; %bb.3135:                             ;   in Loop: Header=BB2_2491 Depth=3
	s_mov_b32 s34, 0x7f800001
	s_xor_b32 s15, exec_lo, -1
; %bb.3136:                             ;   in Loop: Header=BB2_2491 Depth=3
	s_or_b32 exec_lo, exec_lo, s35
	s_delay_alu instid0(SALU_CYCLE_1)
	s_and_b32 s15, s15, exec_lo
	s_or_saveexec_b32 s14, s14
	v_mov_b32_e32 v162, s34
	s_xor_b32 exec_lo, exec_lo, s14
	s_cbranch_execz .LBB2_2813
.LBB2_3137:                             ;   in Loop: Header=BB2_2491 Depth=3
	v_cmp_ne_u16_e64 vcc_lo, 0, v161
	v_mov_b32_e32 v162, 0
	s_and_not1_b32 s15, s15, exec_lo
	s_delay_alu instid0(VALU_DEP_2) | instskip(NEXT) | instid1(SALU_CYCLE_1)
	s_and_b32 vcc_lo, vcc_lo, exec_lo
	s_or_b32 s15, s15, vcc_lo
	s_or_b32 exec_lo, exec_lo, s14
	s_and_saveexec_b32 s14, s15
	s_cbranch_execnz .LBB2_2814
	s_branch .LBB2_2815
.LBB2_3138:                             ;   in Loop: Header=BB2_2491 Depth=3
	s_mov_b32 s14, -1
	s_mov_b32 s35, exec_lo
                                        ; implicit-def: $sgpr15
	v_cmpx_eq_u16_e64 0x80, v160
; %bb.3139:                             ;   in Loop: Header=BB2_2491 Depth=3
	s_mov_b32 s15, 0x7f800001
	s_xor_b32 s14, exec_lo, -1
; %bb.3140:                             ;   in Loop: Header=BB2_2491 Depth=3
	s_or_b32 exec_lo, exec_lo, s35
	s_delay_alu instid0(SALU_CYCLE_1)
	s_and_b32 s14, s14, exec_lo
	s_or_saveexec_b32 s34, s34
	v_mov_b32_e32 v163, s15
	s_xor_b32 exec_lo, exec_lo, s34
	s_cbranch_execz .LBB2_2817
.LBB2_3141:                             ;   in Loop: Header=BB2_2491 Depth=3
	v_cmp_ne_u16_e64 vcc_lo, 0, v160
	v_mov_b32_e32 v163, 0
	s_and_not1_b32 s14, s14, exec_lo
	s_delay_alu instid0(VALU_DEP_2) | instskip(NEXT) | instid1(SALU_CYCLE_1)
	s_and_b32 s15, vcc_lo, exec_lo
	s_or_b32 s14, s14, s15
	s_or_b32 exec_lo, exec_lo, s34
	s_and_saveexec_b32 s15, s14
	s_cbranch_execnz .LBB2_2818
	s_branch .LBB2_2819
.LBB2_3142:                             ;   in Loop: Header=BB2_2491 Depth=3
	s_mov_b32 s14, -1
	s_mov_b32 s35, exec_lo
                                        ; implicit-def: $sgpr15
	v_cmpx_eq_u16_e64 0x80, v161
; %bb.3143:                             ;   in Loop: Header=BB2_2491 Depth=3
	s_mov_b32 s15, 0x7f800001
	s_xor_b32 s14, exec_lo, -1
; %bb.3144:                             ;   in Loop: Header=BB2_2491 Depth=3
	s_or_b32 exec_lo, exec_lo, s35
	s_delay_alu instid0(SALU_CYCLE_1)
	s_and_b32 s14, s14, exec_lo
	s_or_saveexec_b32 s34, s34
	v_mov_b32_e32 v162, s15
	s_xor_b32 exec_lo, exec_lo, s34
	s_cbranch_execz .LBB2_2824
.LBB2_3145:                             ;   in Loop: Header=BB2_2491 Depth=3
	v_cmp_ne_u16_e64 vcc_lo, 0, v161
	v_mov_b32_e32 v162, 0
	s_and_not1_b32 s14, s14, exec_lo
	s_delay_alu instid0(VALU_DEP_2) | instskip(NEXT) | instid1(SALU_CYCLE_1)
	s_and_b32 s15, vcc_lo, exec_lo
	s_or_b32 s14, s14, s15
	s_or_b32 exec_lo, exec_lo, s34
	s_and_saveexec_b32 s15, s14
	s_cbranch_execnz .LBB2_2825
	s_branch .LBB2_2826
.LBB2_3146:                             ;   in Loop: Header=BB2_2491 Depth=3
	s_mov_b32 s14, -1
	s_mov_b32 s35, exec_lo
                                        ; implicit-def: $sgpr15
	v_cmpx_eq_u16_e64 0x80, v160
; %bb.3147:                             ;   in Loop: Header=BB2_2491 Depth=3
	s_mov_b32 s15, 0x7f800001
	s_xor_b32 s14, exec_lo, -1
; %bb.3148:                             ;   in Loop: Header=BB2_2491 Depth=3
	s_or_b32 exec_lo, exec_lo, s35
	s_delay_alu instid0(SALU_CYCLE_1)
	s_and_b32 s14, s14, exec_lo
	s_or_saveexec_b32 s34, s34
	v_mov_b32_e32 v14, s15
	s_xor_b32 exec_lo, exec_lo, s34
	s_cbranch_execz .LBB2_2828
.LBB2_3149:                             ;   in Loop: Header=BB2_2491 Depth=3
	v_cmp_ne_u16_e64 vcc_lo, 0, v160
	v_mov_b32_e32 v14, 0
	s_and_not1_b32 s14, s14, exec_lo
	s_delay_alu instid0(VALU_DEP_2) | instskip(NEXT) | instid1(SALU_CYCLE_1)
	s_and_b32 s15, vcc_lo, exec_lo
	s_or_b32 s14, s14, s15
	s_or_b32 exec_lo, exec_lo, s34
	s_and_saveexec_b32 s15, s14
	s_cbranch_execnz .LBB2_2829
	s_branch .LBB2_2830
.LBB2_3150:                             ;   in Loop: Header=BB2_2491 Depth=3
	s_mov_b32 s15, -1
	s_mov_b32 s35, exec_lo
                                        ; implicit-def: $sgpr34
	v_cmpx_eq_u16_e32 0x80, v14
; %bb.3151:                             ;   in Loop: Header=BB2_2491 Depth=3
	s_mov_b32 s34, 0x7f800001
	s_xor_b32 s15, exec_lo, -1
; %bb.3152:                             ;   in Loop: Header=BB2_2491 Depth=3
	s_or_b32 exec_lo, exec_lo, s35
	s_delay_alu instid0(SALU_CYCLE_1)
	s_and_b32 s15, s15, exec_lo
	s_or_saveexec_b32 s14, s14
	v_mov_b32_e32 v160, s34
	s_xor_b32 exec_lo, exec_lo, s14
	s_cbranch_execz .LBB2_2842
.LBB2_3153:                             ;   in Loop: Header=BB2_2491 Depth=3
	v_cmp_ne_u16_e32 vcc_lo, 0, v14
	v_mov_b32_e32 v160, 0
	s_and_not1_b32 s15, s15, exec_lo
	s_and_b32 vcc_lo, vcc_lo, exec_lo
	s_delay_alu instid0(SALU_CYCLE_1)
	s_or_b32 s15, s15, vcc_lo
	s_or_b32 exec_lo, exec_lo, s14
	s_and_saveexec_b32 s14, s15
	s_cbranch_execnz .LBB2_2843
	s_branch .LBB2_2844
.LBB2_3154:                             ;   in Loop: Header=BB2_2491 Depth=3
	s_mov_b32 s14, -1
	s_mov_b32 s35, exec_lo
                                        ; implicit-def: $sgpr15
	v_cmpx_eq_u16_e64 0x80, v162
; %bb.3155:                             ;   in Loop: Header=BB2_2491 Depth=3
	s_mov_b32 s15, 0x7f800001
	s_xor_b32 s14, exec_lo, -1
; %bb.3156:                             ;   in Loop: Header=BB2_2491 Depth=3
	s_or_b32 exec_lo, exec_lo, s35
	s_delay_alu instid0(SALU_CYCLE_1)
	s_and_b32 s14, s14, exec_lo
                                        ; implicit-def: $vgpr162
	s_or_saveexec_b32 s34, s34
	v_mov_b32_e32 v161, s15
	s_xor_b32 exec_lo, exec_lo, s34
	s_cbranch_execz .LBB2_2846
.LBB2_3157:                             ;   in Loop: Header=BB2_2491 Depth=3
	v_cmp_ne_u16_e64 vcc_lo, 0, v162
	v_mov_b32_e32 v161, 0
	s_and_not1_b32 s14, s14, exec_lo
	s_delay_alu instid0(VALU_DEP_2) | instskip(NEXT) | instid1(SALU_CYCLE_1)
	s_and_b32 s15, vcc_lo, exec_lo
	s_or_b32 s14, s14, s15
	s_or_b32 exec_lo, exec_lo, s34
	s_and_saveexec_b32 s15, s14
	s_cbranch_execnz .LBB2_2847
	s_branch .LBB2_2848
.LBB2_3158:                             ;   in Loop: Header=BB2_2491 Depth=3
	s_mov_b32 s14, -1
	s_mov_b32 s35, exec_lo
                                        ; implicit-def: $sgpr15
	v_cmpx_eq_u16_e32 0x80, v14
; %bb.3159:                             ;   in Loop: Header=BB2_2491 Depth=3
	s_mov_b32 s15, 0x7f800001
	s_xor_b32 s14, exec_lo, -1
; %bb.3160:                             ;   in Loop: Header=BB2_2491 Depth=3
	s_or_b32 exec_lo, exec_lo, s35
	s_delay_alu instid0(SALU_CYCLE_1)
	s_and_b32 s14, s14, exec_lo
                                        ; implicit-def: $vgpr14
	s_or_saveexec_b32 s34, s34
	v_mov_b32_e32 v160, s15
	s_xor_b32 exec_lo, exec_lo, s34
	s_cbranch_execz .LBB2_2853
.LBB2_3161:                             ;   in Loop: Header=BB2_2491 Depth=3
	v_cmp_ne_u16_e32 vcc_lo, 0, v14
	v_mov_b32_e32 v160, 0
	s_and_not1_b32 s14, s14, exec_lo
	s_and_b32 s15, vcc_lo, exec_lo
	s_delay_alu instid0(SALU_CYCLE_1)
	s_or_b32 s14, s14, s15
	s_or_b32 exec_lo, exec_lo, s34
	s_and_saveexec_b32 s15, s14
	s_cbranch_execnz .LBB2_2854
	s_branch .LBB2_2855
.LBB2_3162:                             ;   in Loop: Header=BB2_2491 Depth=3
	s_mov_b32 s14, -1
	s_mov_b32 s35, exec_lo
                                        ; implicit-def: $sgpr15
	v_cmpx_eq_u16_e64 0x80, v161
; %bb.3163:                             ;   in Loop: Header=BB2_2491 Depth=3
	s_mov_b32 s15, 0x7f800001
	s_xor_b32 s14, exec_lo, -1
; %bb.3164:                             ;   in Loop: Header=BB2_2491 Depth=3
	s_or_b32 exec_lo, exec_lo, s35
	s_delay_alu instid0(SALU_CYCLE_1)
	s_and_b32 s14, s14, exec_lo
                                        ; implicit-def: $vgpr161
	s_or_saveexec_b32 s34, s34
	v_mov_b32_e32 v14, s15
	s_xor_b32 exec_lo, exec_lo, s34
	s_cbranch_execz .LBB2_2857
.LBB2_3165:                             ;   in Loop: Header=BB2_2491 Depth=3
	v_cmp_ne_u16_e64 vcc_lo, 0, v161
	v_mov_b32_e32 v14, 0
	s_and_not1_b32 s14, s14, exec_lo
	s_delay_alu instid0(VALU_DEP_2) | instskip(NEXT) | instid1(SALU_CYCLE_1)
	s_and_b32 s15, vcc_lo, exec_lo
	s_or_b32 s14, s14, s15
	s_or_b32 exec_lo, exec_lo, s34
	s_and_saveexec_b32 s15, s14
	s_cbranch_execnz .LBB2_2858
	s_branch .LBB2_2859
.LBB2_3166:                             ;   in Loop: Header=BB2_2491 Depth=3
	s_mov_b32 s15, -1
	s_mov_b32 s35, exec_lo
                                        ; implicit-def: $sgpr34
	v_cmpx_eq_u16_e64 0x80, v161
; %bb.3167:                             ;   in Loop: Header=BB2_2491 Depth=3
	s_mov_b32 s34, 0x7f800001
	s_xor_b32 s15, exec_lo, -1
; %bb.3168:                             ;   in Loop: Header=BB2_2491 Depth=3
	s_or_b32 exec_lo, exec_lo, s35
	s_delay_alu instid0(SALU_CYCLE_1)
	s_and_b32 s15, s15, exec_lo
	s_or_saveexec_b32 s14, s14
	v_mov_b32_e32 v162, s34
	s_xor_b32 exec_lo, exec_lo, s14
	s_cbranch_execz .LBB2_2871
.LBB2_3169:                             ;   in Loop: Header=BB2_2491 Depth=3
	v_cmp_ne_u16_e64 vcc_lo, 0, v161
	v_mov_b32_e32 v162, 0
	s_and_not1_b32 s15, s15, exec_lo
	s_delay_alu instid0(VALU_DEP_2) | instskip(NEXT) | instid1(SALU_CYCLE_1)
	s_and_b32 vcc_lo, vcc_lo, exec_lo
	s_or_b32 s15, s15, vcc_lo
	s_or_b32 exec_lo, exec_lo, s14
	s_and_saveexec_b32 s14, s15
	s_cbranch_execnz .LBB2_2872
	s_branch .LBB2_2873
.LBB2_3170:                             ;   in Loop: Header=BB2_2491 Depth=3
	s_mov_b32 s14, -1
	s_mov_b32 s35, exec_lo
                                        ; implicit-def: $sgpr15
	v_cmpx_eq_u16_e64 0x80, v160
; %bb.3171:                             ;   in Loop: Header=BB2_2491 Depth=3
	s_mov_b32 s15, 0x7f800001
	s_xor_b32 s14, exec_lo, -1
; %bb.3172:                             ;   in Loop: Header=BB2_2491 Depth=3
	s_or_b32 exec_lo, exec_lo, s35
	s_delay_alu instid0(SALU_CYCLE_1)
	s_and_b32 s14, s14, exec_lo
	s_or_saveexec_b32 s34, s34
	v_mov_b32_e32 v163, s15
	s_xor_b32 exec_lo, exec_lo, s34
	s_cbranch_execz .LBB2_2875
.LBB2_3173:                             ;   in Loop: Header=BB2_2491 Depth=3
	v_cmp_ne_u16_e64 vcc_lo, 0, v160
	v_mov_b32_e32 v163, 0
	s_and_not1_b32 s14, s14, exec_lo
	s_delay_alu instid0(VALU_DEP_2) | instskip(NEXT) | instid1(SALU_CYCLE_1)
	s_and_b32 s15, vcc_lo, exec_lo
	s_or_b32 s14, s14, s15
	s_or_b32 exec_lo, exec_lo, s34
	s_and_saveexec_b32 s15, s14
	s_cbranch_execnz .LBB2_2876
	s_branch .LBB2_2877
.LBB2_3174:                             ;   in Loop: Header=BB2_2491 Depth=3
	s_mov_b32 s14, -1
	s_mov_b32 s35, exec_lo
                                        ; implicit-def: $sgpr15
	v_cmpx_eq_u16_e64 0x80, v161
; %bb.3175:                             ;   in Loop: Header=BB2_2491 Depth=3
	s_mov_b32 s15, 0x7f800001
	s_xor_b32 s14, exec_lo, -1
; %bb.3176:                             ;   in Loop: Header=BB2_2491 Depth=3
	s_or_b32 exec_lo, exec_lo, s35
	s_delay_alu instid0(SALU_CYCLE_1)
	s_and_b32 s14, s14, exec_lo
	s_or_saveexec_b32 s34, s34
	v_mov_b32_e32 v162, s15
	s_xor_b32 exec_lo, exec_lo, s34
	s_cbranch_execz .LBB2_2882
.LBB2_3177:                             ;   in Loop: Header=BB2_2491 Depth=3
	v_cmp_ne_u16_e64 vcc_lo, 0, v161
	v_mov_b32_e32 v162, 0
	s_and_not1_b32 s14, s14, exec_lo
	s_delay_alu instid0(VALU_DEP_2) | instskip(NEXT) | instid1(SALU_CYCLE_1)
	s_and_b32 s15, vcc_lo, exec_lo
	s_or_b32 s14, s14, s15
	s_or_b32 exec_lo, exec_lo, s34
	s_and_saveexec_b32 s15, s14
	s_cbranch_execnz .LBB2_2883
	s_branch .LBB2_2884
.LBB2_3178:                             ;   in Loop: Header=BB2_2491 Depth=3
	s_mov_b32 s14, -1
	s_mov_b32 s35, exec_lo
                                        ; implicit-def: $sgpr15
	v_cmpx_eq_u16_e64 0x80, v160
; %bb.3179:                             ;   in Loop: Header=BB2_2491 Depth=3
	s_mov_b32 s15, 0x7f800001
	s_xor_b32 s14, exec_lo, -1
; %bb.3180:                             ;   in Loop: Header=BB2_2491 Depth=3
	s_or_b32 exec_lo, exec_lo, s35
	s_delay_alu instid0(SALU_CYCLE_1)
	s_and_b32 s14, s14, exec_lo
	s_or_saveexec_b32 s34, s34
	v_mov_b32_e32 v161, s15
	s_xor_b32 exec_lo, exec_lo, s34
	s_cbranch_execz .LBB2_2886
.LBB2_3181:                             ;   in Loop: Header=BB2_2491 Depth=3
	v_cmp_ne_u16_e64 vcc_lo, 0, v160
	v_mov_b32_e32 v161, 0
	s_and_not1_b32 s14, s14, exec_lo
	s_delay_alu instid0(VALU_DEP_2) | instskip(NEXT) | instid1(SALU_CYCLE_1)
	s_and_b32 s15, vcc_lo, exec_lo
	s_or_b32 s14, s14, s15
	s_or_b32 exec_lo, exec_lo, s34
	s_and_saveexec_b32 s15, s14
	s_cbranch_execnz .LBB2_2887
	s_branch .LBB2_2888
.LBB2_3182:                             ;   in Loop: Header=BB2_2491 Depth=3
	s_mov_b32 s15, -1
	s_mov_b32 s35, exec_lo
                                        ; implicit-def: $sgpr34
	v_cmpx_eq_u16_e64 0x80, v163
; %bb.3183:                             ;   in Loop: Header=BB2_2491 Depth=3
	s_mov_b32 s34, 0x7f800001
	s_xor_b32 s15, exec_lo, -1
; %bb.3184:                             ;   in Loop: Header=BB2_2491 Depth=3
	s_or_b32 exec_lo, exec_lo, s35
	s_delay_alu instid0(SALU_CYCLE_1)
	s_and_b32 s15, s15, exec_lo
	s_or_saveexec_b32 s14, s14
	v_mov_b32_e32 v164, s34
	s_xor_b32 exec_lo, exec_lo, s14
	s_cbranch_execz .LBB2_2900
.LBB2_3185:                             ;   in Loop: Header=BB2_2491 Depth=3
	v_cmp_ne_u16_e64 vcc_lo, 0, v163
	v_mov_b32_e32 v164, 0
	s_and_not1_b32 s15, s15, exec_lo
	s_delay_alu instid0(VALU_DEP_2) | instskip(NEXT) | instid1(SALU_CYCLE_1)
	s_and_b32 vcc_lo, vcc_lo, exec_lo
	s_or_b32 s15, s15, vcc_lo
	s_or_b32 exec_lo, exec_lo, s14
	s_and_saveexec_b32 s14, s15
	s_cbranch_execnz .LBB2_2901
	s_branch .LBB2_2902
.LBB2_3186:                             ;   in Loop: Header=BB2_2491 Depth=3
	s_mov_b32 s14, -1
	s_mov_b32 s35, exec_lo
                                        ; implicit-def: $sgpr15
	v_cmpx_eq_u16_e64 0x80, v166
; %bb.3187:                             ;   in Loop: Header=BB2_2491 Depth=3
	s_mov_b32 s15, 0x7f800001
	s_xor_b32 s14, exec_lo, -1
; %bb.3188:                             ;   in Loop: Header=BB2_2491 Depth=3
	s_or_b32 exec_lo, exec_lo, s35
	s_delay_alu instid0(SALU_CYCLE_1)
	s_and_b32 s14, s14, exec_lo
                                        ; implicit-def: $vgpr166
	s_or_saveexec_b32 s34, s34
	v_mov_b32_e32 v165, s15
	s_xor_b32 exec_lo, exec_lo, s34
	s_cbranch_execz .LBB2_2904
.LBB2_3189:                             ;   in Loop: Header=BB2_2491 Depth=3
	v_cmp_ne_u16_e64 vcc_lo, 0, v166
	v_mov_b32_e32 v165, 0
	s_and_not1_b32 s14, s14, exec_lo
	s_delay_alu instid0(VALU_DEP_2) | instskip(NEXT) | instid1(SALU_CYCLE_1)
	s_and_b32 s15, vcc_lo, exec_lo
	s_or_b32 s14, s14, s15
	s_or_b32 exec_lo, exec_lo, s34
	s_and_saveexec_b32 s15, s14
	s_cbranch_execnz .LBB2_2905
	s_branch .LBB2_2906
.LBB2_3190:                             ;   in Loop: Header=BB2_2491 Depth=3
	s_mov_b32 s14, -1
	s_mov_b32 s35, exec_lo
                                        ; implicit-def: $sgpr15
	v_cmpx_eq_u16_e64 0x80, v163
; %bb.3191:                             ;   in Loop: Header=BB2_2491 Depth=3
	s_mov_b32 s15, 0x7f800001
	s_xor_b32 s14, exec_lo, -1
; %bb.3192:                             ;   in Loop: Header=BB2_2491 Depth=3
	s_or_b32 exec_lo, exec_lo, s35
	s_delay_alu instid0(SALU_CYCLE_1)
	s_and_b32 s14, s14, exec_lo
                                        ; implicit-def: $vgpr163
	s_or_saveexec_b32 s34, s34
	v_mov_b32_e32 v164, s15
	s_xor_b32 exec_lo, exec_lo, s34
	s_cbranch_execz .LBB2_2911
.LBB2_3193:                             ;   in Loop: Header=BB2_2491 Depth=3
	v_cmp_ne_u16_e64 vcc_lo, 0, v163
	v_mov_b32_e32 v164, 0
	s_and_not1_b32 s14, s14, exec_lo
	s_delay_alu instid0(VALU_DEP_2) | instskip(NEXT) | instid1(SALU_CYCLE_1)
	s_and_b32 s15, vcc_lo, exec_lo
	s_or_b32 s14, s14, s15
	s_or_b32 exec_lo, exec_lo, s34
	s_and_saveexec_b32 s15, s14
	s_cbranch_execnz .LBB2_2912
	s_branch .LBB2_2913
.LBB2_3194:                             ;   in Loop: Header=BB2_2491 Depth=3
	s_mov_b32 s14, -1
	s_mov_b32 s35, exec_lo
                                        ; implicit-def: $sgpr15
	v_cmpx_eq_u16_e64 0x80, v163
; %bb.3195:                             ;   in Loop: Header=BB2_2491 Depth=3
	s_mov_b32 s15, 0x7f800001
	s_xor_b32 s14, exec_lo, -1
; %bb.3196:                             ;   in Loop: Header=BB2_2491 Depth=3
	s_or_b32 exec_lo, exec_lo, s35
	s_delay_alu instid0(SALU_CYCLE_1)
	s_and_b32 s14, s14, exec_lo
                                        ; implicit-def: $vgpr163
	s_or_saveexec_b32 s34, s34
	v_mov_b32_e32 v162, s15
	s_xor_b32 exec_lo, exec_lo, s34
	s_cbranch_execz .LBB2_2915
.LBB2_3197:                             ;   in Loop: Header=BB2_2491 Depth=3
	v_cmp_ne_u16_e64 vcc_lo, 0, v163
	v_mov_b32_e32 v162, 0
	s_and_not1_b32 s14, s14, exec_lo
	s_delay_alu instid0(VALU_DEP_2) | instskip(NEXT) | instid1(SALU_CYCLE_1)
	s_and_b32 s15, vcc_lo, exec_lo
	s_or_b32 s14, s14, s15
	s_or_b32 exec_lo, exec_lo, s34
	s_and_saveexec_b32 s15, s14
	s_cbranch_execnz .LBB2_2916
	s_branch .LBB2_2917
.LBB2_3198:                             ;   in Loop: Header=BB2_2491 Depth=3
	s_mov_b32 s15, -1
	s_mov_b32 s35, exec_lo
                                        ; implicit-def: $sgpr34
	v_cmpx_eq_u16_e64 0x80, v163
; %bb.3199:                             ;   in Loop: Header=BB2_2491 Depth=3
	s_mov_b32 s34, 0x7f800001
	s_xor_b32 s15, exec_lo, -1
; %bb.3200:                             ;   in Loop: Header=BB2_2491 Depth=3
	s_or_b32 exec_lo, exec_lo, s35
	s_delay_alu instid0(SALU_CYCLE_1)
	s_and_b32 s15, s15, exec_lo
	s_or_saveexec_b32 s14, s14
	v_mov_b32_e32 v164, s34
	s_xor_b32 exec_lo, exec_lo, s14
	s_cbranch_execz .LBB2_2929
.LBB2_3201:                             ;   in Loop: Header=BB2_2491 Depth=3
	v_cmp_ne_u16_e64 vcc_lo, 0, v163
	v_mov_b32_e32 v164, 0
	s_and_not1_b32 s15, s15, exec_lo
	s_delay_alu instid0(VALU_DEP_2) | instskip(NEXT) | instid1(SALU_CYCLE_1)
	s_and_b32 vcc_lo, vcc_lo, exec_lo
	s_or_b32 s15, s15, vcc_lo
	s_or_b32 exec_lo, exec_lo, s14
	s_and_saveexec_b32 s14, s15
	s_cbranch_execnz .LBB2_2930
	s_branch .LBB2_2931
.LBB2_3202:                             ;   in Loop: Header=BB2_2491 Depth=3
	s_mov_b32 s14, -1
	s_mov_b32 s35, exec_lo
                                        ; implicit-def: $sgpr15
	v_cmpx_eq_u16_e64 0x80, v162
; %bb.3203:                             ;   in Loop: Header=BB2_2491 Depth=3
	s_mov_b32 s15, 0x7f800001
	s_xor_b32 s14, exec_lo, -1
; %bb.3204:                             ;   in Loop: Header=BB2_2491 Depth=3
	s_or_b32 exec_lo, exec_lo, s35
	s_delay_alu instid0(SALU_CYCLE_1)
	s_and_b32 s14, s14, exec_lo
	s_or_saveexec_b32 s34, s34
	v_mov_b32_e32 v165, s15
	s_xor_b32 exec_lo, exec_lo, s34
	s_cbranch_execz .LBB2_2933
.LBB2_3205:                             ;   in Loop: Header=BB2_2491 Depth=3
	v_cmp_ne_u16_e64 vcc_lo, 0, v162
	v_mov_b32_e32 v165, 0
	s_and_not1_b32 s14, s14, exec_lo
	s_delay_alu instid0(VALU_DEP_2) | instskip(NEXT) | instid1(SALU_CYCLE_1)
	s_and_b32 s15, vcc_lo, exec_lo
	s_or_b32 s14, s14, s15
	s_or_b32 exec_lo, exec_lo, s34
	s_and_saveexec_b32 s15, s14
	s_cbranch_execnz .LBB2_2934
	s_branch .LBB2_2935
.LBB2_3206:                             ;   in Loop: Header=BB2_2491 Depth=3
	s_mov_b32 s14, -1
	s_mov_b32 s35, exec_lo
                                        ; implicit-def: $sgpr15
	v_cmpx_eq_u16_e64 0x80, v163
; %bb.3207:                             ;   in Loop: Header=BB2_2491 Depth=3
	s_mov_b32 s15, 0x7f800001
	s_xor_b32 s14, exec_lo, -1
; %bb.3208:                             ;   in Loop: Header=BB2_2491 Depth=3
	s_or_b32 exec_lo, exec_lo, s35
	s_delay_alu instid0(SALU_CYCLE_1)
	s_and_b32 s14, s14, exec_lo
	s_or_saveexec_b32 s34, s34
	v_mov_b32_e32 v164, s15
	s_xor_b32 exec_lo, exec_lo, s34
	s_cbranch_execz .LBB2_2940
.LBB2_3209:                             ;   in Loop: Header=BB2_2491 Depth=3
	v_cmp_ne_u16_e64 vcc_lo, 0, v163
	v_mov_b32_e32 v164, 0
	s_and_not1_b32 s14, s14, exec_lo
	s_delay_alu instid0(VALU_DEP_2) | instskip(NEXT) | instid1(SALU_CYCLE_1)
	s_and_b32 s15, vcc_lo, exec_lo
	s_or_b32 s14, s14, s15
	s_or_b32 exec_lo, exec_lo, s34
	s_and_saveexec_b32 s15, s14
	s_cbranch_execnz .LBB2_2941
	s_branch .LBB2_2942
.LBB2_3210:                             ;   in Loop: Header=BB2_2491 Depth=3
	s_mov_b32 s14, -1
	s_mov_b32 s35, exec_lo
                                        ; implicit-def: $sgpr15
	v_cmpx_eq_u16_e64 0x80, v162
; %bb.3211:                             ;   in Loop: Header=BB2_2491 Depth=3
	s_mov_b32 s15, 0x7f800001
	s_xor_b32 s14, exec_lo, -1
; %bb.3212:                             ;   in Loop: Header=BB2_2491 Depth=3
	s_or_b32 exec_lo, exec_lo, s35
	s_delay_alu instid0(SALU_CYCLE_1)
	s_and_b32 s14, s14, exec_lo
	s_or_saveexec_b32 s34, s34
	v_mov_b32_e32 v15, s15
	s_xor_b32 exec_lo, exec_lo, s34
	s_cbranch_execz .LBB2_2944
.LBB2_3213:                             ;   in Loop: Header=BB2_2491 Depth=3
	v_cmp_ne_u16_e64 vcc_lo, 0, v162
	v_mov_b32_e32 v15, 0
	s_and_not1_b32 s14, s14, exec_lo
	s_delay_alu instid0(VALU_DEP_2) | instskip(NEXT) | instid1(SALU_CYCLE_1)
	s_and_b32 s15, vcc_lo, exec_lo
	s_or_b32 s14, s14, s15
	s_or_b32 exec_lo, exec_lo, s34
	s_and_saveexec_b32 s15, s14
	s_cbranch_execnz .LBB2_2945
	s_branch .LBB2_2946
.LBB2_3214:                             ;   in Loop: Header=BB2_2404 Depth=2
	s_mov_b32 s13, -1
	s_branch .LBB2_4368
.LBB2_3215:                             ;   in Loop: Header=BB2_2404 Depth=2
	s_or_b32 exec_lo, exec_lo, s17
.LBB2_3216:                             ;   in Loop: Header=BB2_2404 Depth=2
	s_delay_alu instid0(SALU_CYCLE_1) | instskip(SKIP_3) | instid1(VALU_DEP_1)
	s_or_b32 exec_lo, exec_lo, s16
	v_dual_mov_b32 v64, 0 :: v_dual_and_b32 v9, 15, v55
	s_mov_b32 s14, 0
	s_mov_b32 s16, exec_lo
                                        ; implicit-def: $vgpr65
                                        ; implicit-def: $vgpr66
                                        ; implicit-def: $vgpr8
	v_cndmask_b32_e64 v134, v135, v9, s13
	s_delay_alu instid0(VALU_DEP_1)
	v_cmpx_ne_u32_e32 0, v134
	s_cbranch_execz .LBB2_3947
; %bb.3217:                             ;   in Loop: Header=BB2_2404 Depth=2
	v_cmp_lt_i32_e32 vcc_lo, 0, v144
	v_ashrrev_i32_e32 v11, 31, v134
	v_sub_nc_u32_e32 v9, v135, v9
	s_mov_b32 s17, exec_lo
	v_cndmask_b32_e32 v8, 0, v83, vcc_lo
	s_delay_alu instid0(VALU_DEP_3) | instskip(NEXT) | instid1(VALU_DEP_3)
	v_lshrrev_b32_e32 v11, 23, v11
	v_cndmask_b32_e64 v9, 0, v9, s13
	s_delay_alu instid0(VALU_DEP_3) | instskip(NEXT) | instid1(VALU_DEP_3)
	v_sub_nc_u32_e32 v8, v8, v144
	v_add_nc_u32_e32 v11, v134, v11
	s_delay_alu instid0(VALU_DEP_3) | instskip(NEXT) | instid1(VALU_DEP_3)
	v_add_nc_u32_e32 v2, v9, v2
	v_lshl_add_u32 v8, v8, 5, v85
	s_delay_alu instid0(VALU_DEP_3) | instskip(SKIP_1) | instid1(VALU_DEP_3)
	v_and_b32_e32 v144, 0xfffffe00, v11
	v_ashrrev_i32_e32 v11, 9, v11
	v_ashrrev_i32_e32 v10, 31, v8
	s_delay_alu instid0(VALU_DEP_3) | instskip(NEXT) | instid1(VALU_DEP_2)
	v_sub_nc_u32_e32 v135, v134, v144
	v_lshrrev_b32_e32 v10, 27, v10
	s_delay_alu instid0(VALU_DEP_2) | instskip(NEXT) | instid1(VALU_DEP_2)
	v_cmp_lt_i32_e64 s13, 15, v135
	v_add_nc_u32_e32 v10, v8, v10
	s_delay_alu instid0(VALU_DEP_2) | instskip(NEXT) | instid1(VALU_DEP_2)
	v_add_co_ci_u32_e64 v11, vcc_lo, 0, v11, s13
	v_and_b32_e32 v12, 0xffffffe0, v10
	v_ashrrev_i32_e32 v10, 5, v10
	s_delay_alu instid0(VALU_DEP_2) | instskip(NEXT) | instid1(VALU_DEP_2)
	v_sub_nc_u32_e32 v145, v8, v12
	v_sub_nc_u32_e32 v146, v11, v10
	s_delay_alu instid0(VALU_DEP_2) | instskip(NEXT) | instid1(VALU_DEP_1)
	v_lshlrev_b32_e32 v8, 4, v145
	v_lshl_add_u32 v8, v10, 9, v8
	s_delay_alu instid0(VALU_DEP_1) | instskip(NEXT) | instid1(VALU_DEP_1)
	v_sub_nc_u32_e32 v147, v134, v8
	v_cmpx_lt_i32_e32 15, v147
	s_cbranch_execz .LBB2_3944
; %bb.3218:                             ;   in Loop: Header=BB2_2404 Depth=2
	s_cbranch_execz .LBB2_3219
; %bb.7724:
	s_getpc_b64 s[48:49]
.Lpost_getpc126:
	s_add_u32 s48, s48, (.LBB2_7356-.Lpost_getpc126)&4294967295
	s_addc_u32 s49, s49, (.LBB2_7356-.Lpost_getpc126)>>32
	s_setpc_b64 s[48:49]
.LBB2_3219:                             ;   in Loop: Header=BB2_2404 Depth=2
	ds_load_b128 v[9:12], v0
	v_add_nc_u32_e32 v8, v8, v2
	s_bitcmp1_b32 s30, 0
	s_mov_b32 s31, 0
	s_cselect_b32 s34, -1, 0
	s_delay_alu instid0(VALU_DEP_1) | instskip(SKIP_2) | instid1(VALU_DEP_2)
	v_ashrrev_i32_e32 v13, 31, v8
	s_waitcnt lgkmcnt(0)
	v_add_co_u32 v64, vcc_lo, v9, v8
	v_add_co_ci_u32_e32 v65, vcc_lo, v10, v13, vcc_lo
	s_delay_alu instid0(VALU_DEP_1) | instskip(SKIP_2) | instid1(VALU_DEP_1)
	v_mov_b32_e32 v69, v65
	v_add_co_u32 v66, vcc_lo, v11, v8
	v_add_co_ci_u32_e32 v67, vcc_lo, v12, v13, vcc_lo
	v_dual_mov_b32 v68, v64 :: v_dual_mov_b32 v71, v67
	s_delay_alu instid0(VALU_DEP_3)
	v_mov_b32_e32 v70, v66
.LBB2_3220:                             ;   Parent Loop BB2_51 Depth=1
                                        ;     Parent Loop BB2_2404 Depth=2
                                        ; =>    This Loop Header: Depth=3
                                        ;         Child Loop BB2_3685 Depth 4
	global_load_b128 v[12:15], v[68:69], off slc dlc
	global_load_b128 v[8:11], v[70:71], off slc dlc
	s_and_b32 vcc_lo, exec_lo, s34
	s_waitcnt vmcnt(1)
	v_and_b32_e32 v148, 0xff, v12
	s_delay_alu instid0(VALU_DEP_1)
	v_cmp_lt_i16_e64 s14, 0x7f, v148
	s_cbranch_vccz .LBB2_3230
; %bb.3221:                             ;   in Loop: Header=BB2_3220 Depth=3
	s_mov_b32 s15, 0
                                        ; implicit-def: $sgpr35
	s_delay_alu instid0(VALU_DEP_1) | instskip(NEXT) | instid1(SALU_CYCLE_1)
	s_and_saveexec_b32 vcc_lo, s14
	s_xor_b32 s14, exec_lo, vcc_lo
	s_cbranch_execnz .LBB2_3687
; %bb.3222:                             ;   in Loop: Header=BB2_3220 Depth=3
	s_or_saveexec_b32 s14, s14
	v_mov_b32_e32 v149, s35
	s_xor_b32 exec_lo, exec_lo, s14
	s_cbranch_execnz .LBB2_3690
.LBB2_3223:                             ;   in Loop: Header=BB2_3220 Depth=3
	s_or_b32 exec_lo, exec_lo, s14
	s_and_saveexec_b32 s14, s15
	s_cbranch_execz .LBB2_3225
.LBB2_3224:                             ;   in Loop: Header=BB2_3220 Depth=3
	v_bfe_u32 v160, v12, 3, 4
	v_lshlrev_b32_e32 v161, 24, v12
	s_delay_alu instid0(VALU_DEP_2) | instskip(SKIP_1) | instid1(VALU_DEP_1)
	v_cmp_eq_u32_e32 vcc_lo, 0, v160
	v_and_b32_e32 v149, 7, v12
	v_clz_i32_u32_e32 v150, v149
	s_delay_alu instid0(VALU_DEP_1) | instskip(NEXT) | instid1(VALU_DEP_1)
	v_min_u32_e32 v150, 32, v150
	v_subrev_nc_u32_e32 v151, 28, v150
	v_sub_nc_u32_e32 v150, 29, v150
	s_delay_alu instid0(VALU_DEP_1) | instskip(NEXT) | instid1(VALU_DEP_1)
	v_dual_cndmask_b32 v150, v160, v150 :: v_dual_lshlrev_b32 v151, v151, v12
	v_and_b32_e32 v151, 7, v151
	s_delay_alu instid0(VALU_DEP_2) | instskip(NEXT) | instid1(VALU_DEP_2)
	v_lshl_add_u32 v150, v150, 23, 0x3b800000
	v_cndmask_b32_e32 v149, v149, v151, vcc_lo
	v_and_b32_e32 v151, 0x80000000, v161
	s_delay_alu instid0(VALU_DEP_2) | instskip(NEXT) | instid1(VALU_DEP_1)
	v_lshlrev_b32_e32 v149, 20, v149
	v_or3_b32 v149, v151, v150, v149
.LBB2_3225:                             ;   in Loop: Header=BB2_3220 Depth=3
	s_or_b32 exec_lo, exec_lo, s14
	s_waitcnt vmcnt(0)
	v_and_b32_e32 v151, 0xff, v8
	s_mov_b32 s14, 0
	s_mov_b32 s35, exec_lo
                                        ; implicit-def: $sgpr15
	s_delay_alu instid0(VALU_DEP_1)
	v_cmpx_lt_i16_e64 0x7f, v151
	s_xor_b32 s35, exec_lo, s35
	s_cbranch_execnz .LBB2_3691
; %bb.3226:                             ;   in Loop: Header=BB2_3220 Depth=3
	s_or_saveexec_b32 s35, s35
	v_mov_b32_e32 v150, s15
	s_xor_b32 exec_lo, exec_lo, s35
	s_cbranch_execnz .LBB2_3694
.LBB2_3227:                             ;   in Loop: Header=BB2_3220 Depth=3
	s_or_b32 exec_lo, exec_lo, s35
	s_and_saveexec_b32 s15, s14
	s_cbranch_execz .LBB2_3229
.LBB2_3228:                             ;   in Loop: Header=BB2_3220 Depth=3
	v_bfe_u32 v161, v8, 3, 4
	v_lshlrev_b32_e32 v162, 24, v8
	s_delay_alu instid0(VALU_DEP_2) | instskip(SKIP_1) | instid1(VALU_DEP_1)
	v_cmp_eq_u32_e32 vcc_lo, 0, v161
	v_and_b32_e32 v150, 7, v8
	v_clz_i32_u32_e32 v151, v150
	s_delay_alu instid0(VALU_DEP_1) | instskip(NEXT) | instid1(VALU_DEP_1)
	v_min_u32_e32 v151, 32, v151
	v_subrev_nc_u32_e32 v160, 28, v151
	v_sub_nc_u32_e32 v151, 29, v151
	s_delay_alu instid0(VALU_DEP_1) | instskip(NEXT) | instid1(VALU_DEP_1)
	v_dual_cndmask_b32 v151, v161, v151 :: v_dual_lshlrev_b32 v160, v160, v8
	v_and_b32_e32 v160, 7, v160
	s_delay_alu instid0(VALU_DEP_2) | instskip(NEXT) | instid1(VALU_DEP_2)
	v_lshl_add_u32 v151, v151, 23, 0x3b800000
	v_cndmask_b32_e32 v150, v150, v160, vcc_lo
	v_and_b32_e32 v160, 0x80000000, v162
	s_delay_alu instid0(VALU_DEP_2) | instskip(NEXT) | instid1(VALU_DEP_1)
	v_lshlrev_b32_e32 v150, 20, v150
	v_or3_b32 v150, v160, v151, v150
.LBB2_3229:                             ;   in Loop: Header=BB2_3220 Depth=3
	s_or_b32 exec_lo, exec_lo, s15
	s_delay_alu instid0(VALU_DEP_1) | instskip(SKIP_1) | instid1(VALU_DEP_1)
	v_dual_max_f32 v150, v150, v150 :: v_dual_max_f32 v149, v149, v149
	s_mov_b32 s14, 0
	v_max_f32_e32 v149, v149, v150
	s_branch .LBB2_3231
.LBB2_3230:                             ;   in Loop: Header=BB2_3220 Depth=3
	s_mov_b32 s14, -1
                                        ; implicit-def: $vgpr149
.LBB2_3231:                             ;   in Loop: Header=BB2_3220 Depth=3
	s_delay_alu instid0(SALU_CYCLE_1)
	s_and_b32 vcc_lo, exec_lo, s14
	s_cbranch_vccz .LBB2_3241
; %bb.3232:                             ;   in Loop: Header=BB2_3220 Depth=3
	s_mov_b32 s14, 0
	s_mov_b32 s35, exec_lo
                                        ; implicit-def: $sgpr15
	v_cmpx_lt_i16_e64 0x7f, v148
	s_xor_b32 s35, exec_lo, s35
	s_cbranch_execnz .LBB2_3695
; %bb.3233:                             ;   in Loop: Header=BB2_3220 Depth=3
	s_or_saveexec_b32 s35, s35
	v_mov_b32_e32 v149, s15
	s_xor_b32 exec_lo, exec_lo, s35
	s_cbranch_execnz .LBB2_3698
.LBB2_3234:                             ;   in Loop: Header=BB2_3220 Depth=3
	s_or_b32 exec_lo, exec_lo, s35
	s_and_saveexec_b32 s15, s14
	s_cbranch_execz .LBB2_3236
.LBB2_3235:                             ;   in Loop: Header=BB2_3220 Depth=3
	v_bfe_u32 v151, v12, 3, 4
	v_lshlrev_b32_e32 v160, 24, v12
	s_delay_alu instid0(VALU_DEP_2) | instskip(SKIP_1) | instid1(VALU_DEP_1)
	v_cmp_eq_u32_e32 vcc_lo, 0, v151
	v_and_b32_e32 v148, 7, v12
	v_clz_i32_u32_e32 v149, v148
	s_delay_alu instid0(VALU_DEP_1) | instskip(NEXT) | instid1(VALU_DEP_1)
	v_min_u32_e32 v149, 32, v149
	v_subrev_nc_u32_e32 v150, 28, v149
	v_sub_nc_u32_e32 v149, 29, v149
	s_delay_alu instid0(VALU_DEP_1) | instskip(NEXT) | instid1(VALU_DEP_1)
	v_dual_cndmask_b32 v149, v151, v149 :: v_dual_lshlrev_b32 v150, v150, v12
	v_and_b32_e32 v150, 7, v150
	s_delay_alu instid0(VALU_DEP_2) | instskip(NEXT) | instid1(VALU_DEP_2)
	v_lshl_add_u32 v149, v149, 23, 0x3b800000
	v_cndmask_b32_e32 v148, v148, v150, vcc_lo
	v_and_b32_e32 v150, 0x80000000, v160
	s_delay_alu instid0(VALU_DEP_2) | instskip(NEXT) | instid1(VALU_DEP_1)
	v_lshlrev_b32_e32 v148, 20, v148
	v_or3_b32 v149, v150, v149, v148
.LBB2_3236:                             ;   in Loop: Header=BB2_3220 Depth=3
	s_or_b32 exec_lo, exec_lo, s15
	s_waitcnt vmcnt(0)
	v_and_b32_e32 v150, 0xff, v8
	s_mov_b32 s14, 0
	s_mov_b32 s35, exec_lo
                                        ; implicit-def: $sgpr15
	s_delay_alu instid0(VALU_DEP_1)
	v_cmpx_lt_i16_e64 0x7f, v150
	s_xor_b32 s35, exec_lo, s35
	s_cbranch_execnz .LBB2_3699
; %bb.3237:                             ;   in Loop: Header=BB2_3220 Depth=3
	s_or_saveexec_b32 s35, s35
	v_mov_b32_e32 v148, s15
	s_xor_b32 exec_lo, exec_lo, s35
	s_cbranch_execnz .LBB2_3702
.LBB2_3238:                             ;   in Loop: Header=BB2_3220 Depth=3
	s_or_b32 exec_lo, exec_lo, s35
	s_and_saveexec_b32 s15, s14
	s_cbranch_execz .LBB2_3240
.LBB2_3239:                             ;   in Loop: Header=BB2_3220 Depth=3
	v_and_b32_e32 v148, 7, v8
	v_bfe_u32 v160, v8, 3, 4
	s_delay_alu instid0(VALU_DEP_2) | instskip(NEXT) | instid1(VALU_DEP_2)
	v_clz_i32_u32_e32 v150, v148
	v_cmp_eq_u32_e32 vcc_lo, 0, v160
	s_delay_alu instid0(VALU_DEP_2) | instskip(NEXT) | instid1(VALU_DEP_1)
	v_min_u32_e32 v150, 32, v150
	v_subrev_nc_u32_e32 v151, 28, v150
	v_sub_nc_u32_e32 v150, 29, v150
	s_delay_alu instid0(VALU_DEP_1) | instskip(NEXT) | instid1(VALU_DEP_1)
	v_dual_cndmask_b32 v150, v160, v150 :: v_dual_lshlrev_b32 v151, v151, v8
	v_and_b32_e32 v151, 7, v151
	v_lshlrev_b32_e32 v161, 24, v8
	s_delay_alu instid0(VALU_DEP_3) | instskip(NEXT) | instid1(VALU_DEP_2)
	v_lshl_add_u32 v150, v150, 23, 0x3b800000
	v_dual_cndmask_b32 v148, v148, v151 :: v_dual_and_b32 v151, 0x80000000, v161
	s_delay_alu instid0(VALU_DEP_1) | instskip(NEXT) | instid1(VALU_DEP_1)
	v_lshlrev_b32_e32 v148, 20, v148
	v_or3_b32 v148, v151, v150, v148
.LBB2_3240:                             ;   in Loop: Header=BB2_3220 Depth=3
	s_or_b32 exec_lo, exec_lo, s15
	s_delay_alu instid0(VALU_DEP_1) | instskip(NEXT) | instid1(VALU_DEP_1)
	v_dual_max_f32 v148, v148, v148 :: v_dual_max_f32 v149, v149, v149
	v_min_f32_e32 v149, v149, v148
.LBB2_3241:                             ;   in Loop: Header=BB2_3220 Depth=3
	s_delay_alu instid0(VALU_DEP_1) | instskip(NEXT) | instid1(VALU_DEP_1)
	v_and_b32_e32 v148, 0x7f800000, v149
	v_cmp_ne_u32_e32 vcc_lo, 0x7f800000, v148
	v_mov_b32_e32 v148, 0x80
	s_and_saveexec_b32 s15, vcc_lo
	s_cbranch_execz .LBB2_3249
; %bb.3242:                             ;   in Loop: Header=BB2_3220 Depth=3
	v_mov_b32_e32 v148, 0
	s_mov_b32 s35, exec_lo
	v_cmpx_ne_u32_e32 0, v149
	s_cbranch_execz .LBB2_3248
; %bb.3243:                             ;   in Loop: Header=BB2_3220 Depth=3
	v_bfe_u32 v148, v149, 23, 8
	s_delay_alu instid0(VALU_DEP_1) | instskip(SKIP_1) | instid1(VALU_DEP_2)
	v_sub_nc_u32_e32 v151, 0x78, v148
	v_cmp_gt_u32_e32 vcc_lo, 0x79, v148
	v_dual_cndmask_b32 v151, 0, v151 :: v_dual_and_b32 v150, 0x7fffff, v149
	s_delay_alu instid0(VALU_DEP_1) | instskip(SKIP_2) | instid1(VALU_DEP_4)
	v_or_b32_e32 v160, 0x800000, v150
	v_cmp_eq_u32_e32 vcc_lo, 0, v148
	v_add_nc_u32_e32 v148, 0xffffff89, v148
	v_cndmask_b32_e64 v151, v151, 0x77, vcc_lo
	s_delay_alu instid0(VALU_DEP_2) | instskip(SKIP_1) | instid1(VALU_DEP_3)
	v_cndmask_b32_e64 v148, v148, 0xffffff8a, vcc_lo
	v_cndmask_b32_e32 v150, v160, v150, vcc_lo
	v_lshl_add_u32 v160, 0x100000, v151, -1
	v_lshlrev_b32_e64 v163, v151, 0x80000
	s_delay_alu instid0(VALU_DEP_3) | instskip(SKIP_1) | instid1(VALU_DEP_4)
	v_lshrrev_b32_e32 v161, v151, v150
	v_add_nc_u32_e32 v151, v151, v148
	v_and_b32_e32 v150, v160, v150
	s_delay_alu instid0(VALU_DEP_3) | instskip(NEXT) | instid1(VALU_DEP_2)
	v_bfe_u32 v162, v161, 20, 1
	v_cmp_eq_u32_e64 s14, v150, v163
	s_delay_alu instid0(VALU_DEP_2) | instskip(NEXT) | instid1(VALU_DEP_1)
	v_add_nc_u32_e32 v160, -1, v162
	v_cndmask_b32_e64 v150, 0, v160, s14
	v_lshrrev_b32_e32 v160, 23, v161
	s_mov_b32 s14, exec_lo
	s_delay_alu instid0(VALU_DEP_2) | instskip(NEXT) | instid1(VALU_DEP_2)
	v_add_nc_u32_e32 v150, v150, v161
	v_xor_b32_e32 v160, 1, v160
	s_delay_alu instid0(VALU_DEP_2) | instskip(NEXT) | instid1(VALU_DEP_1)
	v_and_b32_e32 v148, 0xfffff, v150
	v_add_nc_u32_e32 v150, v148, v161
                                        ; implicit-def: $vgpr148
	s_delay_alu instid0(VALU_DEP_3)
	v_cmpx_ne_u32_e64 v151, v160
	s_xor_b32 s14, exec_lo, s14
; %bb.3244:                             ;   in Loop: Header=BB2_3220 Depth=3
	s_delay_alu instid0(VALU_DEP_2) | instskip(SKIP_2) | instid1(VALU_DEP_2)
	v_cmp_lt_u32_e32 vcc_lo, 0xffffff, v150
	v_sub_nc_u32_e32 v148, v151, v160
	v_cndmask_b32_e64 v151, 0, 1, vcc_lo
	v_add_co_ci_u32_e32 v148, vcc_lo, 0, v148, vcc_lo
	s_delay_alu instid0(VALU_DEP_2)
	v_lshrrev_b32_e32 v150, v151, v150
; %bb.3245:                             ;   in Loop: Header=BB2_3220 Depth=3
	s_and_not1_saveexec_b32 s14, s14
; %bb.3246:                             ;   in Loop: Header=BB2_3220 Depth=3
	s_delay_alu instid0(VALU_DEP_1)
	v_bfe_u32 v148, v150, 23, 1
; %bb.3247:                             ;   in Loop: Header=BB2_3220 Depth=3
	s_or_b32 exec_lo, exec_lo, s14
	v_lshrrev_b32_e32 v150, 20, v150
	s_delay_alu instid0(VALU_DEP_2) | instskip(SKIP_2) | instid1(VALU_DEP_2)
	v_cmp_gt_i32_e32 vcc_lo, 16, v148
	v_lshrrev_b32_e32 v149, 24, v149
	v_min_i32_e32 v151, 15, v148
	v_dual_cndmask_b32 v150, 7, v150 :: v_dual_and_b32 v149, 0x80, v149
	s_delay_alu instid0(VALU_DEP_1) | instskip(SKIP_1) | instid1(VALU_DEP_2)
	v_or_b32_e32 v148, v148, v150
	v_and_b32_e32 v160, 7, v150
	v_cmp_ne_u32_e32 vcc_lo, 0, v148
	v_lshlrev_b32_e32 v151, 3, v151
	s_delay_alu instid0(VALU_DEP_1) | instskip(NEXT) | instid1(VALU_DEP_1)
	v_or3_b32 v149, v151, v149, v160
	v_cndmask_b32_e32 v148, 0, v149, vcc_lo
.LBB2_3248:                             ;   in Loop: Header=BB2_3220 Depth=3
	s_or_b32 exec_lo, exec_lo, s35
.LBB2_3249:                             ;   in Loop: Header=BB2_3220 Depth=3
	s_delay_alu instid0(SALU_CYCLE_1) | instskip(SKIP_4) | instid1(VALU_DEP_2)
	s_or_b32 exec_lo, exec_lo, s15
	v_lshrrev_b16 v150, 8, v12
	s_waitcnt vmcnt(0)
	v_lshrrev_b16 v149, 8, v8
	s_and_b32 vcc_lo, exec_lo, s34
	v_cmp_lt_i16_e64 s14, 0x7f, v150
	s_cbranch_vccz .LBB2_3259
; %bb.3250:                             ;   in Loop: Header=BB2_3220 Depth=3
	s_mov_b32 s15, 0
                                        ; implicit-def: $sgpr35
	s_delay_alu instid0(VALU_DEP_1) | instskip(NEXT) | instid1(SALU_CYCLE_1)
	s_and_saveexec_b32 vcc_lo, s14
	s_xor_b32 s14, exec_lo, vcc_lo
	s_cbranch_execnz .LBB2_3703
; %bb.3251:                             ;   in Loop: Header=BB2_3220 Depth=3
	s_or_saveexec_b32 s14, s14
	v_mov_b32_e32 v151, s35
	s_xor_b32 exec_lo, exec_lo, s14
	s_cbranch_execnz .LBB2_3706
.LBB2_3252:                             ;   in Loop: Header=BB2_3220 Depth=3
	s_or_b32 exec_lo, exec_lo, s14
	s_and_saveexec_b32 s14, s15
	s_cbranch_execz .LBB2_3254
.LBB2_3253:                             ;   in Loop: Header=BB2_3220 Depth=3
	v_and_b32_e32 v151, 0xffff, v150
	s_delay_alu instid0(VALU_DEP_1) | instskip(NEXT) | instid1(VALU_DEP_1)
	v_and_b32_e32 v160, 7, v151
	v_clz_i32_u32_e32 v161, v160
	s_delay_alu instid0(VALU_DEP_1) | instskip(NEXT) | instid1(VALU_DEP_1)
	v_min_u32_e32 v161, 32, v161
	v_subrev_nc_u32_e32 v162, 28, v161
	v_sub_nc_u32_e32 v161, 29, v161
	s_delay_alu instid0(VALU_DEP_2) | instskip(SKIP_1) | instid1(VALU_DEP_2)
	v_lshlrev_b32_e32 v162, v162, v151
	v_bfe_u32 v151, v151, 3, 4
	v_and_b32_e32 v162, 7, v162
	s_delay_alu instid0(VALU_DEP_2) | instskip(SKIP_1) | instid1(VALU_DEP_3)
	v_cmp_eq_u32_e32 vcc_lo, 0, v151
	v_cndmask_b32_e32 v151, v151, v161, vcc_lo
	v_dual_cndmask_b32 v160, v160, v162 :: v_dual_lshlrev_b32 v163, 16, v12
	s_delay_alu instid0(VALU_DEP_2) | instskip(NEXT) | instid1(VALU_DEP_2)
	v_lshl_add_u32 v151, v151, 23, 0x3b800000
	v_and_b32_e32 v161, 0x80000000, v163
	s_delay_alu instid0(VALU_DEP_3) | instskip(NEXT) | instid1(VALU_DEP_1)
	v_lshlrev_b32_e32 v160, 20, v160
	v_or3_b32 v151, v161, v151, v160
.LBB2_3254:                             ;   in Loop: Header=BB2_3220 Depth=3
	s_or_b32 exec_lo, exec_lo, s14
	s_mov_b32 s14, 0
	s_mov_b32 s35, exec_lo
                                        ; implicit-def: $sgpr15
	v_cmpx_lt_i16_e64 0x7f, v149
	s_xor_b32 s35, exec_lo, s35
	s_cbranch_execnz .LBB2_3707
; %bb.3255:                             ;   in Loop: Header=BB2_3220 Depth=3
	s_or_saveexec_b32 s35, s35
	v_mov_b32_e32 v160, s15
	s_xor_b32 exec_lo, exec_lo, s35
	s_cbranch_execnz .LBB2_3710
.LBB2_3256:                             ;   in Loop: Header=BB2_3220 Depth=3
	s_or_b32 exec_lo, exec_lo, s35
	s_and_saveexec_b32 s15, s14
	s_cbranch_execz .LBB2_3258
.LBB2_3257:                             ;   in Loop: Header=BB2_3220 Depth=3
	v_and_b32_e32 v160, 0xffff, v149
	v_lshlrev_b32_e32 v164, 16, v8
	s_delay_alu instid0(VALU_DEP_2) | instskip(NEXT) | instid1(VALU_DEP_1)
	v_and_b32_e32 v161, 7, v160
	v_clz_i32_u32_e32 v162, v161
	s_delay_alu instid0(VALU_DEP_1) | instskip(NEXT) | instid1(VALU_DEP_1)
	v_min_u32_e32 v162, 32, v162
	v_subrev_nc_u32_e32 v163, 28, v162
	v_sub_nc_u32_e32 v162, 29, v162
	s_delay_alu instid0(VALU_DEP_2) | instskip(SKIP_1) | instid1(VALU_DEP_2)
	v_lshlrev_b32_e32 v163, v163, v160
	v_bfe_u32 v160, v160, 3, 4
	v_and_b32_e32 v163, 7, v163
	s_delay_alu instid0(VALU_DEP_2) | instskip(NEXT) | instid1(VALU_DEP_2)
	v_cmp_eq_u32_e32 vcc_lo, 0, v160
	v_dual_cndmask_b32 v160, v160, v162 :: v_dual_cndmask_b32 v161, v161, v163
	v_and_b32_e32 v162, 0x80000000, v164
	s_delay_alu instid0(VALU_DEP_2) | instskip(NEXT) | instid1(VALU_DEP_3)
	v_lshl_add_u32 v160, v160, 23, 0x3b800000
	v_lshlrev_b32_e32 v161, 20, v161
	s_delay_alu instid0(VALU_DEP_1)
	v_or3_b32 v160, v162, v160, v161
.LBB2_3258:                             ;   in Loop: Header=BB2_3220 Depth=3
	s_or_b32 exec_lo, exec_lo, s15
	s_delay_alu instid0(VALU_DEP_1) | instskip(SKIP_1) | instid1(VALU_DEP_1)
	v_dual_max_f32 v160, v160, v160 :: v_dual_max_f32 v151, v151, v151
	s_mov_b32 s14, 0
	v_max_f32_e32 v151, v151, v160
	s_branch .LBB2_3260
.LBB2_3259:                             ;   in Loop: Header=BB2_3220 Depth=3
	s_mov_b32 s14, -1
                                        ; implicit-def: $vgpr151
.LBB2_3260:                             ;   in Loop: Header=BB2_3220 Depth=3
	s_delay_alu instid0(SALU_CYCLE_1)
	s_and_b32 vcc_lo, exec_lo, s14
	s_cbranch_vccz .LBB2_3270
; %bb.3261:                             ;   in Loop: Header=BB2_3220 Depth=3
	s_mov_b32 s14, 0
	s_mov_b32 s35, exec_lo
                                        ; implicit-def: $sgpr15
	v_cmpx_lt_i16_e64 0x7f, v150
	s_xor_b32 s35, exec_lo, s35
	s_cbranch_execnz .LBB2_3711
; %bb.3262:                             ;   in Loop: Header=BB2_3220 Depth=3
	s_or_saveexec_b32 s35, s35
	v_mov_b32_e32 v151, s15
	s_xor_b32 exec_lo, exec_lo, s35
	s_cbranch_execnz .LBB2_3714
.LBB2_3263:                             ;   in Loop: Header=BB2_3220 Depth=3
	s_or_b32 exec_lo, exec_lo, s35
	s_and_saveexec_b32 s15, s14
	s_cbranch_execz .LBB2_3265
.LBB2_3264:                             ;   in Loop: Header=BB2_3220 Depth=3
	v_and_b32_e32 v150, 0xffff, v150
	v_lshlrev_b32_e32 v162, 16, v12
	s_delay_alu instid0(VALU_DEP_2) | instskip(NEXT) | instid1(VALU_DEP_1)
	v_and_b32_e32 v151, 7, v150
	v_clz_i32_u32_e32 v160, v151
	s_delay_alu instid0(VALU_DEP_1) | instskip(NEXT) | instid1(VALU_DEP_1)
	v_min_u32_e32 v160, 32, v160
	v_subrev_nc_u32_e32 v161, 28, v160
	v_sub_nc_u32_e32 v160, 29, v160
	s_delay_alu instid0(VALU_DEP_2) | instskip(SKIP_1) | instid1(VALU_DEP_2)
	v_lshlrev_b32_e32 v161, v161, v150
	v_bfe_u32 v150, v150, 3, 4
	v_and_b32_e32 v161, 7, v161
	s_delay_alu instid0(VALU_DEP_2) | instskip(NEXT) | instid1(VALU_DEP_2)
	v_cmp_eq_u32_e32 vcc_lo, 0, v150
	v_dual_cndmask_b32 v150, v150, v160 :: v_dual_cndmask_b32 v151, v151, v161
	v_and_b32_e32 v160, 0x80000000, v162
	s_delay_alu instid0(VALU_DEP_2) | instskip(NEXT) | instid1(VALU_DEP_3)
	v_lshl_add_u32 v150, v150, 23, 0x3b800000
	v_lshlrev_b32_e32 v151, 20, v151
	s_delay_alu instid0(VALU_DEP_1)
	v_or3_b32 v151, v160, v150, v151
.LBB2_3265:                             ;   in Loop: Header=BB2_3220 Depth=3
	s_or_b32 exec_lo, exec_lo, s15
	s_mov_b32 s14, 0
	s_mov_b32 s35, exec_lo
                                        ; implicit-def: $sgpr15
	v_cmpx_lt_i16_e64 0x7f, v149
	s_xor_b32 s35, exec_lo, s35
	s_cbranch_execnz .LBB2_3715
; %bb.3266:                             ;   in Loop: Header=BB2_3220 Depth=3
	s_or_saveexec_b32 s35, s35
	v_mov_b32_e32 v150, s15
	s_xor_b32 exec_lo, exec_lo, s35
	s_cbranch_execnz .LBB2_3718
.LBB2_3267:                             ;   in Loop: Header=BB2_3220 Depth=3
	s_or_b32 exec_lo, exec_lo, s35
	s_and_saveexec_b32 s15, s14
	s_cbranch_execz .LBB2_3269
.LBB2_3268:                             ;   in Loop: Header=BB2_3220 Depth=3
	v_and_b32_e32 v149, 0xffff, v149
	v_lshlrev_b32_e32 v162, 16, v8
	s_delay_alu instid0(VALU_DEP_2) | instskip(NEXT) | instid1(VALU_DEP_1)
	v_and_b32_e32 v150, 7, v149
	v_clz_i32_u32_e32 v160, v150
	s_delay_alu instid0(VALU_DEP_1) | instskip(NEXT) | instid1(VALU_DEP_1)
	v_min_u32_e32 v160, 32, v160
	v_subrev_nc_u32_e32 v161, 28, v160
	v_sub_nc_u32_e32 v160, 29, v160
	s_delay_alu instid0(VALU_DEP_2) | instskip(SKIP_1) | instid1(VALU_DEP_2)
	v_lshlrev_b32_e32 v161, v161, v149
	v_bfe_u32 v149, v149, 3, 4
	v_and_b32_e32 v161, 7, v161
	s_delay_alu instid0(VALU_DEP_2) | instskip(NEXT) | instid1(VALU_DEP_2)
	v_cmp_eq_u32_e32 vcc_lo, 0, v149
	v_dual_cndmask_b32 v149, v149, v160 :: v_dual_cndmask_b32 v150, v150, v161
	v_and_b32_e32 v160, 0x80000000, v162
	s_delay_alu instid0(VALU_DEP_2) | instskip(NEXT) | instid1(VALU_DEP_3)
	v_lshl_add_u32 v149, v149, 23, 0x3b800000
	v_lshlrev_b32_e32 v150, 20, v150
	s_delay_alu instid0(VALU_DEP_1)
	v_or3_b32 v150, v160, v149, v150
.LBB2_3269:                             ;   in Loop: Header=BB2_3220 Depth=3
	s_or_b32 exec_lo, exec_lo, s15
	s_delay_alu instid0(VALU_DEP_1) | instskip(NEXT) | instid1(VALU_DEP_1)
	v_dual_max_f32 v149, v150, v150 :: v_dual_max_f32 v150, v151, v151
	v_min_f32_e32 v151, v150, v149
.LBB2_3270:                             ;   in Loop: Header=BB2_3220 Depth=3
	s_delay_alu instid0(VALU_DEP_1) | instskip(NEXT) | instid1(VALU_DEP_1)
	v_and_b32_e32 v149, 0x7f800000, v151
	v_cmp_ne_u32_e32 vcc_lo, 0x7f800000, v149
	v_mov_b32_e32 v149, 0x80
	s_and_saveexec_b32 s15, vcc_lo
	s_cbranch_execz .LBB2_3278
; %bb.3271:                             ;   in Loop: Header=BB2_3220 Depth=3
	v_mov_b32_e32 v149, 0
	s_mov_b32 s35, exec_lo
	v_cmpx_ne_u32_e32 0, v151
	s_cbranch_execz .LBB2_3277
; %bb.3272:                             ;   in Loop: Header=BB2_3220 Depth=3
	v_bfe_u32 v149, v151, 23, 8
	v_and_b32_e32 v150, 0x7fffff, v151
	s_delay_alu instid0(VALU_DEP_2) | instskip(SKIP_1) | instid1(VALU_DEP_3)
	v_sub_nc_u32_e32 v160, 0x78, v149
	v_cmp_gt_u32_e32 vcc_lo, 0x79, v149
	v_or_b32_e32 v161, 0x800000, v150
	s_delay_alu instid0(VALU_DEP_3) | instskip(SKIP_2) | instid1(VALU_DEP_3)
	v_cndmask_b32_e32 v160, 0, v160, vcc_lo
	v_cmp_eq_u32_e32 vcc_lo, 0, v149
	v_add_nc_u32_e32 v149, 0xffffff89, v149
	v_cndmask_b32_e64 v160, v160, 0x77, vcc_lo
	v_cndmask_b32_e32 v150, v161, v150, vcc_lo
	s_delay_alu instid0(VALU_DEP_3) | instskip(NEXT) | instid1(VALU_DEP_3)
	v_cndmask_b32_e64 v149, v149, 0xffffff8a, vcc_lo
	v_lshl_add_u32 v161, 0x100000, v160, -1
	s_delay_alu instid0(VALU_DEP_3) | instskip(SKIP_1) | instid1(VALU_DEP_4)
	v_lshrrev_b32_e32 v162, v160, v150
	v_lshlrev_b32_e64 v164, v160, 0x80000
	v_add_nc_u32_e32 v160, v160, v149
	s_delay_alu instid0(VALU_DEP_4) | instskip(NEXT) | instid1(VALU_DEP_4)
	v_and_b32_e32 v150, v161, v150
	v_bfe_u32 v163, v162, 20, 1
	s_delay_alu instid0(VALU_DEP_2) | instskip(NEXT) | instid1(VALU_DEP_2)
	v_cmp_eq_u32_e64 s14, v150, v164
	v_add_nc_u32_e32 v161, -1, v163
	s_delay_alu instid0(VALU_DEP_1) | instskip(SKIP_2) | instid1(VALU_DEP_2)
	v_cndmask_b32_e64 v150, 0, v161, s14
	v_lshrrev_b32_e32 v161, 23, v162
	s_mov_b32 s14, exec_lo
	v_add_nc_u32_e32 v150, v150, v162
	s_delay_alu instid0(VALU_DEP_2) | instskip(NEXT) | instid1(VALU_DEP_2)
	v_xor_b32_e32 v161, 1, v161
	v_and_b32_e32 v149, 0xfffff, v150
	s_delay_alu instid0(VALU_DEP_1) | instskip(NEXT) | instid1(VALU_DEP_3)
	v_add_nc_u32_e32 v150, v149, v162
                                        ; implicit-def: $vgpr149
	v_cmpx_ne_u32_e64 v160, v161
	s_xor_b32 s14, exec_lo, s14
; %bb.3273:                             ;   in Loop: Header=BB2_3220 Depth=3
	s_delay_alu instid0(VALU_DEP_2) | instskip(SKIP_2) | instid1(VALU_DEP_2)
	v_cmp_lt_u32_e32 vcc_lo, 0xffffff, v150
	v_sub_nc_u32_e32 v149, v160, v161
	v_cndmask_b32_e64 v160, 0, 1, vcc_lo
	v_add_co_ci_u32_e32 v149, vcc_lo, 0, v149, vcc_lo
	s_delay_alu instid0(VALU_DEP_2)
	v_lshrrev_b32_e32 v150, v160, v150
; %bb.3274:                             ;   in Loop: Header=BB2_3220 Depth=3
	s_and_not1_saveexec_b32 s14, s14
; %bb.3275:                             ;   in Loop: Header=BB2_3220 Depth=3
	s_delay_alu instid0(VALU_DEP_1)
	v_bfe_u32 v149, v150, 23, 1
; %bb.3276:                             ;   in Loop: Header=BB2_3220 Depth=3
	s_or_b32 exec_lo, exec_lo, s14
	v_lshrrev_b32_e32 v150, 20, v150
	s_delay_alu instid0(VALU_DEP_2) | instskip(SKIP_2) | instid1(VALU_DEP_2)
	v_cmp_gt_i32_e32 vcc_lo, 16, v149
	v_lshrrev_b32_e32 v151, 24, v151
	v_min_i32_e32 v160, 15, v149
	v_dual_cndmask_b32 v150, 7, v150 :: v_dual_and_b32 v151, 0x80, v151
	s_delay_alu instid0(VALU_DEP_1) | instskip(SKIP_1) | instid1(VALU_DEP_2)
	v_or_b32_e32 v149, v149, v150
	v_and_b32_e32 v161, 7, v150
	v_cmp_ne_u32_e32 vcc_lo, 0, v149
	v_lshlrev_b32_e32 v160, 3, v160
	s_delay_alu instid0(VALU_DEP_1) | instskip(NEXT) | instid1(VALU_DEP_1)
	v_or3_b32 v150, v160, v151, v161
	v_cndmask_b32_e32 v149, 0, v150, vcc_lo
.LBB2_3277:                             ;   in Loop: Header=BB2_3220 Depth=3
	s_or_b32 exec_lo, exec_lo, s35
.LBB2_3278:                             ;   in Loop: Header=BB2_3220 Depth=3
	s_delay_alu instid0(SALU_CYCLE_1) | instskip(SKIP_3) | instid1(VALU_DEP_2)
	s_or_b32 exec_lo, exec_lo, s15
	v_lshrrev_b32_e32 v151, 16, v12
	v_lshrrev_b32_e32 v150, 16, v8
	s_and_b32 vcc_lo, exec_lo, s34
	v_and_b32_e32 v160, 0xff, v151
	s_delay_alu instid0(VALU_DEP_1)
	v_cmp_lt_i16_e64 s14, 0x7f, v160
	s_cbranch_vccz .LBB2_3288
; %bb.3279:                             ;   in Loop: Header=BB2_3220 Depth=3
	s_mov_b32 s15, 0
                                        ; implicit-def: $sgpr35
	s_delay_alu instid0(VALU_DEP_1) | instskip(NEXT) | instid1(SALU_CYCLE_1)
	s_and_saveexec_b32 vcc_lo, s14
	s_xor_b32 s14, exec_lo, vcc_lo
	s_cbranch_execnz .LBB2_3719
; %bb.3280:                             ;   in Loop: Header=BB2_3220 Depth=3
	s_or_saveexec_b32 s14, s14
	v_mov_b32_e32 v161, s35
	s_xor_b32 exec_lo, exec_lo, s14
	s_cbranch_execnz .LBB2_3722
.LBB2_3281:                             ;   in Loop: Header=BB2_3220 Depth=3
	s_or_b32 exec_lo, exec_lo, s14
	s_and_saveexec_b32 s14, s15
	s_cbranch_execz .LBB2_3283
.LBB2_3282:                             ;   in Loop: Header=BB2_3220 Depth=3
	v_bfe_u32 v161, v12, 16, 3
	v_bfe_u32 v164, v12, 19, 4
	v_lshlrev_b32_e32 v165, 24, v151
	s_delay_alu instid0(VALU_DEP_3) | instskip(NEXT) | instid1(VALU_DEP_3)
	v_clz_i32_u32_e32 v162, v161
	v_cmp_eq_u32_e32 vcc_lo, 0, v164
	s_delay_alu instid0(VALU_DEP_2) | instskip(NEXT) | instid1(VALU_DEP_1)
	v_min_u32_e32 v162, 32, v162
	v_subrev_nc_u32_e32 v163, 28, v162
	v_sub_nc_u32_e32 v162, 29, v162
	s_delay_alu instid0(VALU_DEP_1) | instskip(NEXT) | instid1(VALU_DEP_1)
	v_dual_cndmask_b32 v162, v164, v162 :: v_dual_lshlrev_b32 v163, v163, v151
	v_and_b32_e32 v163, 7, v163
	s_delay_alu instid0(VALU_DEP_2) | instskip(NEXT) | instid1(VALU_DEP_2)
	v_lshl_add_u32 v162, v162, 23, 0x3b800000
	v_cndmask_b32_e32 v161, v161, v163, vcc_lo
	v_and_b32_e32 v163, 0x80000000, v165
	s_delay_alu instid0(VALU_DEP_2) | instskip(NEXT) | instid1(VALU_DEP_1)
	v_lshlrev_b32_e32 v161, 20, v161
	v_or3_b32 v161, v163, v162, v161
.LBB2_3283:                             ;   in Loop: Header=BB2_3220 Depth=3
	s_or_b32 exec_lo, exec_lo, s14
	v_and_b32_e32 v163, 0xff, v150
	s_mov_b32 s14, 0
	s_mov_b32 s35, exec_lo
                                        ; implicit-def: $sgpr15
	s_delay_alu instid0(VALU_DEP_1)
	v_cmpx_lt_i16_e64 0x7f, v163
	s_xor_b32 s35, exec_lo, s35
	s_cbranch_execnz .LBB2_3723
; %bb.3284:                             ;   in Loop: Header=BB2_3220 Depth=3
	s_or_saveexec_b32 s35, s35
	v_mov_b32_e32 v162, s15
	s_xor_b32 exec_lo, exec_lo, s35
	s_cbranch_execnz .LBB2_3726
.LBB2_3285:                             ;   in Loop: Header=BB2_3220 Depth=3
	s_or_b32 exec_lo, exec_lo, s35
	s_and_saveexec_b32 s15, s14
	s_cbranch_execz .LBB2_3287
.LBB2_3286:                             ;   in Loop: Header=BB2_3220 Depth=3
	v_bfe_u32 v162, v8, 16, 3
	v_bfe_u32 v165, v8, 19, 4
	v_lshlrev_b32_e32 v166, 24, v150
	s_delay_alu instid0(VALU_DEP_3) | instskip(NEXT) | instid1(VALU_DEP_3)
	v_clz_i32_u32_e32 v163, v162
	v_cmp_eq_u32_e32 vcc_lo, 0, v165
	s_delay_alu instid0(VALU_DEP_2) | instskip(NEXT) | instid1(VALU_DEP_1)
	v_min_u32_e32 v163, 32, v163
	v_subrev_nc_u32_e32 v164, 28, v163
	v_sub_nc_u32_e32 v163, 29, v163
	s_delay_alu instid0(VALU_DEP_1) | instskip(NEXT) | instid1(VALU_DEP_1)
	v_dual_cndmask_b32 v163, v165, v163 :: v_dual_lshlrev_b32 v164, v164, v150
	v_and_b32_e32 v164, 7, v164
	s_delay_alu instid0(VALU_DEP_2) | instskip(NEXT) | instid1(VALU_DEP_2)
	v_lshl_add_u32 v163, v163, 23, 0x3b800000
	v_cndmask_b32_e32 v162, v162, v164, vcc_lo
	v_and_b32_e32 v164, 0x80000000, v166
	s_delay_alu instid0(VALU_DEP_2) | instskip(NEXT) | instid1(VALU_DEP_1)
	v_lshlrev_b32_e32 v162, 20, v162
	v_or3_b32 v162, v164, v163, v162
.LBB2_3287:                             ;   in Loop: Header=BB2_3220 Depth=3
	s_or_b32 exec_lo, exec_lo, s15
	s_delay_alu instid0(VALU_DEP_1) | instskip(SKIP_1) | instid1(VALU_DEP_1)
	v_dual_max_f32 v162, v162, v162 :: v_dual_max_f32 v161, v161, v161
	s_mov_b32 s14, 0
	v_max_f32_e32 v161, v161, v162
	s_branch .LBB2_3289
.LBB2_3288:                             ;   in Loop: Header=BB2_3220 Depth=3
	s_mov_b32 s14, -1
                                        ; implicit-def: $vgpr161
.LBB2_3289:                             ;   in Loop: Header=BB2_3220 Depth=3
	s_delay_alu instid0(SALU_CYCLE_1)
	s_and_b32 vcc_lo, exec_lo, s14
	s_cbranch_vccz .LBB2_3299
; %bb.3290:                             ;   in Loop: Header=BB2_3220 Depth=3
	s_mov_b32 s14, 0
	s_mov_b32 s35, exec_lo
                                        ; implicit-def: $sgpr15
	v_cmpx_lt_i16_e64 0x7f, v160
	s_xor_b32 s35, exec_lo, s35
	s_cbranch_execnz .LBB2_3727
; %bb.3291:                             ;   in Loop: Header=BB2_3220 Depth=3
	s_or_saveexec_b32 s35, s35
	v_mov_b32_e32 v161, s15
	s_xor_b32 exec_lo, exec_lo, s35
	s_cbranch_execnz .LBB2_3730
.LBB2_3292:                             ;   in Loop: Header=BB2_3220 Depth=3
	s_or_b32 exec_lo, exec_lo, s35
	s_and_saveexec_b32 s15, s14
	s_cbranch_execz .LBB2_3294
.LBB2_3293:                             ;   in Loop: Header=BB2_3220 Depth=3
	v_bfe_u32 v160, v12, 16, 3
	v_bfe_u32 v163, v12, 19, 4
	s_delay_alu instid0(VALU_DEP_2) | instskip(NEXT) | instid1(VALU_DEP_2)
	v_clz_i32_u32_e32 v161, v160
	v_cmp_eq_u32_e32 vcc_lo, 0, v163
	s_delay_alu instid0(VALU_DEP_2) | instskip(NEXT) | instid1(VALU_DEP_1)
	v_min_u32_e32 v161, 32, v161
	v_subrev_nc_u32_e32 v162, 28, v161
	v_sub_nc_u32_e32 v161, 29, v161
	s_delay_alu instid0(VALU_DEP_1) | instskip(NEXT) | instid1(VALU_DEP_1)
	v_dual_cndmask_b32 v161, v163, v161 :: v_dual_lshlrev_b32 v162, v162, v151
	v_and_b32_e32 v162, 7, v162
	v_lshlrev_b32_e32 v151, 24, v151
	s_delay_alu instid0(VALU_DEP_3) | instskip(NEXT) | instid1(VALU_DEP_2)
	v_lshl_add_u32 v161, v161, 23, 0x3b800000
	v_dual_cndmask_b32 v160, v160, v162 :: v_dual_and_b32 v151, 0x80000000, v151
	s_delay_alu instid0(VALU_DEP_1) | instskip(NEXT) | instid1(VALU_DEP_1)
	v_lshlrev_b32_e32 v160, 20, v160
	v_or3_b32 v161, v151, v161, v160
.LBB2_3294:                             ;   in Loop: Header=BB2_3220 Depth=3
	s_or_b32 exec_lo, exec_lo, s15
	v_and_b32_e32 v160, 0xff, v150
	s_mov_b32 s14, 0
	s_mov_b32 s35, exec_lo
                                        ; implicit-def: $sgpr15
	s_delay_alu instid0(VALU_DEP_1)
	v_cmpx_lt_i16_e64 0x7f, v160
	s_xor_b32 s35, exec_lo, s35
	s_cbranch_execnz .LBB2_3731
; %bb.3295:                             ;   in Loop: Header=BB2_3220 Depth=3
	s_or_saveexec_b32 s35, s35
	v_mov_b32_e32 v151, s15
	s_xor_b32 exec_lo, exec_lo, s35
	s_cbranch_execnz .LBB2_3734
.LBB2_3296:                             ;   in Loop: Header=BB2_3220 Depth=3
	s_or_b32 exec_lo, exec_lo, s35
	s_and_saveexec_b32 s15, s14
	s_cbranch_execz .LBB2_3298
.LBB2_3297:                             ;   in Loop: Header=BB2_3220 Depth=3
	v_bfe_u32 v151, v8, 16, 3
	v_bfe_u32 v163, v8, 19, 4
	s_delay_alu instid0(VALU_DEP_2) | instskip(NEXT) | instid1(VALU_DEP_2)
	v_clz_i32_u32_e32 v160, v151
	v_cmp_eq_u32_e32 vcc_lo, 0, v163
	s_delay_alu instid0(VALU_DEP_2) | instskip(NEXT) | instid1(VALU_DEP_1)
	v_min_u32_e32 v160, 32, v160
	v_subrev_nc_u32_e32 v162, 28, v160
	v_sub_nc_u32_e32 v160, 29, v160
	s_delay_alu instid0(VALU_DEP_2) | instskip(SKIP_1) | instid1(VALU_DEP_2)
	v_lshlrev_b32_e32 v162, v162, v150
	v_lshlrev_b32_e32 v150, 24, v150
	v_and_b32_e32 v162, 7, v162
	s_delay_alu instid0(VALU_DEP_2) | instskip(NEXT) | instid1(VALU_DEP_2)
	v_and_b32_e32 v150, 0x80000000, v150
	v_cndmask_b32_e32 v151, v151, v162, vcc_lo
	s_delay_alu instid0(VALU_DEP_1) | instskip(NEXT) | instid1(VALU_DEP_1)
	v_dual_cndmask_b32 v160, v163, v160 :: v_dual_lshlrev_b32 v151, 20, v151
	v_lshl_add_u32 v160, v160, 23, 0x3b800000
	s_delay_alu instid0(VALU_DEP_1)
	v_or3_b32 v151, v150, v160, v151
.LBB2_3298:                             ;   in Loop: Header=BB2_3220 Depth=3
	s_or_b32 exec_lo, exec_lo, s15
	s_delay_alu instid0(VALU_DEP_1) | instskip(NEXT) | instid1(VALU_DEP_1)
	v_dual_max_f32 v150, v151, v151 :: v_dual_max_f32 v151, v161, v161
	v_min_f32_e32 v161, v151, v150
.LBB2_3299:                             ;   in Loop: Header=BB2_3220 Depth=3
	s_delay_alu instid0(VALU_DEP_1) | instskip(NEXT) | instid1(VALU_DEP_1)
	v_and_b32_e32 v150, 0x7f800000, v161
	v_cmp_ne_u32_e32 vcc_lo, 0x7f800000, v150
	v_mov_b32_e32 v150, 0x80
	s_and_saveexec_b32 s15, vcc_lo
	s_cbranch_execz .LBB2_3307
; %bb.3300:                             ;   in Loop: Header=BB2_3220 Depth=3
	v_mov_b32_e32 v150, 0
	s_mov_b32 s35, exec_lo
	v_cmpx_ne_u32_e32 0, v161
	s_cbranch_execz .LBB2_3306
; %bb.3301:                             ;   in Loop: Header=BB2_3220 Depth=3
	v_bfe_u32 v150, v161, 23, 8
	s_delay_alu instid0(VALU_DEP_1) | instskip(SKIP_1) | instid1(VALU_DEP_2)
	v_sub_nc_u32_e32 v160, 0x78, v150
	v_cmp_gt_u32_e32 vcc_lo, 0x79, v150
	v_dual_cndmask_b32 v160, 0, v160 :: v_dual_and_b32 v151, 0x7fffff, v161
	s_delay_alu instid0(VALU_DEP_1) | instskip(SKIP_2) | instid1(VALU_DEP_4)
	v_or_b32_e32 v162, 0x800000, v151
	v_cmp_eq_u32_e32 vcc_lo, 0, v150
	v_add_nc_u32_e32 v150, 0xffffff89, v150
	v_cndmask_b32_e64 v160, v160, 0x77, vcc_lo
	s_delay_alu instid0(VALU_DEP_4) | instskip(NEXT) | instid1(VALU_DEP_3)
	v_cndmask_b32_e32 v151, v162, v151, vcc_lo
	v_cndmask_b32_e64 v150, v150, 0xffffff8a, vcc_lo
	s_delay_alu instid0(VALU_DEP_3) | instskip(NEXT) | instid1(VALU_DEP_3)
	v_lshl_add_u32 v162, 0x100000, v160, -1
	v_lshrrev_b32_e32 v163, v160, v151
	v_lshlrev_b32_e64 v165, v160, 0x80000
	s_delay_alu instid0(VALU_DEP_4) | instskip(NEXT) | instid1(VALU_DEP_4)
	v_add_nc_u32_e32 v160, v160, v150
	v_and_b32_e32 v151, v162, v151
	s_delay_alu instid0(VALU_DEP_4) | instskip(NEXT) | instid1(VALU_DEP_2)
	v_bfe_u32 v164, v163, 20, 1
	v_cmp_eq_u32_e64 s14, v151, v165
	s_delay_alu instid0(VALU_DEP_2) | instskip(NEXT) | instid1(VALU_DEP_1)
	v_add_nc_u32_e32 v162, -1, v164
	v_cndmask_b32_e64 v151, 0, v162, s14
	v_lshrrev_b32_e32 v162, 23, v163
	s_mov_b32 s14, exec_lo
	s_delay_alu instid0(VALU_DEP_2) | instskip(NEXT) | instid1(VALU_DEP_2)
	v_add_nc_u32_e32 v151, v151, v163
	v_xor_b32_e32 v162, 1, v162
	s_delay_alu instid0(VALU_DEP_2) | instskip(NEXT) | instid1(VALU_DEP_1)
	v_and_b32_e32 v150, 0xfffff, v151
	v_add_nc_u32_e32 v151, v150, v163
                                        ; implicit-def: $vgpr150
	s_delay_alu instid0(VALU_DEP_3)
	v_cmpx_ne_u32_e64 v160, v162
	s_xor_b32 s14, exec_lo, s14
; %bb.3302:                             ;   in Loop: Header=BB2_3220 Depth=3
	s_delay_alu instid0(VALU_DEP_2) | instskip(SKIP_2) | instid1(VALU_DEP_2)
	v_cmp_lt_u32_e32 vcc_lo, 0xffffff, v151
	v_sub_nc_u32_e32 v150, v160, v162
	v_cndmask_b32_e64 v160, 0, 1, vcc_lo
	v_add_co_ci_u32_e32 v150, vcc_lo, 0, v150, vcc_lo
	s_delay_alu instid0(VALU_DEP_2)
	v_lshrrev_b32_e32 v151, v160, v151
; %bb.3303:                             ;   in Loop: Header=BB2_3220 Depth=3
	s_and_not1_saveexec_b32 s14, s14
; %bb.3304:                             ;   in Loop: Header=BB2_3220 Depth=3
	s_delay_alu instid0(VALU_DEP_1)
	v_bfe_u32 v150, v151, 23, 1
; %bb.3305:                             ;   in Loop: Header=BB2_3220 Depth=3
	s_or_b32 exec_lo, exec_lo, s14
	v_lshrrev_b32_e32 v151, 20, v151
	s_delay_alu instid0(VALU_DEP_2) | instskip(SKIP_2) | instid1(VALU_DEP_2)
	v_cmp_gt_i32_e32 vcc_lo, 16, v150
	v_lshrrev_b32_e32 v160, 24, v161
	v_min_i32_e32 v161, 15, v150
	v_dual_cndmask_b32 v151, 7, v151 :: v_dual_and_b32 v160, 0x80, v160
	s_delay_alu instid0(VALU_DEP_1) | instskip(SKIP_1) | instid1(VALU_DEP_2)
	v_or_b32_e32 v150, v150, v151
	v_and_b32_e32 v162, 7, v151
	v_cmp_ne_u32_e32 vcc_lo, 0, v150
	v_lshlrev_b32_e32 v161, 3, v161
	s_delay_alu instid0(VALU_DEP_1) | instskip(NEXT) | instid1(VALU_DEP_1)
	v_or3_b32 v151, v161, v160, v162
	v_cndmask_b32_e32 v150, 0, v151, vcc_lo
.LBB2_3306:                             ;   in Loop: Header=BB2_3220 Depth=3
	s_or_b32 exec_lo, exec_lo, s35
.LBB2_3307:                             ;   in Loop: Header=BB2_3220 Depth=3
	s_delay_alu instid0(SALU_CYCLE_1) | instskip(SKIP_3) | instid1(VALU_DEP_2)
	s_or_b32 exec_lo, exec_lo, s15
	v_lshrrev_b32_e32 v160, 24, v12
	v_lshrrev_b32_e32 v151, 24, v8
	s_and_b32 vcc_lo, exec_lo, s34
	v_cmp_lt_i16_e64 s14, 0x7f, v160
	s_cbranch_vccz .LBB2_3317
; %bb.3308:                             ;   in Loop: Header=BB2_3220 Depth=3
	s_mov_b32 s15, 0
                                        ; implicit-def: $sgpr35
	s_delay_alu instid0(VALU_DEP_1) | instskip(NEXT) | instid1(SALU_CYCLE_1)
	s_and_saveexec_b32 vcc_lo, s14
	s_xor_b32 s14, exec_lo, vcc_lo
	s_cbranch_execnz .LBB2_3735
; %bb.3309:                             ;   in Loop: Header=BB2_3220 Depth=3
	s_or_saveexec_b32 s14, s14
	v_mov_b32_e32 v161, s35
	s_xor_b32 exec_lo, exec_lo, s14
	s_cbranch_execnz .LBB2_3738
.LBB2_3310:                             ;   in Loop: Header=BB2_3220 Depth=3
	s_or_b32 exec_lo, exec_lo, s14
	s_and_saveexec_b32 s14, s15
	s_cbranch_execz .LBB2_3312
.LBB2_3311:                             ;   in Loop: Header=BB2_3220 Depth=3
	v_bfe_u32 v161, v12, 24, 3
	v_bfe_u32 v164, v12, 27, 4
	s_delay_alu instid0(VALU_DEP_2) | instskip(NEXT) | instid1(VALU_DEP_2)
	v_clz_i32_u32_e32 v162, v161
	v_cmp_eq_u32_e32 vcc_lo, 0, v164
	s_delay_alu instid0(VALU_DEP_2) | instskip(NEXT) | instid1(VALU_DEP_1)
	v_min_u32_e32 v162, 32, v162
	v_subrev_nc_u32_e32 v163, 28, v162
	v_sub_nc_u32_e32 v162, 29, v162
	s_delay_alu instid0(VALU_DEP_1) | instskip(NEXT) | instid1(VALU_DEP_1)
	v_dual_cndmask_b32 v162, v164, v162 :: v_dual_lshlrev_b32 v163, v163, v160
	v_and_b32_e32 v163, 7, v163
	s_delay_alu instid0(VALU_DEP_2) | instskip(NEXT) | instid1(VALU_DEP_2)
	v_lshl_add_u32 v162, v162, 23, 0x3b800000
	v_cndmask_b32_e32 v161, v161, v163, vcc_lo
	v_and_b32_e32 v163, 0x80000000, v12
	s_delay_alu instid0(VALU_DEP_2) | instskip(NEXT) | instid1(VALU_DEP_1)
	v_lshlrev_b32_e32 v161, 20, v161
	v_or3_b32 v161, v163, v162, v161
.LBB2_3312:                             ;   in Loop: Header=BB2_3220 Depth=3
	s_or_b32 exec_lo, exec_lo, s14
	s_mov_b32 s14, 0
	s_mov_b32 s35, exec_lo
                                        ; implicit-def: $sgpr15
	v_cmpx_lt_i16_e64 0x7f, v151
	s_xor_b32 s35, exec_lo, s35
	s_cbranch_execnz .LBB2_3739
; %bb.3313:                             ;   in Loop: Header=BB2_3220 Depth=3
	s_or_saveexec_b32 s35, s35
	v_mov_b32_e32 v162, s15
	s_xor_b32 exec_lo, exec_lo, s35
	s_cbranch_execnz .LBB2_3742
.LBB2_3314:                             ;   in Loop: Header=BB2_3220 Depth=3
	s_or_b32 exec_lo, exec_lo, s35
	s_and_saveexec_b32 s15, s14
	s_cbranch_execz .LBB2_3316
.LBB2_3315:                             ;   in Loop: Header=BB2_3220 Depth=3
	v_bfe_u32 v162, v8, 24, 3
	v_bfe_u32 v165, v8, 27, 4
	s_delay_alu instid0(VALU_DEP_2) | instskip(NEXT) | instid1(VALU_DEP_2)
	v_clz_i32_u32_e32 v163, v162
	v_cmp_eq_u32_e32 vcc_lo, 0, v165
	s_delay_alu instid0(VALU_DEP_2) | instskip(NEXT) | instid1(VALU_DEP_1)
	v_min_u32_e32 v163, 32, v163
	v_subrev_nc_u32_e32 v164, 28, v163
	v_sub_nc_u32_e32 v163, 29, v163
	s_delay_alu instid0(VALU_DEP_2) | instskip(NEXT) | instid1(VALU_DEP_1)
	v_lshlrev_b32_e32 v164, v164, v151
	v_dual_cndmask_b32 v163, v165, v163 :: v_dual_and_b32 v164, 7, v164
	s_delay_alu instid0(VALU_DEP_1) | instskip(NEXT) | instid1(VALU_DEP_2)
	v_lshl_add_u32 v163, v163, 23, 0x3b800000
	v_cndmask_b32_e32 v162, v162, v164, vcc_lo
	v_and_b32_e32 v164, 0x80000000, v8
	s_delay_alu instid0(VALU_DEP_2) | instskip(NEXT) | instid1(VALU_DEP_1)
	v_lshlrev_b32_e32 v162, 20, v162
	v_or3_b32 v162, v164, v163, v162
.LBB2_3316:                             ;   in Loop: Header=BB2_3220 Depth=3
	s_or_b32 exec_lo, exec_lo, s15
	s_delay_alu instid0(VALU_DEP_1) | instskip(SKIP_1) | instid1(VALU_DEP_1)
	v_dual_max_f32 v162, v162, v162 :: v_dual_max_f32 v161, v161, v161
	s_mov_b32 s14, 0
	v_max_f32_e32 v161, v161, v162
	s_branch .LBB2_3318
.LBB2_3317:                             ;   in Loop: Header=BB2_3220 Depth=3
	s_mov_b32 s14, -1
                                        ; implicit-def: $vgpr161
.LBB2_3318:                             ;   in Loop: Header=BB2_3220 Depth=3
	s_delay_alu instid0(SALU_CYCLE_1)
	s_and_b32 vcc_lo, exec_lo, s14
	s_cbranch_vccz .LBB2_3328
; %bb.3319:                             ;   in Loop: Header=BB2_3220 Depth=3
	s_mov_b32 s14, 0
	s_mov_b32 s35, exec_lo
                                        ; implicit-def: $sgpr15
	v_cmpx_lt_i16_e64 0x7f, v160
	s_xor_b32 s35, exec_lo, s35
	s_cbranch_execnz .LBB2_3743
; %bb.3320:                             ;   in Loop: Header=BB2_3220 Depth=3
	s_or_saveexec_b32 s35, s35
	v_mov_b32_e32 v161, s15
	s_xor_b32 exec_lo, exec_lo, s35
	s_cbranch_execnz .LBB2_3746
.LBB2_3321:                             ;   in Loop: Header=BB2_3220 Depth=3
	s_or_b32 exec_lo, exec_lo, s35
	s_and_saveexec_b32 s15, s14
	s_cbranch_execz .LBB2_3323
.LBB2_3322:                             ;   in Loop: Header=BB2_3220 Depth=3
	v_bfe_u32 v161, v12, 24, 3
	s_delay_alu instid0(VALU_DEP_1) | instskip(NEXT) | instid1(VALU_DEP_1)
	v_clz_i32_u32_e32 v162, v161
	v_min_u32_e32 v162, 32, v162
	s_delay_alu instid0(VALU_DEP_1) | instskip(SKIP_1) | instid1(VALU_DEP_2)
	v_subrev_nc_u32_e32 v163, 28, v162
	v_sub_nc_u32_e32 v162, 29, v162
	v_lshlrev_b32_e32 v160, v163, v160
	v_bfe_u32 v163, v12, 27, 4
	v_and_b32_e32 v12, 0x80000000, v12
	s_delay_alu instid0(VALU_DEP_3) | instskip(NEXT) | instid1(VALU_DEP_3)
	v_and_b32_e32 v160, 7, v160
	v_cmp_eq_u32_e32 vcc_lo, 0, v163
	v_cndmask_b32_e32 v162, v163, v162, vcc_lo
	s_delay_alu instid0(VALU_DEP_3) | instskip(NEXT) | instid1(VALU_DEP_2)
	v_cndmask_b32_e32 v160, v161, v160, vcc_lo
	v_lshl_add_u32 v161, v162, 23, 0x3b800000
	s_delay_alu instid0(VALU_DEP_2) | instskip(NEXT) | instid1(VALU_DEP_1)
	v_lshlrev_b32_e32 v160, 20, v160
	v_or3_b32 v161, v12, v161, v160
.LBB2_3323:                             ;   in Loop: Header=BB2_3220 Depth=3
	s_or_b32 exec_lo, exec_lo, s15
	s_mov_b32 s14, 0
	s_mov_b32 s35, exec_lo
                                        ; implicit-def: $sgpr15
	v_cmpx_lt_i16_e64 0x7f, v151
	s_xor_b32 s35, exec_lo, s35
	s_cbranch_execnz .LBB2_3747
; %bb.3324:                             ;   in Loop: Header=BB2_3220 Depth=3
	s_or_saveexec_b32 s35, s35
	v_mov_b32_e32 v12, s15
	s_xor_b32 exec_lo, exec_lo, s35
	s_cbranch_execnz .LBB2_3750
.LBB2_3325:                             ;   in Loop: Header=BB2_3220 Depth=3
	s_or_b32 exec_lo, exec_lo, s35
	s_and_saveexec_b32 s15, s14
	s_cbranch_execz .LBB2_3327
.LBB2_3326:                             ;   in Loop: Header=BB2_3220 Depth=3
	v_bfe_u32 v12, v8, 24, 3
	s_delay_alu instid0(VALU_DEP_1) | instskip(NEXT) | instid1(VALU_DEP_1)
	v_clz_i32_u32_e32 v160, v12
	v_min_u32_e32 v160, 32, v160
	s_delay_alu instid0(VALU_DEP_1) | instskip(SKIP_1) | instid1(VALU_DEP_2)
	v_subrev_nc_u32_e32 v162, 28, v160
	v_sub_nc_u32_e32 v160, 29, v160
	v_lshlrev_b32_e32 v151, v162, v151
	v_bfe_u32 v162, v8, 27, 4
	v_and_b32_e32 v8, 0x80000000, v8
	s_delay_alu instid0(VALU_DEP_2) | instskip(NEXT) | instid1(VALU_DEP_4)
	v_cmp_eq_u32_e32 vcc_lo, 0, v162
	v_dual_cndmask_b32 v160, v162, v160 :: v_dual_and_b32 v151, 7, v151
	s_delay_alu instid0(VALU_DEP_1) | instskip(NEXT) | instid1(VALU_DEP_2)
	v_cndmask_b32_e32 v12, v12, v151, vcc_lo
	v_lshl_add_u32 v151, v160, 23, 0x3b800000
	s_delay_alu instid0(VALU_DEP_2) | instskip(NEXT) | instid1(VALU_DEP_1)
	v_lshlrev_b32_e32 v12, 20, v12
	v_or3_b32 v12, v8, v151, v12
.LBB2_3327:                             ;   in Loop: Header=BB2_3220 Depth=3
	s_or_b32 exec_lo, exec_lo, s15
	s_delay_alu instid0(VALU_DEP_1) | instskip(SKIP_1) | instid1(VALU_DEP_1)
	v_max_f32_e32 v8, v12, v12
	v_max_f32_e32 v12, v161, v161
	v_min_f32_e32 v161, v12, v8
.LBB2_3328:                             ;   in Loop: Header=BB2_3220 Depth=3
	s_delay_alu instid0(VALU_DEP_1) | instskip(NEXT) | instid1(VALU_DEP_1)
	v_and_b32_e32 v8, 0x7f800000, v161
	v_cmp_ne_u32_e32 vcc_lo, 0x7f800000, v8
	v_mov_b32_e32 v8, 0x80
	s_and_saveexec_b32 s15, vcc_lo
	s_cbranch_execz .LBB2_3336
; %bb.3329:                             ;   in Loop: Header=BB2_3220 Depth=3
	v_mov_b32_e32 v8, 0
	s_mov_b32 s35, exec_lo
	v_cmpx_ne_u32_e32 0, v161
	s_cbranch_execz .LBB2_3335
; %bb.3330:                             ;   in Loop: Header=BB2_3220 Depth=3
	v_bfe_u32 v8, v161, 23, 8
	s_delay_alu instid0(VALU_DEP_1) | instskip(SKIP_1) | instid1(VALU_DEP_2)
	v_sub_nc_u32_e32 v151, 0x78, v8
	v_cmp_gt_u32_e32 vcc_lo, 0x79, v8
	v_dual_cndmask_b32 v151, 0, v151 :: v_dual_and_b32 v12, 0x7fffff, v161
	s_delay_alu instid0(VALU_DEP_1) | instskip(SKIP_2) | instid1(VALU_DEP_4)
	v_or_b32_e32 v160, 0x800000, v12
	v_cmp_eq_u32_e32 vcc_lo, 0, v8
	v_add_nc_u32_e32 v8, 0xffffff89, v8
	v_cndmask_b32_e64 v151, v151, 0x77, vcc_lo
	s_delay_alu instid0(VALU_DEP_4) | instskip(NEXT) | instid1(VALU_DEP_3)
	v_cndmask_b32_e32 v12, v160, v12, vcc_lo
	v_cndmask_b32_e64 v8, v8, 0xffffff8a, vcc_lo
	s_delay_alu instid0(VALU_DEP_3) | instskip(NEXT) | instid1(VALU_DEP_3)
	v_lshl_add_u32 v160, 0x100000, v151, -1
	v_lshrrev_b32_e32 v162, v151, v12
	v_lshlrev_b32_e64 v164, v151, 0x80000
	s_delay_alu instid0(VALU_DEP_4) | instskip(NEXT) | instid1(VALU_DEP_4)
	v_add_nc_u32_e32 v151, v151, v8
	v_and_b32_e32 v12, v160, v12
	s_delay_alu instid0(VALU_DEP_4) | instskip(NEXT) | instid1(VALU_DEP_2)
	v_bfe_u32 v163, v162, 20, 1
	v_cmp_eq_u32_e64 s14, v12, v164
	s_delay_alu instid0(VALU_DEP_2) | instskip(NEXT) | instid1(VALU_DEP_1)
	v_add_nc_u32_e32 v160, -1, v163
	v_cndmask_b32_e64 v12, 0, v160, s14
	v_lshrrev_b32_e32 v160, 23, v162
	s_mov_b32 s14, exec_lo
	s_delay_alu instid0(VALU_DEP_2) | instskip(NEXT) | instid1(VALU_DEP_2)
	v_add_nc_u32_e32 v12, v12, v162
	v_xor_b32_e32 v160, 1, v160
	s_delay_alu instid0(VALU_DEP_2) | instskip(NEXT) | instid1(VALU_DEP_1)
	v_and_b32_e32 v8, 0xfffff, v12
	v_add_nc_u32_e32 v12, v8, v162
                                        ; implicit-def: $vgpr8
	s_delay_alu instid0(VALU_DEP_3)
	v_cmpx_ne_u32_e64 v151, v160
	s_xor_b32 s14, exec_lo, s14
; %bb.3331:                             ;   in Loop: Header=BB2_3220 Depth=3
	s_delay_alu instid0(VALU_DEP_2) | instskip(SKIP_2) | instid1(VALU_DEP_2)
	v_cmp_lt_u32_e32 vcc_lo, 0xffffff, v12
	v_sub_nc_u32_e32 v8, v151, v160
	v_cndmask_b32_e64 v151, 0, 1, vcc_lo
	v_add_co_ci_u32_e32 v8, vcc_lo, 0, v8, vcc_lo
	s_delay_alu instid0(VALU_DEP_2)
	v_lshrrev_b32_e32 v12, v151, v12
; %bb.3332:                             ;   in Loop: Header=BB2_3220 Depth=3
	s_and_not1_saveexec_b32 s14, s14
; %bb.3333:                             ;   in Loop: Header=BB2_3220 Depth=3
	s_delay_alu instid0(VALU_DEP_1)
	v_bfe_u32 v8, v12, 23, 1
; %bb.3334:                             ;   in Loop: Header=BB2_3220 Depth=3
	s_or_b32 exec_lo, exec_lo, s14
	v_lshrrev_b32_e32 v12, 20, v12
	s_delay_alu instid0(VALU_DEP_2) | instskip(SKIP_2) | instid1(VALU_DEP_2)
	v_cmp_gt_i32_e32 vcc_lo, 16, v8
	v_lshrrev_b32_e32 v151, 24, v161
	v_min_i32_e32 v160, 15, v8
	v_dual_cndmask_b32 v12, 7, v12 :: v_dual_and_b32 v151, 0x80, v151
	s_delay_alu instid0(VALU_DEP_2) | instskip(NEXT) | instid1(VALU_DEP_2)
	v_lshlrev_b32_e32 v160, 3, v160
	v_and_b32_e32 v161, 7, v12
	v_or_b32_e32 v8, v8, v12
	s_delay_alu instid0(VALU_DEP_2) | instskip(NEXT) | instid1(VALU_DEP_2)
	v_or3_b32 v12, v160, v151, v161
	v_cmp_ne_u32_e32 vcc_lo, 0, v8
	s_delay_alu instid0(VALU_DEP_2)
	v_cndmask_b32_e32 v8, 0, v12, vcc_lo
.LBB2_3335:                             ;   in Loop: Header=BB2_3220 Depth=3
	s_or_b32 exec_lo, exec_lo, s35
.LBB2_3336:                             ;   in Loop: Header=BB2_3220 Depth=3
	s_delay_alu instid0(SALU_CYCLE_1) | instskip(SKIP_2) | instid1(VALU_DEP_1)
	s_or_b32 exec_lo, exec_lo, s15
	v_and_b32_e32 v12, 0xff, v13
	s_and_b32 vcc_lo, exec_lo, s34
	v_cmp_lt_i16_e64 s14, 0x7f, v12
	s_cbranch_vccz .LBB2_3346
; %bb.3337:                             ;   in Loop: Header=BB2_3220 Depth=3
	s_mov_b32 s15, 0
                                        ; implicit-def: $sgpr35
	s_delay_alu instid0(VALU_DEP_1) | instskip(NEXT) | instid1(SALU_CYCLE_1)
	s_and_saveexec_b32 vcc_lo, s14
	s_xor_b32 s14, exec_lo, vcc_lo
	s_cbranch_execnz .LBB2_3751
; %bb.3338:                             ;   in Loop: Header=BB2_3220 Depth=3
	s_or_saveexec_b32 s14, s14
	v_mov_b32_e32 v151, s35
	s_xor_b32 exec_lo, exec_lo, s14
	s_cbranch_execnz .LBB2_3754
.LBB2_3339:                             ;   in Loop: Header=BB2_3220 Depth=3
	s_or_b32 exec_lo, exec_lo, s14
	s_and_saveexec_b32 s14, s15
	s_cbranch_execz .LBB2_3341
.LBB2_3340:                             ;   in Loop: Header=BB2_3220 Depth=3
	v_bfe_u32 v162, v13, 3, 4
	v_lshlrev_b32_e32 v163, 24, v13
	s_delay_alu instid0(VALU_DEP_2) | instskip(SKIP_1) | instid1(VALU_DEP_1)
	v_cmp_eq_u32_e32 vcc_lo, 0, v162
	v_and_b32_e32 v151, 7, v13
	v_clz_i32_u32_e32 v160, v151
	s_delay_alu instid0(VALU_DEP_1) | instskip(NEXT) | instid1(VALU_DEP_1)
	v_min_u32_e32 v160, 32, v160
	v_subrev_nc_u32_e32 v161, 28, v160
	v_sub_nc_u32_e32 v160, 29, v160
	s_delay_alu instid0(VALU_DEP_1) | instskip(NEXT) | instid1(VALU_DEP_1)
	v_dual_cndmask_b32 v160, v162, v160 :: v_dual_lshlrev_b32 v161, v161, v13
	v_and_b32_e32 v161, 7, v161
	s_delay_alu instid0(VALU_DEP_2) | instskip(NEXT) | instid1(VALU_DEP_2)
	v_lshl_add_u32 v160, v160, 23, 0x3b800000
	v_cndmask_b32_e32 v151, v151, v161, vcc_lo
	v_and_b32_e32 v161, 0x80000000, v163
	s_delay_alu instid0(VALU_DEP_2) | instskip(NEXT) | instid1(VALU_DEP_1)
	v_lshlrev_b32_e32 v151, 20, v151
	v_or3_b32 v151, v161, v160, v151
.LBB2_3341:                             ;   in Loop: Header=BB2_3220 Depth=3
	s_or_b32 exec_lo, exec_lo, s14
	v_and_b32_e32 v161, 0xff, v9
	s_mov_b32 s14, 0
	s_mov_b32 s35, exec_lo
                                        ; implicit-def: $sgpr15
	s_delay_alu instid0(VALU_DEP_1)
	v_cmpx_lt_i16_e64 0x7f, v161
	s_xor_b32 s35, exec_lo, s35
	s_cbranch_execnz .LBB2_3755
; %bb.3342:                             ;   in Loop: Header=BB2_3220 Depth=3
	s_or_saveexec_b32 s35, s35
	v_mov_b32_e32 v160, s15
	s_xor_b32 exec_lo, exec_lo, s35
	s_cbranch_execnz .LBB2_3758
.LBB2_3343:                             ;   in Loop: Header=BB2_3220 Depth=3
	s_or_b32 exec_lo, exec_lo, s35
	s_and_saveexec_b32 s15, s14
	s_cbranch_execz .LBB2_3345
.LBB2_3344:                             ;   in Loop: Header=BB2_3220 Depth=3
	v_and_b32_e32 v160, 7, v9
	v_bfe_u32 v163, v9, 3, 4
	v_lshlrev_b32_e32 v164, 24, v9
	s_delay_alu instid0(VALU_DEP_3) | instskip(NEXT) | instid1(VALU_DEP_3)
	v_clz_i32_u32_e32 v161, v160
	v_cmp_eq_u32_e32 vcc_lo, 0, v163
	s_delay_alu instid0(VALU_DEP_2) | instskip(NEXT) | instid1(VALU_DEP_1)
	v_min_u32_e32 v161, 32, v161
	v_subrev_nc_u32_e32 v162, 28, v161
	v_sub_nc_u32_e32 v161, 29, v161
	s_delay_alu instid0(VALU_DEP_2) | instskip(NEXT) | instid1(VALU_DEP_1)
	v_lshlrev_b32_e32 v162, v162, v9
	v_dual_cndmask_b32 v161, v163, v161 :: v_dual_and_b32 v162, 7, v162
	s_delay_alu instid0(VALU_DEP_1) | instskip(NEXT) | instid1(VALU_DEP_2)
	v_lshl_add_u32 v161, v161, 23, 0x3b800000
	v_cndmask_b32_e32 v160, v160, v162, vcc_lo
	v_and_b32_e32 v162, 0x80000000, v164
	s_delay_alu instid0(VALU_DEP_2) | instskip(NEXT) | instid1(VALU_DEP_1)
	v_lshlrev_b32_e32 v160, 20, v160
	v_or3_b32 v160, v162, v161, v160
.LBB2_3345:                             ;   in Loop: Header=BB2_3220 Depth=3
	s_or_b32 exec_lo, exec_lo, s15
	s_delay_alu instid0(VALU_DEP_1) | instskip(SKIP_1) | instid1(VALU_DEP_1)
	v_dual_max_f32 v160, v160, v160 :: v_dual_max_f32 v151, v151, v151
	s_mov_b32 s14, 0
	v_max_f32_e32 v151, v151, v160
	s_branch .LBB2_3347
.LBB2_3346:                             ;   in Loop: Header=BB2_3220 Depth=3
	s_mov_b32 s14, -1
                                        ; implicit-def: $vgpr151
.LBB2_3347:                             ;   in Loop: Header=BB2_3220 Depth=3
	s_delay_alu instid0(SALU_CYCLE_1)
	s_and_b32 vcc_lo, exec_lo, s14
	s_cbranch_vccz .LBB2_3357
; %bb.3348:                             ;   in Loop: Header=BB2_3220 Depth=3
	s_mov_b32 s14, 0
	s_mov_b32 s35, exec_lo
                                        ; implicit-def: $sgpr15
	v_cmpx_lt_i16_e32 0x7f, v12
	s_xor_b32 s35, exec_lo, s35
	s_cbranch_execnz .LBB2_3759
; %bb.3349:                             ;   in Loop: Header=BB2_3220 Depth=3
	s_or_saveexec_b32 s35, s35
	v_mov_b32_e32 v151, s15
	s_xor_b32 exec_lo, exec_lo, s35
	s_cbranch_execnz .LBB2_3762
.LBB2_3350:                             ;   in Loop: Header=BB2_3220 Depth=3
	s_or_b32 exec_lo, exec_lo, s35
	s_and_saveexec_b32 s15, s14
	s_cbranch_execz .LBB2_3352
.LBB2_3351:                             ;   in Loop: Header=BB2_3220 Depth=3
	v_bfe_u32 v161, v13, 3, 4
	v_lshlrev_b32_e32 v162, 24, v13
	s_delay_alu instid0(VALU_DEP_2) | instskip(SKIP_1) | instid1(VALU_DEP_1)
	v_cmp_eq_u32_e32 vcc_lo, 0, v161
	v_and_b32_e32 v12, 7, v13
	v_clz_i32_u32_e32 v151, v12
	s_delay_alu instid0(VALU_DEP_1) | instskip(NEXT) | instid1(VALU_DEP_1)
	v_min_u32_e32 v151, 32, v151
	v_subrev_nc_u32_e32 v160, 28, v151
	v_sub_nc_u32_e32 v151, 29, v151
	s_delay_alu instid0(VALU_DEP_1) | instskip(NEXT) | instid1(VALU_DEP_1)
	v_dual_cndmask_b32 v151, v161, v151 :: v_dual_lshlrev_b32 v160, v160, v13
	v_and_b32_e32 v160, 7, v160
	s_delay_alu instid0(VALU_DEP_2) | instskip(NEXT) | instid1(VALU_DEP_2)
	v_lshl_add_u32 v151, v151, 23, 0x3b800000
	v_cndmask_b32_e32 v12, v12, v160, vcc_lo
	v_and_b32_e32 v160, 0x80000000, v162
	s_delay_alu instid0(VALU_DEP_2) | instskip(NEXT) | instid1(VALU_DEP_1)
	v_lshlrev_b32_e32 v12, 20, v12
	v_or3_b32 v151, v160, v151, v12
.LBB2_3352:                             ;   in Loop: Header=BB2_3220 Depth=3
	s_or_b32 exec_lo, exec_lo, s15
	v_and_b32_e32 v160, 0xff, v9
	s_mov_b32 s14, 0
	s_mov_b32 s35, exec_lo
                                        ; implicit-def: $sgpr15
	s_delay_alu instid0(VALU_DEP_1)
	v_cmpx_lt_i16_e64 0x7f, v160
	s_xor_b32 s35, exec_lo, s35
	s_cbranch_execnz .LBB2_3763
; %bb.3353:                             ;   in Loop: Header=BB2_3220 Depth=3
	s_or_saveexec_b32 s35, s35
	v_mov_b32_e32 v12, s15
	s_xor_b32 exec_lo, exec_lo, s35
	s_cbranch_execnz .LBB2_3766
.LBB2_3354:                             ;   in Loop: Header=BB2_3220 Depth=3
	s_or_b32 exec_lo, exec_lo, s35
	s_and_saveexec_b32 s15, s14
	s_cbranch_execz .LBB2_3356
.LBB2_3355:                             ;   in Loop: Header=BB2_3220 Depth=3
	v_and_b32_e32 v12, 7, v9
	v_bfe_u32 v162, v9, 3, 4
	v_lshlrev_b32_e32 v163, 24, v9
	s_delay_alu instid0(VALU_DEP_3) | instskip(NEXT) | instid1(VALU_DEP_3)
	v_clz_i32_u32_e32 v160, v12
	v_cmp_eq_u32_e32 vcc_lo, 0, v162
	s_delay_alu instid0(VALU_DEP_2) | instskip(NEXT) | instid1(VALU_DEP_1)
	v_min_u32_e32 v160, 32, v160
	v_subrev_nc_u32_e32 v161, 28, v160
	v_sub_nc_u32_e32 v160, 29, v160
	s_delay_alu instid0(VALU_DEP_1) | instskip(NEXT) | instid1(VALU_DEP_1)
	v_dual_cndmask_b32 v160, v162, v160 :: v_dual_lshlrev_b32 v161, v161, v9
	v_and_b32_e32 v161, 7, v161
	s_delay_alu instid0(VALU_DEP_2) | instskip(NEXT) | instid1(VALU_DEP_2)
	v_lshl_add_u32 v160, v160, 23, 0x3b800000
	v_dual_cndmask_b32 v12, v12, v161 :: v_dual_and_b32 v161, 0x80000000, v163
	s_delay_alu instid0(VALU_DEP_1) | instskip(NEXT) | instid1(VALU_DEP_1)
	v_lshlrev_b32_e32 v12, 20, v12
	v_or3_b32 v12, v161, v160, v12
.LBB2_3356:                             ;   in Loop: Header=BB2_3220 Depth=3
	s_or_b32 exec_lo, exec_lo, s15
	s_delay_alu instid0(VALU_DEP_1) | instskip(NEXT) | instid1(VALU_DEP_1)
	v_dual_max_f32 v12, v12, v12 :: v_dual_max_f32 v151, v151, v151
	v_min_f32_e32 v151, v151, v12
.LBB2_3357:                             ;   in Loop: Header=BB2_3220 Depth=3
	s_delay_alu instid0(VALU_DEP_1) | instskip(NEXT) | instid1(VALU_DEP_1)
	v_and_b32_e32 v12, 0x7f800000, v151
	v_cmp_ne_u32_e32 vcc_lo, 0x7f800000, v12
	v_mov_b32_e32 v12, 0x80
	s_and_saveexec_b32 s15, vcc_lo
	s_cbranch_execz .LBB2_3365
; %bb.3358:                             ;   in Loop: Header=BB2_3220 Depth=3
	v_mov_b32_e32 v12, 0
	s_mov_b32 s35, exec_lo
	v_cmpx_ne_u32_e32 0, v151
	s_cbranch_execz .LBB2_3364
; %bb.3359:                             ;   in Loop: Header=BB2_3220 Depth=3
	v_bfe_u32 v12, v151, 23, 8
	s_delay_alu instid0(VALU_DEP_1) | instskip(SKIP_1) | instid1(VALU_DEP_2)
	v_sub_nc_u32_e32 v161, 0x78, v12
	v_cmp_gt_u32_e32 vcc_lo, 0x79, v12
	v_dual_cndmask_b32 v161, 0, v161 :: v_dual_and_b32 v160, 0x7fffff, v151
	s_delay_alu instid0(VALU_DEP_1) | instskip(SKIP_2) | instid1(VALU_DEP_4)
	v_or_b32_e32 v162, 0x800000, v160
	v_cmp_eq_u32_e32 vcc_lo, 0, v12
	v_add_nc_u32_e32 v12, 0xffffff89, v12
	v_cndmask_b32_e64 v161, v161, 0x77, vcc_lo
	s_delay_alu instid0(VALU_DEP_4) | instskip(NEXT) | instid1(VALU_DEP_3)
	v_cndmask_b32_e32 v160, v162, v160, vcc_lo
	v_cndmask_b32_e64 v12, v12, 0xffffff8a, vcc_lo
	s_delay_alu instid0(VALU_DEP_3) | instskip(NEXT) | instid1(VALU_DEP_3)
	v_lshl_add_u32 v162, 0x100000, v161, -1
	v_lshrrev_b32_e32 v163, v161, v160
	v_lshlrev_b32_e64 v165, v161, 0x80000
	s_delay_alu instid0(VALU_DEP_4) | instskip(NEXT) | instid1(VALU_DEP_4)
	v_add_nc_u32_e32 v161, v161, v12
	v_and_b32_e32 v160, v162, v160
	s_delay_alu instid0(VALU_DEP_4) | instskip(NEXT) | instid1(VALU_DEP_2)
	v_bfe_u32 v164, v163, 20, 1
	v_cmp_eq_u32_e64 s14, v160, v165
	s_delay_alu instid0(VALU_DEP_2) | instskip(NEXT) | instid1(VALU_DEP_1)
	v_add_nc_u32_e32 v162, -1, v164
	v_cndmask_b32_e64 v160, 0, v162, s14
	v_lshrrev_b32_e32 v162, 23, v163
	s_mov_b32 s14, exec_lo
	s_delay_alu instid0(VALU_DEP_2) | instskip(NEXT) | instid1(VALU_DEP_2)
	v_add_nc_u32_e32 v160, v160, v163
	v_xor_b32_e32 v162, 1, v162
	s_delay_alu instid0(VALU_DEP_2) | instskip(NEXT) | instid1(VALU_DEP_1)
	v_and_b32_e32 v12, 0xfffff, v160
	v_add_nc_u32_e32 v160, v12, v163
                                        ; implicit-def: $vgpr12
	s_delay_alu instid0(VALU_DEP_3)
	v_cmpx_ne_u32_e64 v161, v162
	s_xor_b32 s14, exec_lo, s14
; %bb.3360:                             ;   in Loop: Header=BB2_3220 Depth=3
	s_delay_alu instid0(VALU_DEP_2) | instskip(SKIP_2) | instid1(VALU_DEP_2)
	v_cmp_lt_u32_e32 vcc_lo, 0xffffff, v160
	v_sub_nc_u32_e32 v12, v161, v162
	v_cndmask_b32_e64 v161, 0, 1, vcc_lo
	v_add_co_ci_u32_e32 v12, vcc_lo, 0, v12, vcc_lo
	s_delay_alu instid0(VALU_DEP_2)
	v_lshrrev_b32_e32 v160, v161, v160
; %bb.3361:                             ;   in Loop: Header=BB2_3220 Depth=3
	s_and_not1_saveexec_b32 s14, s14
; %bb.3362:                             ;   in Loop: Header=BB2_3220 Depth=3
	s_delay_alu instid0(VALU_DEP_1)
	v_bfe_u32 v12, v160, 23, 1
; %bb.3363:                             ;   in Loop: Header=BB2_3220 Depth=3
	s_or_b32 exec_lo, exec_lo, s14
	v_lshrrev_b32_e32 v160, 20, v160
	s_delay_alu instid0(VALU_DEP_2) | instskip(SKIP_2) | instid1(VALU_DEP_2)
	v_cmp_gt_i32_e32 vcc_lo, 16, v12
	v_lshrrev_b32_e32 v151, 24, v151
	v_min_i32_e32 v161, 15, v12
	v_dual_cndmask_b32 v160, 7, v160 :: v_dual_and_b32 v151, 0x80, v151
	s_delay_alu instid0(VALU_DEP_1) | instskip(SKIP_1) | instid1(VALU_DEP_2)
	v_or_b32_e32 v12, v12, v160
	v_and_b32_e32 v162, 7, v160
	v_cmp_ne_u32_e32 vcc_lo, 0, v12
	v_lshlrev_b32_e32 v161, 3, v161
	s_delay_alu instid0(VALU_DEP_1) | instskip(NEXT) | instid1(VALU_DEP_1)
	v_or3_b32 v151, v161, v151, v162
	v_cndmask_b32_e32 v12, 0, v151, vcc_lo
.LBB2_3364:                             ;   in Loop: Header=BB2_3220 Depth=3
	s_or_b32 exec_lo, exec_lo, s35
.LBB2_3365:                             ;   in Loop: Header=BB2_3220 Depth=3
	s_delay_alu instid0(SALU_CYCLE_1) | instskip(SKIP_3) | instid1(VALU_DEP_2)
	s_or_b32 exec_lo, exec_lo, s15
	v_lshrrev_b16 v160, 8, v13
	v_lshrrev_b16 v151, 8, v9
	s_and_b32 vcc_lo, exec_lo, s34
	v_cmp_lt_i16_e64 s14, 0x7f, v160
	s_cbranch_vccz .LBB2_3375
; %bb.3366:                             ;   in Loop: Header=BB2_3220 Depth=3
	s_mov_b32 s15, 0
                                        ; implicit-def: $sgpr35
	s_delay_alu instid0(VALU_DEP_1) | instskip(NEXT) | instid1(SALU_CYCLE_1)
	s_and_saveexec_b32 vcc_lo, s14
	s_xor_b32 s14, exec_lo, vcc_lo
	s_cbranch_execnz .LBB2_3767
; %bb.3367:                             ;   in Loop: Header=BB2_3220 Depth=3
	s_or_saveexec_b32 s14, s14
	v_mov_b32_e32 v161, s35
	s_xor_b32 exec_lo, exec_lo, s14
	s_cbranch_execnz .LBB2_3770
.LBB2_3368:                             ;   in Loop: Header=BB2_3220 Depth=3
	s_or_b32 exec_lo, exec_lo, s14
	s_and_saveexec_b32 s14, s15
	s_cbranch_execz .LBB2_3370
.LBB2_3369:                             ;   in Loop: Header=BB2_3220 Depth=3
	v_and_b32_e32 v161, 0xffff, v160
	s_delay_alu instid0(VALU_DEP_1) | instskip(NEXT) | instid1(VALU_DEP_1)
	v_and_b32_e32 v162, 7, v161
	v_clz_i32_u32_e32 v163, v162
	s_delay_alu instid0(VALU_DEP_1) | instskip(NEXT) | instid1(VALU_DEP_1)
	v_min_u32_e32 v163, 32, v163
	v_subrev_nc_u32_e32 v164, 28, v163
	v_sub_nc_u32_e32 v163, 29, v163
	s_delay_alu instid0(VALU_DEP_2) | instskip(SKIP_1) | instid1(VALU_DEP_2)
	v_lshlrev_b32_e32 v164, v164, v161
	v_bfe_u32 v161, v161, 3, 4
	v_and_b32_e32 v164, 7, v164
	s_delay_alu instid0(VALU_DEP_2) | instskip(SKIP_1) | instid1(VALU_DEP_3)
	v_cmp_eq_u32_e32 vcc_lo, 0, v161
	v_cndmask_b32_e32 v161, v161, v163, vcc_lo
	v_dual_cndmask_b32 v162, v162, v164 :: v_dual_lshlrev_b32 v165, 16, v13
	s_delay_alu instid0(VALU_DEP_2) | instskip(NEXT) | instid1(VALU_DEP_2)
	v_lshl_add_u32 v161, v161, 23, 0x3b800000
	v_and_b32_e32 v163, 0x80000000, v165
	s_delay_alu instid0(VALU_DEP_3) | instskip(NEXT) | instid1(VALU_DEP_1)
	v_lshlrev_b32_e32 v162, 20, v162
	v_or3_b32 v161, v163, v161, v162
.LBB2_3370:                             ;   in Loop: Header=BB2_3220 Depth=3
	s_or_b32 exec_lo, exec_lo, s14
	s_mov_b32 s14, 0
	s_mov_b32 s35, exec_lo
                                        ; implicit-def: $sgpr15
	v_cmpx_lt_i16_e64 0x7f, v151
	s_xor_b32 s35, exec_lo, s35
	s_cbranch_execnz .LBB2_3771
; %bb.3371:                             ;   in Loop: Header=BB2_3220 Depth=3
	s_or_saveexec_b32 s35, s35
	v_mov_b32_e32 v162, s15
	s_xor_b32 exec_lo, exec_lo, s35
	s_cbranch_execnz .LBB2_3774
.LBB2_3372:                             ;   in Loop: Header=BB2_3220 Depth=3
	s_or_b32 exec_lo, exec_lo, s35
	s_and_saveexec_b32 s15, s14
	s_cbranch_execz .LBB2_3374
.LBB2_3373:                             ;   in Loop: Header=BB2_3220 Depth=3
	v_and_b32_e32 v162, 0xffff, v151
	v_lshlrev_b32_e32 v166, 16, v9
	s_delay_alu instid0(VALU_DEP_2) | instskip(NEXT) | instid1(VALU_DEP_1)
	v_and_b32_e32 v163, 7, v162
	v_clz_i32_u32_e32 v164, v163
	s_delay_alu instid0(VALU_DEP_1) | instskip(NEXT) | instid1(VALU_DEP_1)
	v_min_u32_e32 v164, 32, v164
	v_subrev_nc_u32_e32 v165, 28, v164
	v_sub_nc_u32_e32 v164, 29, v164
	s_delay_alu instid0(VALU_DEP_2) | instskip(SKIP_1) | instid1(VALU_DEP_2)
	v_lshlrev_b32_e32 v165, v165, v162
	v_bfe_u32 v162, v162, 3, 4
	v_and_b32_e32 v165, 7, v165
	s_delay_alu instid0(VALU_DEP_2) | instskip(NEXT) | instid1(VALU_DEP_2)
	v_cmp_eq_u32_e32 vcc_lo, 0, v162
	v_dual_cndmask_b32 v162, v162, v164 :: v_dual_cndmask_b32 v163, v163, v165
	v_and_b32_e32 v164, 0x80000000, v166
	s_delay_alu instid0(VALU_DEP_2) | instskip(NEXT) | instid1(VALU_DEP_3)
	v_lshl_add_u32 v162, v162, 23, 0x3b800000
	v_lshlrev_b32_e32 v163, 20, v163
	s_delay_alu instid0(VALU_DEP_1)
	v_or3_b32 v162, v164, v162, v163
.LBB2_3374:                             ;   in Loop: Header=BB2_3220 Depth=3
	s_or_b32 exec_lo, exec_lo, s15
	s_delay_alu instid0(VALU_DEP_1) | instskip(SKIP_1) | instid1(VALU_DEP_1)
	v_dual_max_f32 v162, v162, v162 :: v_dual_max_f32 v161, v161, v161
	s_mov_b32 s14, 0
	v_max_f32_e32 v161, v161, v162
	s_branch .LBB2_3376
.LBB2_3375:                             ;   in Loop: Header=BB2_3220 Depth=3
	s_mov_b32 s14, -1
                                        ; implicit-def: $vgpr161
.LBB2_3376:                             ;   in Loop: Header=BB2_3220 Depth=3
	s_delay_alu instid0(SALU_CYCLE_1)
	s_and_b32 vcc_lo, exec_lo, s14
	s_cbranch_vccz .LBB2_3386
; %bb.3377:                             ;   in Loop: Header=BB2_3220 Depth=3
	s_mov_b32 s14, 0
	s_mov_b32 s35, exec_lo
                                        ; implicit-def: $sgpr15
	v_cmpx_lt_i16_e64 0x7f, v160
	s_xor_b32 s35, exec_lo, s35
	s_cbranch_execnz .LBB2_3775
; %bb.3378:                             ;   in Loop: Header=BB2_3220 Depth=3
	s_or_saveexec_b32 s35, s35
	v_mov_b32_e32 v161, s15
	s_xor_b32 exec_lo, exec_lo, s35
	s_cbranch_execnz .LBB2_3778
.LBB2_3379:                             ;   in Loop: Header=BB2_3220 Depth=3
	s_or_b32 exec_lo, exec_lo, s35
	s_and_saveexec_b32 s15, s14
	s_cbranch_execz .LBB2_3381
.LBB2_3380:                             ;   in Loop: Header=BB2_3220 Depth=3
	v_and_b32_e32 v160, 0xffff, v160
	v_lshlrev_b32_e32 v164, 16, v13
	s_delay_alu instid0(VALU_DEP_2) | instskip(NEXT) | instid1(VALU_DEP_1)
	v_and_b32_e32 v161, 7, v160
	v_clz_i32_u32_e32 v162, v161
	s_delay_alu instid0(VALU_DEP_1) | instskip(NEXT) | instid1(VALU_DEP_1)
	v_min_u32_e32 v162, 32, v162
	v_subrev_nc_u32_e32 v163, 28, v162
	v_sub_nc_u32_e32 v162, 29, v162
	s_delay_alu instid0(VALU_DEP_2) | instskip(SKIP_1) | instid1(VALU_DEP_2)
	v_lshlrev_b32_e32 v163, v163, v160
	v_bfe_u32 v160, v160, 3, 4
	v_and_b32_e32 v163, 7, v163
	s_delay_alu instid0(VALU_DEP_2) | instskip(NEXT) | instid1(VALU_DEP_2)
	v_cmp_eq_u32_e32 vcc_lo, 0, v160
	v_dual_cndmask_b32 v160, v160, v162 :: v_dual_cndmask_b32 v161, v161, v163
	v_and_b32_e32 v162, 0x80000000, v164
	s_delay_alu instid0(VALU_DEP_2) | instskip(NEXT) | instid1(VALU_DEP_3)
	v_lshl_add_u32 v160, v160, 23, 0x3b800000
	v_lshlrev_b32_e32 v161, 20, v161
	s_delay_alu instid0(VALU_DEP_1)
	v_or3_b32 v161, v162, v160, v161
.LBB2_3381:                             ;   in Loop: Header=BB2_3220 Depth=3
	s_or_b32 exec_lo, exec_lo, s15
	s_mov_b32 s14, 0
	s_mov_b32 s35, exec_lo
                                        ; implicit-def: $sgpr15
	v_cmpx_lt_i16_e64 0x7f, v151
	s_xor_b32 s35, exec_lo, s35
	s_cbranch_execnz .LBB2_3779
; %bb.3382:                             ;   in Loop: Header=BB2_3220 Depth=3
	s_or_saveexec_b32 s35, s35
	v_mov_b32_e32 v160, s15
	s_xor_b32 exec_lo, exec_lo, s35
	s_cbranch_execnz .LBB2_3782
.LBB2_3383:                             ;   in Loop: Header=BB2_3220 Depth=3
	s_or_b32 exec_lo, exec_lo, s35
	s_and_saveexec_b32 s15, s14
	s_cbranch_execz .LBB2_3385
.LBB2_3384:                             ;   in Loop: Header=BB2_3220 Depth=3
	v_and_b32_e32 v151, 0xffff, v151
	v_lshlrev_b32_e32 v164, 16, v9
	s_delay_alu instid0(VALU_DEP_2) | instskip(NEXT) | instid1(VALU_DEP_1)
	v_and_b32_e32 v160, 7, v151
	v_clz_i32_u32_e32 v162, v160
	s_delay_alu instid0(VALU_DEP_1) | instskip(NEXT) | instid1(VALU_DEP_1)
	v_min_u32_e32 v162, 32, v162
	v_subrev_nc_u32_e32 v163, 28, v162
	v_sub_nc_u32_e32 v162, 29, v162
	s_delay_alu instid0(VALU_DEP_2) | instskip(SKIP_1) | instid1(VALU_DEP_2)
	v_lshlrev_b32_e32 v163, v163, v151
	v_bfe_u32 v151, v151, 3, 4
	v_and_b32_e32 v163, 7, v163
	s_delay_alu instid0(VALU_DEP_2) | instskip(NEXT) | instid1(VALU_DEP_2)
	v_cmp_eq_u32_e32 vcc_lo, 0, v151
	v_dual_cndmask_b32 v151, v151, v162 :: v_dual_cndmask_b32 v160, v160, v163
	v_and_b32_e32 v162, 0x80000000, v164
	s_delay_alu instid0(VALU_DEP_2) | instskip(NEXT) | instid1(VALU_DEP_3)
	v_lshl_add_u32 v151, v151, 23, 0x3b800000
	v_lshlrev_b32_e32 v160, 20, v160
	s_delay_alu instid0(VALU_DEP_1)
	v_or3_b32 v160, v162, v151, v160
.LBB2_3385:                             ;   in Loop: Header=BB2_3220 Depth=3
	s_or_b32 exec_lo, exec_lo, s15
	s_delay_alu instid0(VALU_DEP_1) | instskip(NEXT) | instid1(VALU_DEP_1)
	v_dual_max_f32 v151, v160, v160 :: v_dual_max_f32 v160, v161, v161
	v_min_f32_e32 v161, v160, v151
.LBB2_3386:                             ;   in Loop: Header=BB2_3220 Depth=3
	s_delay_alu instid0(VALU_DEP_1) | instskip(NEXT) | instid1(VALU_DEP_1)
	v_and_b32_e32 v151, 0x7f800000, v161
	v_cmp_ne_u32_e32 vcc_lo, 0x7f800000, v151
	v_mov_b32_e32 v151, 0x80
	s_and_saveexec_b32 s15, vcc_lo
	s_cbranch_execz .LBB2_3394
; %bb.3387:                             ;   in Loop: Header=BB2_3220 Depth=3
	v_mov_b32_e32 v151, 0
	s_mov_b32 s35, exec_lo
	v_cmpx_ne_u32_e32 0, v161
	s_cbranch_execz .LBB2_3393
; %bb.3388:                             ;   in Loop: Header=BB2_3220 Depth=3
	v_bfe_u32 v151, v161, 23, 8
	v_and_b32_e32 v160, 0x7fffff, v161
	s_delay_alu instid0(VALU_DEP_2) | instskip(SKIP_1) | instid1(VALU_DEP_3)
	v_sub_nc_u32_e32 v162, 0x78, v151
	v_cmp_gt_u32_e32 vcc_lo, 0x79, v151
	v_or_b32_e32 v163, 0x800000, v160
	s_delay_alu instid0(VALU_DEP_3) | instskip(SKIP_2) | instid1(VALU_DEP_3)
	v_cndmask_b32_e32 v162, 0, v162, vcc_lo
	v_cmp_eq_u32_e32 vcc_lo, 0, v151
	v_add_nc_u32_e32 v151, 0xffffff89, v151
	v_cndmask_b32_e64 v162, v162, 0x77, vcc_lo
	v_cndmask_b32_e32 v160, v163, v160, vcc_lo
	s_delay_alu instid0(VALU_DEP_3) | instskip(NEXT) | instid1(VALU_DEP_3)
	v_cndmask_b32_e64 v151, v151, 0xffffff8a, vcc_lo
	v_lshl_add_u32 v163, 0x100000, v162, -1
	s_delay_alu instid0(VALU_DEP_3) | instskip(SKIP_1) | instid1(VALU_DEP_4)
	v_lshrrev_b32_e32 v164, v162, v160
	v_lshlrev_b32_e64 v166, v162, 0x80000
	v_add_nc_u32_e32 v162, v162, v151
	s_delay_alu instid0(VALU_DEP_4) | instskip(NEXT) | instid1(VALU_DEP_4)
	v_and_b32_e32 v160, v163, v160
	v_bfe_u32 v165, v164, 20, 1
	s_delay_alu instid0(VALU_DEP_2) | instskip(NEXT) | instid1(VALU_DEP_2)
	v_cmp_eq_u32_e64 s14, v160, v166
	v_add_nc_u32_e32 v163, -1, v165
	s_delay_alu instid0(VALU_DEP_1) | instskip(SKIP_2) | instid1(VALU_DEP_2)
	v_cndmask_b32_e64 v160, 0, v163, s14
	v_lshrrev_b32_e32 v163, 23, v164
	s_mov_b32 s14, exec_lo
	v_add_nc_u32_e32 v160, v160, v164
	s_delay_alu instid0(VALU_DEP_2) | instskip(NEXT) | instid1(VALU_DEP_2)
	v_xor_b32_e32 v163, 1, v163
	v_and_b32_e32 v151, 0xfffff, v160
	s_delay_alu instid0(VALU_DEP_1) | instskip(NEXT) | instid1(VALU_DEP_3)
	v_add_nc_u32_e32 v160, v151, v164
                                        ; implicit-def: $vgpr151
	v_cmpx_ne_u32_e64 v162, v163
	s_xor_b32 s14, exec_lo, s14
; %bb.3389:                             ;   in Loop: Header=BB2_3220 Depth=3
	s_delay_alu instid0(VALU_DEP_2) | instskip(SKIP_2) | instid1(VALU_DEP_2)
	v_cmp_lt_u32_e32 vcc_lo, 0xffffff, v160
	v_sub_nc_u32_e32 v151, v162, v163
	v_cndmask_b32_e64 v162, 0, 1, vcc_lo
	v_add_co_ci_u32_e32 v151, vcc_lo, 0, v151, vcc_lo
	s_delay_alu instid0(VALU_DEP_2)
	v_lshrrev_b32_e32 v160, v162, v160
; %bb.3390:                             ;   in Loop: Header=BB2_3220 Depth=3
	s_and_not1_saveexec_b32 s14, s14
; %bb.3391:                             ;   in Loop: Header=BB2_3220 Depth=3
	s_delay_alu instid0(VALU_DEP_1)
	v_bfe_u32 v151, v160, 23, 1
; %bb.3392:                             ;   in Loop: Header=BB2_3220 Depth=3
	s_or_b32 exec_lo, exec_lo, s14
	v_lshrrev_b32_e32 v160, 20, v160
	s_delay_alu instid0(VALU_DEP_2) | instskip(SKIP_2) | instid1(VALU_DEP_2)
	v_cmp_gt_i32_e32 vcc_lo, 16, v151
	v_lshrrev_b32_e32 v161, 24, v161
	v_min_i32_e32 v162, 15, v151
	v_dual_cndmask_b32 v160, 7, v160 :: v_dual_and_b32 v161, 0x80, v161
	s_delay_alu instid0(VALU_DEP_1) | instskip(SKIP_1) | instid1(VALU_DEP_2)
	v_or_b32_e32 v151, v151, v160
	v_and_b32_e32 v163, 7, v160
	v_cmp_ne_u32_e32 vcc_lo, 0, v151
	v_lshlrev_b32_e32 v162, 3, v162
	s_delay_alu instid0(VALU_DEP_1) | instskip(NEXT) | instid1(VALU_DEP_1)
	v_or3_b32 v160, v162, v161, v163
	v_cndmask_b32_e32 v151, 0, v160, vcc_lo
.LBB2_3393:                             ;   in Loop: Header=BB2_3220 Depth=3
	s_or_b32 exec_lo, exec_lo, s35
.LBB2_3394:                             ;   in Loop: Header=BB2_3220 Depth=3
	s_delay_alu instid0(SALU_CYCLE_1) | instskip(SKIP_3) | instid1(VALU_DEP_2)
	s_or_b32 exec_lo, exec_lo, s15
	v_lshrrev_b32_e32 v161, 16, v13
	v_lshrrev_b32_e32 v160, 16, v9
	s_and_b32 vcc_lo, exec_lo, s34
	v_and_b32_e32 v162, 0xff, v161
	s_delay_alu instid0(VALU_DEP_1)
	v_cmp_lt_i16_e64 s14, 0x7f, v162
	s_cbranch_vccz .LBB2_3404
; %bb.3395:                             ;   in Loop: Header=BB2_3220 Depth=3
	s_mov_b32 s15, 0
                                        ; implicit-def: $sgpr35
	s_delay_alu instid0(VALU_DEP_1) | instskip(NEXT) | instid1(SALU_CYCLE_1)
	s_and_saveexec_b32 vcc_lo, s14
	s_xor_b32 s14, exec_lo, vcc_lo
	s_cbranch_execnz .LBB2_3783
; %bb.3396:                             ;   in Loop: Header=BB2_3220 Depth=3
	s_or_saveexec_b32 s14, s14
	v_mov_b32_e32 v163, s35
	s_xor_b32 exec_lo, exec_lo, s14
	s_cbranch_execnz .LBB2_3786
.LBB2_3397:                             ;   in Loop: Header=BB2_3220 Depth=3
	s_or_b32 exec_lo, exec_lo, s14
	s_and_saveexec_b32 s14, s15
	s_cbranch_execz .LBB2_3399
.LBB2_3398:                             ;   in Loop: Header=BB2_3220 Depth=3
	v_bfe_u32 v163, v13, 16, 3
	v_bfe_u32 v166, v13, 19, 4
	v_lshlrev_b32_e32 v167, 24, v161
	s_delay_alu instid0(VALU_DEP_3) | instskip(NEXT) | instid1(VALU_DEP_3)
	v_clz_i32_u32_e32 v164, v163
	v_cmp_eq_u32_e32 vcc_lo, 0, v166
	s_delay_alu instid0(VALU_DEP_2) | instskip(NEXT) | instid1(VALU_DEP_1)
	v_min_u32_e32 v164, 32, v164
	v_subrev_nc_u32_e32 v165, 28, v164
	v_sub_nc_u32_e32 v164, 29, v164
	s_delay_alu instid0(VALU_DEP_1) | instskip(NEXT) | instid1(VALU_DEP_1)
	v_dual_cndmask_b32 v164, v166, v164 :: v_dual_lshlrev_b32 v165, v165, v161
	v_and_b32_e32 v165, 7, v165
	s_delay_alu instid0(VALU_DEP_2) | instskip(NEXT) | instid1(VALU_DEP_2)
	v_lshl_add_u32 v164, v164, 23, 0x3b800000
	v_cndmask_b32_e32 v163, v163, v165, vcc_lo
	v_and_b32_e32 v165, 0x80000000, v167
	s_delay_alu instid0(VALU_DEP_2) | instskip(NEXT) | instid1(VALU_DEP_1)
	v_lshlrev_b32_e32 v163, 20, v163
	v_or3_b32 v163, v165, v164, v163
.LBB2_3399:                             ;   in Loop: Header=BB2_3220 Depth=3
	s_or_b32 exec_lo, exec_lo, s14
	v_and_b32_e32 v165, 0xff, v160
	s_mov_b32 s14, 0
	s_mov_b32 s35, exec_lo
                                        ; implicit-def: $sgpr15
	s_delay_alu instid0(VALU_DEP_1)
	v_cmpx_lt_i16_e64 0x7f, v165
	s_xor_b32 s35, exec_lo, s35
	s_cbranch_execnz .LBB2_3787
; %bb.3400:                             ;   in Loop: Header=BB2_3220 Depth=3
	s_or_saveexec_b32 s35, s35
	v_mov_b32_e32 v164, s15
	s_xor_b32 exec_lo, exec_lo, s35
	s_cbranch_execnz .LBB2_3790
.LBB2_3401:                             ;   in Loop: Header=BB2_3220 Depth=3
	s_or_b32 exec_lo, exec_lo, s35
	s_and_saveexec_b32 s15, s14
	s_cbranch_execz .LBB2_3403
.LBB2_3402:                             ;   in Loop: Header=BB2_3220 Depth=3
	v_bfe_u32 v164, v9, 16, 3
	v_bfe_u32 v167, v9, 19, 4
	v_lshlrev_b32_e32 v176, 24, v160
	s_delay_alu instid0(VALU_DEP_3) | instskip(NEXT) | instid1(VALU_DEP_3)
	v_clz_i32_u32_e32 v165, v164
	v_cmp_eq_u32_e32 vcc_lo, 0, v167
	s_delay_alu instid0(VALU_DEP_2) | instskip(NEXT) | instid1(VALU_DEP_1)
	v_min_u32_e32 v165, 32, v165
	v_subrev_nc_u32_e32 v166, 28, v165
	v_sub_nc_u32_e32 v165, 29, v165
	s_delay_alu instid0(VALU_DEP_1) | instskip(NEXT) | instid1(VALU_DEP_1)
	v_dual_cndmask_b32 v165, v167, v165 :: v_dual_lshlrev_b32 v166, v166, v160
	v_and_b32_e32 v166, 7, v166
	s_delay_alu instid0(VALU_DEP_2) | instskip(NEXT) | instid1(VALU_DEP_2)
	v_lshl_add_u32 v165, v165, 23, 0x3b800000
	v_cndmask_b32_e32 v164, v164, v166, vcc_lo
	v_and_b32_e32 v166, 0x80000000, v176
	s_delay_alu instid0(VALU_DEP_2) | instskip(NEXT) | instid1(VALU_DEP_1)
	v_lshlrev_b32_e32 v164, 20, v164
	v_or3_b32 v164, v166, v165, v164
.LBB2_3403:                             ;   in Loop: Header=BB2_3220 Depth=3
	s_or_b32 exec_lo, exec_lo, s15
	s_delay_alu instid0(VALU_DEP_1) | instskip(SKIP_1) | instid1(VALU_DEP_1)
	v_dual_max_f32 v164, v164, v164 :: v_dual_max_f32 v163, v163, v163
	s_mov_b32 s14, 0
	v_max_f32_e32 v163, v163, v164
	s_branch .LBB2_3405
.LBB2_3404:                             ;   in Loop: Header=BB2_3220 Depth=3
	s_mov_b32 s14, -1
                                        ; implicit-def: $vgpr163
.LBB2_3405:                             ;   in Loop: Header=BB2_3220 Depth=3
	s_delay_alu instid0(SALU_CYCLE_1)
	s_and_b32 vcc_lo, exec_lo, s14
	s_cbranch_vccz .LBB2_3415
; %bb.3406:                             ;   in Loop: Header=BB2_3220 Depth=3
	s_mov_b32 s14, 0
	s_mov_b32 s35, exec_lo
                                        ; implicit-def: $sgpr15
	v_cmpx_lt_i16_e64 0x7f, v162
	s_xor_b32 s35, exec_lo, s35
	s_cbranch_execnz .LBB2_3791
; %bb.3407:                             ;   in Loop: Header=BB2_3220 Depth=3
	s_or_saveexec_b32 s35, s35
	v_mov_b32_e32 v163, s15
	s_xor_b32 exec_lo, exec_lo, s35
	s_cbranch_execnz .LBB2_3794
.LBB2_3408:                             ;   in Loop: Header=BB2_3220 Depth=3
	s_or_b32 exec_lo, exec_lo, s35
	s_and_saveexec_b32 s15, s14
	s_cbranch_execz .LBB2_3410
.LBB2_3409:                             ;   in Loop: Header=BB2_3220 Depth=3
	v_bfe_u32 v162, v13, 16, 3
	v_bfe_u32 v165, v13, 19, 4
	s_delay_alu instid0(VALU_DEP_2) | instskip(NEXT) | instid1(VALU_DEP_2)
	v_clz_i32_u32_e32 v163, v162
	v_cmp_eq_u32_e32 vcc_lo, 0, v165
	s_delay_alu instid0(VALU_DEP_2) | instskip(NEXT) | instid1(VALU_DEP_1)
	v_min_u32_e32 v163, 32, v163
	v_subrev_nc_u32_e32 v164, 28, v163
	v_sub_nc_u32_e32 v163, 29, v163
	s_delay_alu instid0(VALU_DEP_1) | instskip(NEXT) | instid1(VALU_DEP_1)
	v_dual_cndmask_b32 v163, v165, v163 :: v_dual_lshlrev_b32 v164, v164, v161
	v_and_b32_e32 v164, 7, v164
	v_lshlrev_b32_e32 v161, 24, v161
	s_delay_alu instid0(VALU_DEP_3) | instskip(NEXT) | instid1(VALU_DEP_2)
	v_lshl_add_u32 v163, v163, 23, 0x3b800000
	v_dual_cndmask_b32 v162, v162, v164 :: v_dual_and_b32 v161, 0x80000000, v161
	s_delay_alu instid0(VALU_DEP_1) | instskip(NEXT) | instid1(VALU_DEP_1)
	v_lshlrev_b32_e32 v162, 20, v162
	v_or3_b32 v163, v161, v163, v162
.LBB2_3410:                             ;   in Loop: Header=BB2_3220 Depth=3
	s_or_b32 exec_lo, exec_lo, s15
	v_and_b32_e32 v162, 0xff, v160
	s_mov_b32 s14, 0
	s_mov_b32 s35, exec_lo
                                        ; implicit-def: $sgpr15
	s_delay_alu instid0(VALU_DEP_1)
	v_cmpx_lt_i16_e64 0x7f, v162
	s_xor_b32 s35, exec_lo, s35
	s_cbranch_execnz .LBB2_3795
; %bb.3411:                             ;   in Loop: Header=BB2_3220 Depth=3
	s_or_saveexec_b32 s35, s35
	v_mov_b32_e32 v161, s15
	s_xor_b32 exec_lo, exec_lo, s35
	s_cbranch_execnz .LBB2_3798
.LBB2_3412:                             ;   in Loop: Header=BB2_3220 Depth=3
	s_or_b32 exec_lo, exec_lo, s35
	s_and_saveexec_b32 s15, s14
	s_cbranch_execz .LBB2_3414
.LBB2_3413:                             ;   in Loop: Header=BB2_3220 Depth=3
	v_bfe_u32 v161, v9, 16, 3
	v_bfe_u32 v165, v9, 19, 4
	s_delay_alu instid0(VALU_DEP_2) | instskip(NEXT) | instid1(VALU_DEP_2)
	v_clz_i32_u32_e32 v162, v161
	v_cmp_eq_u32_e32 vcc_lo, 0, v165
	s_delay_alu instid0(VALU_DEP_2) | instskip(NEXT) | instid1(VALU_DEP_1)
	v_min_u32_e32 v162, 32, v162
	v_subrev_nc_u32_e32 v164, 28, v162
	v_sub_nc_u32_e32 v162, 29, v162
	s_delay_alu instid0(VALU_DEP_2) | instskip(SKIP_1) | instid1(VALU_DEP_2)
	v_lshlrev_b32_e32 v164, v164, v160
	v_lshlrev_b32_e32 v160, 24, v160
	v_and_b32_e32 v164, 7, v164
	s_delay_alu instid0(VALU_DEP_2) | instskip(NEXT) | instid1(VALU_DEP_2)
	v_and_b32_e32 v160, 0x80000000, v160
	v_cndmask_b32_e32 v161, v161, v164, vcc_lo
	s_delay_alu instid0(VALU_DEP_1) | instskip(NEXT) | instid1(VALU_DEP_1)
	v_dual_cndmask_b32 v162, v165, v162 :: v_dual_lshlrev_b32 v161, 20, v161
	v_lshl_add_u32 v162, v162, 23, 0x3b800000
	s_delay_alu instid0(VALU_DEP_1)
	v_or3_b32 v161, v160, v162, v161
.LBB2_3414:                             ;   in Loop: Header=BB2_3220 Depth=3
	s_or_b32 exec_lo, exec_lo, s15
	s_delay_alu instid0(VALU_DEP_1) | instskip(NEXT) | instid1(VALU_DEP_1)
	v_dual_max_f32 v160, v161, v161 :: v_dual_max_f32 v161, v163, v163
	v_min_f32_e32 v163, v161, v160
.LBB2_3415:                             ;   in Loop: Header=BB2_3220 Depth=3
	s_delay_alu instid0(VALU_DEP_1) | instskip(NEXT) | instid1(VALU_DEP_1)
	v_and_b32_e32 v160, 0x7f800000, v163
	v_cmp_ne_u32_e32 vcc_lo, 0x7f800000, v160
	v_mov_b32_e32 v160, 0x80
	s_and_saveexec_b32 s15, vcc_lo
	s_cbranch_execz .LBB2_3423
; %bb.3416:                             ;   in Loop: Header=BB2_3220 Depth=3
	v_mov_b32_e32 v160, 0
	s_mov_b32 s35, exec_lo
	v_cmpx_ne_u32_e32 0, v163
	s_cbranch_execz .LBB2_3422
; %bb.3417:                             ;   in Loop: Header=BB2_3220 Depth=3
	v_bfe_u32 v160, v163, 23, 8
	s_delay_alu instid0(VALU_DEP_1) | instskip(SKIP_1) | instid1(VALU_DEP_2)
	v_sub_nc_u32_e32 v162, 0x78, v160
	v_cmp_gt_u32_e32 vcc_lo, 0x79, v160
	v_dual_cndmask_b32 v162, 0, v162 :: v_dual_and_b32 v161, 0x7fffff, v163
	s_delay_alu instid0(VALU_DEP_1) | instskip(SKIP_2) | instid1(VALU_DEP_4)
	v_or_b32_e32 v164, 0x800000, v161
	v_cmp_eq_u32_e32 vcc_lo, 0, v160
	v_add_nc_u32_e32 v160, 0xffffff89, v160
	v_cndmask_b32_e64 v162, v162, 0x77, vcc_lo
	s_delay_alu instid0(VALU_DEP_4) | instskip(NEXT) | instid1(VALU_DEP_3)
	v_cndmask_b32_e32 v161, v164, v161, vcc_lo
	v_cndmask_b32_e64 v160, v160, 0xffffff8a, vcc_lo
	s_delay_alu instid0(VALU_DEP_3) | instskip(NEXT) | instid1(VALU_DEP_3)
	v_lshl_add_u32 v164, 0x100000, v162, -1
	v_lshrrev_b32_e32 v165, v162, v161
	v_lshlrev_b32_e64 v167, v162, 0x80000
	s_delay_alu instid0(VALU_DEP_4) | instskip(NEXT) | instid1(VALU_DEP_4)
	v_add_nc_u32_e32 v162, v162, v160
	v_and_b32_e32 v161, v164, v161
	s_delay_alu instid0(VALU_DEP_4) | instskip(NEXT) | instid1(VALU_DEP_2)
	v_bfe_u32 v166, v165, 20, 1
	v_cmp_eq_u32_e64 s14, v161, v167
	s_delay_alu instid0(VALU_DEP_2) | instskip(NEXT) | instid1(VALU_DEP_1)
	v_add_nc_u32_e32 v164, -1, v166
	v_cndmask_b32_e64 v161, 0, v164, s14
	v_lshrrev_b32_e32 v164, 23, v165
	s_mov_b32 s14, exec_lo
	s_delay_alu instid0(VALU_DEP_2) | instskip(NEXT) | instid1(VALU_DEP_2)
	v_add_nc_u32_e32 v161, v161, v165
	v_xor_b32_e32 v164, 1, v164
	s_delay_alu instid0(VALU_DEP_2) | instskip(NEXT) | instid1(VALU_DEP_1)
	v_and_b32_e32 v160, 0xfffff, v161
	v_add_nc_u32_e32 v161, v160, v165
                                        ; implicit-def: $vgpr160
	s_delay_alu instid0(VALU_DEP_3)
	v_cmpx_ne_u32_e64 v162, v164
	s_xor_b32 s14, exec_lo, s14
; %bb.3418:                             ;   in Loop: Header=BB2_3220 Depth=3
	s_delay_alu instid0(VALU_DEP_2) | instskip(SKIP_2) | instid1(VALU_DEP_2)
	v_cmp_lt_u32_e32 vcc_lo, 0xffffff, v161
	v_sub_nc_u32_e32 v160, v162, v164
	v_cndmask_b32_e64 v162, 0, 1, vcc_lo
	v_add_co_ci_u32_e32 v160, vcc_lo, 0, v160, vcc_lo
	s_delay_alu instid0(VALU_DEP_2)
	v_lshrrev_b32_e32 v161, v162, v161
; %bb.3419:                             ;   in Loop: Header=BB2_3220 Depth=3
	s_and_not1_saveexec_b32 s14, s14
; %bb.3420:                             ;   in Loop: Header=BB2_3220 Depth=3
	s_delay_alu instid0(VALU_DEP_1)
	v_bfe_u32 v160, v161, 23, 1
; %bb.3421:                             ;   in Loop: Header=BB2_3220 Depth=3
	s_or_b32 exec_lo, exec_lo, s14
	v_lshrrev_b32_e32 v161, 20, v161
	s_delay_alu instid0(VALU_DEP_2) | instskip(SKIP_2) | instid1(VALU_DEP_2)
	v_cmp_gt_i32_e32 vcc_lo, 16, v160
	v_min_i32_e32 v162, 15, v160
	v_lshrrev_b32_e32 v163, 24, v163
	v_dual_cndmask_b32 v161, 7, v161 :: v_dual_lshlrev_b32 v162, 3, v162
	s_delay_alu instid0(VALU_DEP_1) | instskip(SKIP_1) | instid1(VALU_DEP_3)
	v_or_b32_e32 v160, v160, v161
	v_and_b32_e32 v164, 7, v161
	v_and_b32_e32 v162, 0xf8, v162
	s_delay_alu instid0(VALU_DEP_3) | instskip(SKIP_1) | instid1(VALU_DEP_1)
	v_cmp_ne_u32_e32 vcc_lo, 0, v160
	v_and_b32_e32 v163, 0x80, v163
	v_or3_b32 v161, v162, v163, v164
	s_delay_alu instid0(VALU_DEP_1)
	v_cndmask_b32_e32 v160, 0, v161, vcc_lo
.LBB2_3422:                             ;   in Loop: Header=BB2_3220 Depth=3
	s_or_b32 exec_lo, exec_lo, s35
.LBB2_3423:                             ;   in Loop: Header=BB2_3220 Depth=3
	s_delay_alu instid0(SALU_CYCLE_1) | instskip(SKIP_3) | instid1(VALU_DEP_2)
	s_or_b32 exec_lo, exec_lo, s15
	v_lshrrev_b32_e32 v162, 24, v13
	v_lshrrev_b32_e32 v161, 24, v9
	s_and_b32 vcc_lo, exec_lo, s34
	v_cmp_lt_i16_e64 s14, 0x7f, v162
	s_cbranch_vccz .LBB2_3433
; %bb.3424:                             ;   in Loop: Header=BB2_3220 Depth=3
	s_mov_b32 s15, 0
                                        ; implicit-def: $sgpr35
	s_delay_alu instid0(VALU_DEP_1) | instskip(NEXT) | instid1(SALU_CYCLE_1)
	s_and_saveexec_b32 vcc_lo, s14
	s_xor_b32 s14, exec_lo, vcc_lo
	s_cbranch_execnz .LBB2_3799
; %bb.3425:                             ;   in Loop: Header=BB2_3220 Depth=3
	s_or_saveexec_b32 s14, s14
	v_mov_b32_e32 v163, s35
	s_xor_b32 exec_lo, exec_lo, s14
	s_cbranch_execnz .LBB2_3802
.LBB2_3426:                             ;   in Loop: Header=BB2_3220 Depth=3
	s_or_b32 exec_lo, exec_lo, s14
	s_and_saveexec_b32 s14, s15
	s_cbranch_execz .LBB2_3428
.LBB2_3427:                             ;   in Loop: Header=BB2_3220 Depth=3
	v_bfe_u32 v163, v13, 24, 3
	v_bfe_u32 v166, v13, 27, 4
	s_delay_alu instid0(VALU_DEP_2) | instskip(NEXT) | instid1(VALU_DEP_2)
	v_clz_i32_u32_e32 v164, v163
	v_cmp_eq_u32_e32 vcc_lo, 0, v166
	s_delay_alu instid0(VALU_DEP_2) | instskip(NEXT) | instid1(VALU_DEP_1)
	v_min_u32_e32 v164, 32, v164
	v_subrev_nc_u32_e32 v165, 28, v164
	v_sub_nc_u32_e32 v164, 29, v164
	s_delay_alu instid0(VALU_DEP_1) | instskip(NEXT) | instid1(VALU_DEP_1)
	v_dual_cndmask_b32 v164, v166, v164 :: v_dual_lshlrev_b32 v165, v165, v162
	v_and_b32_e32 v165, 7, v165
	s_delay_alu instid0(VALU_DEP_2) | instskip(NEXT) | instid1(VALU_DEP_2)
	v_lshl_add_u32 v164, v164, 23, 0x3b800000
	v_cndmask_b32_e32 v163, v163, v165, vcc_lo
	v_and_b32_e32 v165, 0x80000000, v13
	s_delay_alu instid0(VALU_DEP_2) | instskip(NEXT) | instid1(VALU_DEP_1)
	v_lshlrev_b32_e32 v163, 20, v163
	v_or3_b32 v163, v165, v164, v163
.LBB2_3428:                             ;   in Loop: Header=BB2_3220 Depth=3
	s_or_b32 exec_lo, exec_lo, s14
	s_mov_b32 s14, 0
	s_mov_b32 s35, exec_lo
                                        ; implicit-def: $sgpr15
	v_cmpx_lt_i16_e64 0x7f, v161
	s_xor_b32 s35, exec_lo, s35
	s_cbranch_execnz .LBB2_3803
; %bb.3429:                             ;   in Loop: Header=BB2_3220 Depth=3
	s_or_saveexec_b32 s35, s35
	v_mov_b32_e32 v164, s15
	s_xor_b32 exec_lo, exec_lo, s35
	s_cbranch_execnz .LBB2_3806
.LBB2_3430:                             ;   in Loop: Header=BB2_3220 Depth=3
	s_or_b32 exec_lo, exec_lo, s35
	s_and_saveexec_b32 s15, s14
	s_cbranch_execz .LBB2_3432
.LBB2_3431:                             ;   in Loop: Header=BB2_3220 Depth=3
	v_bfe_u32 v164, v9, 24, 3
	v_bfe_u32 v167, v9, 27, 4
	s_delay_alu instid0(VALU_DEP_2) | instskip(NEXT) | instid1(VALU_DEP_2)
	v_clz_i32_u32_e32 v165, v164
	v_cmp_eq_u32_e32 vcc_lo, 0, v167
	s_delay_alu instid0(VALU_DEP_2) | instskip(NEXT) | instid1(VALU_DEP_1)
	v_min_u32_e32 v165, 32, v165
	v_subrev_nc_u32_e32 v166, 28, v165
	v_sub_nc_u32_e32 v165, 29, v165
	s_delay_alu instid0(VALU_DEP_2) | instskip(NEXT) | instid1(VALU_DEP_1)
	v_lshlrev_b32_e32 v166, v166, v161
	v_dual_cndmask_b32 v165, v167, v165 :: v_dual_and_b32 v166, 7, v166
	s_delay_alu instid0(VALU_DEP_1) | instskip(NEXT) | instid1(VALU_DEP_2)
	v_lshl_add_u32 v165, v165, 23, 0x3b800000
	v_cndmask_b32_e32 v164, v164, v166, vcc_lo
	v_and_b32_e32 v166, 0x80000000, v9
	s_delay_alu instid0(VALU_DEP_2) | instskip(NEXT) | instid1(VALU_DEP_1)
	v_lshlrev_b32_e32 v164, 20, v164
	v_or3_b32 v164, v166, v165, v164
.LBB2_3432:                             ;   in Loop: Header=BB2_3220 Depth=3
	s_or_b32 exec_lo, exec_lo, s15
	s_delay_alu instid0(VALU_DEP_1) | instskip(SKIP_1) | instid1(VALU_DEP_1)
	v_dual_max_f32 v164, v164, v164 :: v_dual_max_f32 v163, v163, v163
	s_mov_b32 s14, 0
	v_max_f32_e32 v163, v163, v164
	s_branch .LBB2_3434
.LBB2_3433:                             ;   in Loop: Header=BB2_3220 Depth=3
	s_mov_b32 s14, -1
                                        ; implicit-def: $vgpr163
.LBB2_3434:                             ;   in Loop: Header=BB2_3220 Depth=3
	s_delay_alu instid0(SALU_CYCLE_1)
	s_and_b32 vcc_lo, exec_lo, s14
	s_cbranch_vccz .LBB2_3444
; %bb.3435:                             ;   in Loop: Header=BB2_3220 Depth=3
	s_mov_b32 s14, 0
	s_mov_b32 s35, exec_lo
                                        ; implicit-def: $sgpr15
	v_cmpx_lt_i16_e64 0x7f, v162
	s_xor_b32 s35, exec_lo, s35
	s_cbranch_execnz .LBB2_3807
; %bb.3436:                             ;   in Loop: Header=BB2_3220 Depth=3
	s_or_saveexec_b32 s35, s35
	v_mov_b32_e32 v163, s15
	s_xor_b32 exec_lo, exec_lo, s35
	s_cbranch_execnz .LBB2_3810
.LBB2_3437:                             ;   in Loop: Header=BB2_3220 Depth=3
	s_or_b32 exec_lo, exec_lo, s35
	s_and_saveexec_b32 s15, s14
	s_cbranch_execz .LBB2_3439
.LBB2_3438:                             ;   in Loop: Header=BB2_3220 Depth=3
	v_bfe_u32 v163, v13, 24, 3
	s_delay_alu instid0(VALU_DEP_1) | instskip(NEXT) | instid1(VALU_DEP_1)
	v_clz_i32_u32_e32 v164, v163
	v_min_u32_e32 v164, 32, v164
	s_delay_alu instid0(VALU_DEP_1) | instskip(SKIP_1) | instid1(VALU_DEP_2)
	v_subrev_nc_u32_e32 v165, 28, v164
	v_sub_nc_u32_e32 v164, 29, v164
	v_lshlrev_b32_e32 v162, v165, v162
	v_bfe_u32 v165, v13, 27, 4
	v_and_b32_e32 v13, 0x80000000, v13
	s_delay_alu instid0(VALU_DEP_3) | instskip(NEXT) | instid1(VALU_DEP_3)
	v_and_b32_e32 v162, 7, v162
	v_cmp_eq_u32_e32 vcc_lo, 0, v165
	v_cndmask_b32_e32 v164, v165, v164, vcc_lo
	s_delay_alu instid0(VALU_DEP_3) | instskip(NEXT) | instid1(VALU_DEP_2)
	v_cndmask_b32_e32 v162, v163, v162, vcc_lo
	v_lshl_add_u32 v163, v164, 23, 0x3b800000
	s_delay_alu instid0(VALU_DEP_2) | instskip(NEXT) | instid1(VALU_DEP_1)
	v_lshlrev_b32_e32 v162, 20, v162
	v_or3_b32 v163, v13, v163, v162
.LBB2_3439:                             ;   in Loop: Header=BB2_3220 Depth=3
	s_or_b32 exec_lo, exec_lo, s15
	s_mov_b32 s14, 0
	s_mov_b32 s35, exec_lo
                                        ; implicit-def: $sgpr15
	v_cmpx_lt_i16_e64 0x7f, v161
	s_xor_b32 s35, exec_lo, s35
	s_cbranch_execnz .LBB2_3811
; %bb.3440:                             ;   in Loop: Header=BB2_3220 Depth=3
	s_or_saveexec_b32 s35, s35
	v_mov_b32_e32 v13, s15
	s_xor_b32 exec_lo, exec_lo, s35
	s_cbranch_execnz .LBB2_3814
.LBB2_3441:                             ;   in Loop: Header=BB2_3220 Depth=3
	s_or_b32 exec_lo, exec_lo, s35
	s_and_saveexec_b32 s15, s14
	s_cbranch_execz .LBB2_3443
.LBB2_3442:                             ;   in Loop: Header=BB2_3220 Depth=3
	v_bfe_u32 v13, v9, 24, 3
	s_delay_alu instid0(VALU_DEP_1) | instskip(NEXT) | instid1(VALU_DEP_1)
	v_clz_i32_u32_e32 v162, v13
	v_min_u32_e32 v162, 32, v162
	s_delay_alu instid0(VALU_DEP_1) | instskip(SKIP_1) | instid1(VALU_DEP_2)
	v_subrev_nc_u32_e32 v164, 28, v162
	v_sub_nc_u32_e32 v162, 29, v162
	v_lshlrev_b32_e32 v161, v164, v161
	v_bfe_u32 v164, v9, 27, 4
	v_and_b32_e32 v9, 0x80000000, v9
	s_delay_alu instid0(VALU_DEP_2) | instskip(NEXT) | instid1(VALU_DEP_4)
	v_cmp_eq_u32_e32 vcc_lo, 0, v164
	v_dual_cndmask_b32 v162, v164, v162 :: v_dual_and_b32 v161, 7, v161
	s_delay_alu instid0(VALU_DEP_1) | instskip(NEXT) | instid1(VALU_DEP_2)
	v_cndmask_b32_e32 v13, v13, v161, vcc_lo
	v_lshl_add_u32 v161, v162, 23, 0x3b800000
	s_delay_alu instid0(VALU_DEP_2) | instskip(NEXT) | instid1(VALU_DEP_1)
	v_lshlrev_b32_e32 v13, 20, v13
	v_or3_b32 v13, v9, v161, v13
.LBB2_3443:                             ;   in Loop: Header=BB2_3220 Depth=3
	s_or_b32 exec_lo, exec_lo, s15
	s_delay_alu instid0(VALU_DEP_1) | instskip(SKIP_1) | instid1(VALU_DEP_1)
	v_max_f32_e32 v9, v13, v13
	v_max_f32_e32 v13, v163, v163
	v_min_f32_e32 v163, v13, v9
.LBB2_3444:                             ;   in Loop: Header=BB2_3220 Depth=3
	s_delay_alu instid0(VALU_DEP_1) | instskip(NEXT) | instid1(VALU_DEP_1)
	v_and_b32_e32 v9, 0x7f800000, v163
	v_cmp_ne_u32_e32 vcc_lo, 0x7f800000, v9
	v_mov_b32_e32 v9, 0x8000
	s_and_saveexec_b32 s15, vcc_lo
	s_cbranch_execz .LBB2_3452
; %bb.3445:                             ;   in Loop: Header=BB2_3220 Depth=3
	v_mov_b32_e32 v9, 0
	s_mov_b32 s35, exec_lo
	v_cmpx_ne_u32_e32 0, v163
	s_cbranch_execz .LBB2_3451
; %bb.3446:                             ;   in Loop: Header=BB2_3220 Depth=3
	v_bfe_u32 v9, v163, 23, 8
	v_and_b32_e32 v13, 0x7fffff, v163
	s_delay_alu instid0(VALU_DEP_2) | instskip(SKIP_1) | instid1(VALU_DEP_3)
	v_sub_nc_u32_e32 v161, 0x78, v9
	v_cmp_gt_u32_e32 vcc_lo, 0x79, v9
	v_or_b32_e32 v162, 0x800000, v13
	s_delay_alu instid0(VALU_DEP_3) | instskip(SKIP_2) | instid1(VALU_DEP_3)
	v_cndmask_b32_e32 v161, 0, v161, vcc_lo
	v_cmp_eq_u32_e32 vcc_lo, 0, v9
	v_add_nc_u32_e32 v9, 0xffffff89, v9
	v_cndmask_b32_e64 v161, v161, 0x77, vcc_lo
	v_cndmask_b32_e32 v13, v162, v13, vcc_lo
	s_delay_alu instid0(VALU_DEP_3) | instskip(NEXT) | instid1(VALU_DEP_3)
	v_cndmask_b32_e64 v9, v9, 0xffffff8a, vcc_lo
	v_lshl_add_u32 v162, 0x100000, v161, -1
	s_delay_alu instid0(VALU_DEP_3) | instskip(SKIP_1) | instid1(VALU_DEP_4)
	v_lshrrev_b32_e32 v164, v161, v13
	v_lshlrev_b32_e64 v166, v161, 0x80000
	v_add_nc_u32_e32 v161, v161, v9
	s_delay_alu instid0(VALU_DEP_4) | instskip(NEXT) | instid1(VALU_DEP_4)
	v_and_b32_e32 v13, v162, v13
	v_bfe_u32 v165, v164, 20, 1
	s_delay_alu instid0(VALU_DEP_2) | instskip(NEXT) | instid1(VALU_DEP_2)
	v_cmp_eq_u32_e64 s14, v13, v166
	v_add_nc_u32_e32 v162, -1, v165
	s_delay_alu instid0(VALU_DEP_1) | instskip(SKIP_2) | instid1(VALU_DEP_2)
	v_cndmask_b32_e64 v13, 0, v162, s14
	v_lshrrev_b32_e32 v162, 23, v164
	s_mov_b32 s14, exec_lo
	v_add_nc_u32_e32 v13, v13, v164
	s_delay_alu instid0(VALU_DEP_2) | instskip(NEXT) | instid1(VALU_DEP_2)
	v_xor_b32_e32 v162, 1, v162
	v_and_b32_e32 v9, 0xfffff, v13
	s_delay_alu instid0(VALU_DEP_1) | instskip(NEXT) | instid1(VALU_DEP_3)
	v_add_nc_u32_e32 v13, v9, v164
                                        ; implicit-def: $vgpr9
	v_cmpx_ne_u32_e64 v161, v162
	s_xor_b32 s14, exec_lo, s14
; %bb.3447:                             ;   in Loop: Header=BB2_3220 Depth=3
	s_delay_alu instid0(VALU_DEP_2) | instskip(SKIP_2) | instid1(VALU_DEP_2)
	v_cmp_lt_u32_e32 vcc_lo, 0xffffff, v13
	v_sub_nc_u32_e32 v9, v161, v162
	v_cndmask_b32_e64 v161, 0, 1, vcc_lo
	v_add_co_ci_u32_e32 v9, vcc_lo, 0, v9, vcc_lo
	s_delay_alu instid0(VALU_DEP_2)
	v_lshrrev_b32_e32 v13, v161, v13
; %bb.3448:                             ;   in Loop: Header=BB2_3220 Depth=3
	s_and_not1_saveexec_b32 s14, s14
; %bb.3449:                             ;   in Loop: Header=BB2_3220 Depth=3
	s_delay_alu instid0(VALU_DEP_1)
	v_bfe_u32 v9, v13, 23, 1
; %bb.3450:                             ;   in Loop: Header=BB2_3220 Depth=3
	s_or_b32 exec_lo, exec_lo, s14
	v_lshrrev_b32_e32 v13, 20, v13
	s_delay_alu instid0(VALU_DEP_2) | instskip(SKIP_2) | instid1(VALU_DEP_3)
	v_min_i32_e32 v161, 15, v9
	v_cmp_gt_i32_e32 vcc_lo, 16, v9
	v_lshrrev_b32_e32 v162, 24, v163
	v_lshlrev_b32_e32 v161, 3, v161
	s_delay_alu instid0(VALU_DEP_2) | instskip(NEXT) | instid1(VALU_DEP_2)
	v_dual_cndmask_b32 v13, 7, v13 :: v_dual_and_b32 v162, 0x80, v162
	v_and_b32_e32 v161, 0xf8, v161
	s_delay_alu instid0(VALU_DEP_2) | instskip(SKIP_1) | instid1(VALU_DEP_2)
	v_and_b32_e32 v163, 7, v13
	v_or_b32_e32 v9, v9, v13
	v_or3_b32 v161, v162, v161, v163
	s_delay_alu instid0(VALU_DEP_2) | instskip(NEXT) | instid1(VALU_DEP_2)
	v_cmp_ne_u32_e32 vcc_lo, 0, v9
	v_lshlrev_b32_e32 v13, 8, v161
	s_delay_alu instid0(VALU_DEP_1)
	v_cndmask_b32_e32 v9, 0, v13, vcc_lo
.LBB2_3451:                             ;   in Loop: Header=BB2_3220 Depth=3
	s_or_b32 exec_lo, exec_lo, s35
.LBB2_3452:                             ;   in Loop: Header=BB2_3220 Depth=3
	s_delay_alu instid0(SALU_CYCLE_1) | instskip(SKIP_2) | instid1(VALU_DEP_1)
	s_or_b32 exec_lo, exec_lo, s15
	v_and_b32_e32 v13, 0xff, v14
	s_and_b32 vcc_lo, exec_lo, s34
	v_cmp_lt_i16_e64 s14, 0x7f, v13
	s_cbranch_vccz .LBB2_3462
; %bb.3453:                             ;   in Loop: Header=BB2_3220 Depth=3
	s_mov_b32 s15, 0
                                        ; implicit-def: $sgpr35
	s_delay_alu instid0(VALU_DEP_1) | instskip(NEXT) | instid1(SALU_CYCLE_1)
	s_and_saveexec_b32 vcc_lo, s14
	s_xor_b32 s14, exec_lo, vcc_lo
	s_cbranch_execnz .LBB2_3815
; %bb.3454:                             ;   in Loop: Header=BB2_3220 Depth=3
	s_or_saveexec_b32 s14, s14
	v_mov_b32_e32 v161, s35
	s_xor_b32 exec_lo, exec_lo, s14
	s_cbranch_execnz .LBB2_3818
.LBB2_3455:                             ;   in Loop: Header=BB2_3220 Depth=3
	s_or_b32 exec_lo, exec_lo, s14
	s_and_saveexec_b32 s14, s15
	s_cbranch_execz .LBB2_3457
.LBB2_3456:                             ;   in Loop: Header=BB2_3220 Depth=3
	v_and_b32_e32 v161, 7, v14
	v_bfe_u32 v164, v14, 3, 4
	v_lshlrev_b32_e32 v165, 24, v14
	s_delay_alu instid0(VALU_DEP_3) | instskip(NEXT) | instid1(VALU_DEP_3)
	v_clz_i32_u32_e32 v162, v161
	v_cmp_eq_u32_e32 vcc_lo, 0, v164
	s_delay_alu instid0(VALU_DEP_2) | instskip(NEXT) | instid1(VALU_DEP_1)
	v_min_u32_e32 v162, 32, v162
	v_subrev_nc_u32_e32 v163, 28, v162
	v_sub_nc_u32_e32 v162, 29, v162
	s_delay_alu instid0(VALU_DEP_2) | instskip(NEXT) | instid1(VALU_DEP_1)
	v_lshlrev_b32_e32 v163, v163, v14
	v_dual_cndmask_b32 v162, v164, v162 :: v_dual_and_b32 v163, 7, v163
	s_delay_alu instid0(VALU_DEP_1) | instskip(NEXT) | instid1(VALU_DEP_2)
	v_lshl_add_u32 v162, v162, 23, 0x3b800000
	v_cndmask_b32_e32 v161, v161, v163, vcc_lo
	v_and_b32_e32 v163, 0x80000000, v165
	s_delay_alu instid0(VALU_DEP_2) | instskip(NEXT) | instid1(VALU_DEP_1)
	v_lshlrev_b32_e32 v161, 20, v161
	v_or3_b32 v161, v163, v162, v161
.LBB2_3457:                             ;   in Loop: Header=BB2_3220 Depth=3
	s_or_b32 exec_lo, exec_lo, s14
	v_and_b32_e32 v163, 0xff, v10
	s_mov_b32 s14, 0
	s_mov_b32 s35, exec_lo
                                        ; implicit-def: $sgpr15
	s_delay_alu instid0(VALU_DEP_1)
	v_cmpx_lt_i16_e64 0x7f, v163
	s_xor_b32 s35, exec_lo, s35
	s_cbranch_execnz .LBB2_3819
; %bb.3458:                             ;   in Loop: Header=BB2_3220 Depth=3
	s_or_saveexec_b32 s35, s35
	v_mov_b32_e32 v162, s15
	s_xor_b32 exec_lo, exec_lo, s35
	s_cbranch_execnz .LBB2_3822
.LBB2_3459:                             ;   in Loop: Header=BB2_3220 Depth=3
	s_or_b32 exec_lo, exec_lo, s35
	s_and_saveexec_b32 s15, s14
	s_cbranch_execz .LBB2_3461
.LBB2_3460:                             ;   in Loop: Header=BB2_3220 Depth=3
	v_bfe_u32 v165, v10, 3, 4
	v_lshlrev_b32_e32 v166, 24, v10
	s_delay_alu instid0(VALU_DEP_2) | instskip(SKIP_1) | instid1(VALU_DEP_1)
	v_cmp_eq_u32_e32 vcc_lo, 0, v165
	v_and_b32_e32 v162, 7, v10
	v_clz_i32_u32_e32 v163, v162
	s_delay_alu instid0(VALU_DEP_1) | instskip(NEXT) | instid1(VALU_DEP_1)
	v_min_u32_e32 v163, 32, v163
	v_subrev_nc_u32_e32 v164, 28, v163
	v_sub_nc_u32_e32 v163, 29, v163
	s_delay_alu instid0(VALU_DEP_1) | instskip(NEXT) | instid1(VALU_DEP_1)
	v_dual_cndmask_b32 v163, v165, v163 :: v_dual_lshlrev_b32 v164, v164, v10
	v_and_b32_e32 v164, 7, v164
	s_delay_alu instid0(VALU_DEP_2) | instskip(NEXT) | instid1(VALU_DEP_2)
	v_lshl_add_u32 v163, v163, 23, 0x3b800000
	v_cndmask_b32_e32 v162, v162, v164, vcc_lo
	v_and_b32_e32 v164, 0x80000000, v166
	s_delay_alu instid0(VALU_DEP_2) | instskip(NEXT) | instid1(VALU_DEP_1)
	v_lshlrev_b32_e32 v162, 20, v162
	v_or3_b32 v162, v164, v163, v162
.LBB2_3461:                             ;   in Loop: Header=BB2_3220 Depth=3
	s_or_b32 exec_lo, exec_lo, s15
	s_delay_alu instid0(VALU_DEP_1) | instskip(SKIP_1) | instid1(VALU_DEP_1)
	v_dual_max_f32 v162, v162, v162 :: v_dual_max_f32 v161, v161, v161
	s_mov_b32 s14, 0
	v_max_f32_e32 v161, v161, v162
	s_branch .LBB2_3463
.LBB2_3462:                             ;   in Loop: Header=BB2_3220 Depth=3
	s_mov_b32 s14, -1
                                        ; implicit-def: $vgpr161
.LBB2_3463:                             ;   in Loop: Header=BB2_3220 Depth=3
	s_delay_alu instid0(SALU_CYCLE_1)
	s_and_b32 vcc_lo, exec_lo, s14
	s_cbranch_vccz .LBB2_3473
; %bb.3464:                             ;   in Loop: Header=BB2_3220 Depth=3
	s_mov_b32 s14, 0
	s_mov_b32 s35, exec_lo
                                        ; implicit-def: $sgpr15
	v_cmpx_lt_i16_e32 0x7f, v13
	s_xor_b32 s35, exec_lo, s35
	s_cbranch_execnz .LBB2_3823
; %bb.3465:                             ;   in Loop: Header=BB2_3220 Depth=3
	s_or_saveexec_b32 s35, s35
	v_mov_b32_e32 v161, s15
	s_xor_b32 exec_lo, exec_lo, s35
	s_cbranch_execnz .LBB2_3826
.LBB2_3466:                             ;   in Loop: Header=BB2_3220 Depth=3
	s_or_b32 exec_lo, exec_lo, s35
	s_and_saveexec_b32 s15, s14
	s_cbranch_execz .LBB2_3468
.LBB2_3467:                             ;   in Loop: Header=BB2_3220 Depth=3
	v_and_b32_e32 v13, 7, v14
	v_bfe_u32 v163, v14, 3, 4
	v_lshlrev_b32_e32 v164, 24, v14
	s_delay_alu instid0(VALU_DEP_3) | instskip(NEXT) | instid1(VALU_DEP_3)
	v_clz_i32_u32_e32 v161, v13
	v_cmp_eq_u32_e32 vcc_lo, 0, v163
	s_delay_alu instid0(VALU_DEP_2) | instskip(NEXT) | instid1(VALU_DEP_1)
	v_min_u32_e32 v161, 32, v161
	v_subrev_nc_u32_e32 v162, 28, v161
	v_sub_nc_u32_e32 v161, 29, v161
	s_delay_alu instid0(VALU_DEP_1) | instskip(NEXT) | instid1(VALU_DEP_1)
	v_dual_cndmask_b32 v161, v163, v161 :: v_dual_lshlrev_b32 v162, v162, v14
	v_and_b32_e32 v162, 7, v162
	s_delay_alu instid0(VALU_DEP_2) | instskip(NEXT) | instid1(VALU_DEP_2)
	v_lshl_add_u32 v161, v161, 23, 0x3b800000
	v_dual_cndmask_b32 v13, v13, v162 :: v_dual_and_b32 v162, 0x80000000, v164
	s_delay_alu instid0(VALU_DEP_1) | instskip(NEXT) | instid1(VALU_DEP_1)
	v_lshlrev_b32_e32 v13, 20, v13
	v_or3_b32 v161, v162, v161, v13
.LBB2_3468:                             ;   in Loop: Header=BB2_3220 Depth=3
	s_or_b32 exec_lo, exec_lo, s15
	v_and_b32_e32 v162, 0xff, v10
	s_mov_b32 s14, 0
	s_mov_b32 s35, exec_lo
                                        ; implicit-def: $sgpr15
	s_delay_alu instid0(VALU_DEP_1)
	v_cmpx_lt_i16_e64 0x7f, v162
	s_xor_b32 s35, exec_lo, s35
	s_cbranch_execnz .LBB2_3827
; %bb.3469:                             ;   in Loop: Header=BB2_3220 Depth=3
	s_or_saveexec_b32 s35, s35
	v_mov_b32_e32 v13, s15
	s_xor_b32 exec_lo, exec_lo, s35
	s_cbranch_execnz .LBB2_3830
.LBB2_3470:                             ;   in Loop: Header=BB2_3220 Depth=3
	s_or_b32 exec_lo, exec_lo, s35
	s_and_saveexec_b32 s15, s14
	s_cbranch_execz .LBB2_3472
.LBB2_3471:                             ;   in Loop: Header=BB2_3220 Depth=3
	v_and_b32_e32 v13, 7, v10
	v_bfe_u32 v164, v10, 3, 4
	v_lshlrev_b32_e32 v165, 24, v10
	s_delay_alu instid0(VALU_DEP_3) | instskip(NEXT) | instid1(VALU_DEP_3)
	v_clz_i32_u32_e32 v162, v13
	v_cmp_eq_u32_e32 vcc_lo, 0, v164
	s_delay_alu instid0(VALU_DEP_2) | instskip(NEXT) | instid1(VALU_DEP_1)
	v_min_u32_e32 v162, 32, v162
	v_subrev_nc_u32_e32 v163, 28, v162
	v_sub_nc_u32_e32 v162, 29, v162
	s_delay_alu instid0(VALU_DEP_2) | instskip(NEXT) | instid1(VALU_DEP_1)
	v_lshlrev_b32_e32 v163, v163, v10
	v_dual_cndmask_b32 v162, v164, v162 :: v_dual_and_b32 v163, 7, v163
	s_delay_alu instid0(VALU_DEP_1) | instskip(NEXT) | instid1(VALU_DEP_2)
	v_lshl_add_u32 v162, v162, 23, 0x3b800000
	v_cndmask_b32_e32 v13, v13, v163, vcc_lo
	v_and_b32_e32 v163, 0x80000000, v165
	s_delay_alu instid0(VALU_DEP_2) | instskip(NEXT) | instid1(VALU_DEP_1)
	v_lshlrev_b32_e32 v13, 20, v13
	v_or3_b32 v13, v163, v162, v13
.LBB2_3472:                             ;   in Loop: Header=BB2_3220 Depth=3
	s_or_b32 exec_lo, exec_lo, s15
	s_delay_alu instid0(VALU_DEP_1) | instskip(SKIP_1) | instid1(VALU_DEP_1)
	v_max_f32_e32 v13, v13, v13
	v_max_f32_e32 v161, v161, v161
	v_min_f32_e32 v161, v161, v13
.LBB2_3473:                             ;   in Loop: Header=BB2_3220 Depth=3
	s_delay_alu instid0(VALU_DEP_1) | instskip(NEXT) | instid1(VALU_DEP_1)
	v_and_b32_e32 v13, 0x7f800000, v161
	v_cmp_ne_u32_e32 vcc_lo, 0x7f800000, v13
	v_mov_b32_e32 v13, 0x80
	s_and_saveexec_b32 s15, vcc_lo
	s_cbranch_execz .LBB2_3481
; %bb.3474:                             ;   in Loop: Header=BB2_3220 Depth=3
	v_mov_b32_e32 v13, 0
	s_mov_b32 s35, exec_lo
	v_cmpx_ne_u32_e32 0, v161
	s_cbranch_execz .LBB2_3480
; %bb.3475:                             ;   in Loop: Header=BB2_3220 Depth=3
	v_bfe_u32 v13, v161, 23, 8
	s_delay_alu instid0(VALU_DEP_1) | instskip(SKIP_1) | instid1(VALU_DEP_2)
	v_sub_nc_u32_e32 v163, 0x78, v13
	v_cmp_gt_u32_e32 vcc_lo, 0x79, v13
	v_dual_cndmask_b32 v163, 0, v163 :: v_dual_and_b32 v162, 0x7fffff, v161
	s_delay_alu instid0(VALU_DEP_1) | instskip(SKIP_2) | instid1(VALU_DEP_4)
	v_or_b32_e32 v164, 0x800000, v162
	v_cmp_eq_u32_e32 vcc_lo, 0, v13
	v_add_nc_u32_e32 v13, 0xffffff89, v13
	v_cndmask_b32_e64 v163, v163, 0x77, vcc_lo
	s_delay_alu instid0(VALU_DEP_4) | instskip(NEXT) | instid1(VALU_DEP_3)
	v_cndmask_b32_e32 v162, v164, v162, vcc_lo
	v_cndmask_b32_e64 v13, v13, 0xffffff8a, vcc_lo
	s_delay_alu instid0(VALU_DEP_3) | instskip(NEXT) | instid1(VALU_DEP_3)
	v_lshl_add_u32 v164, 0x100000, v163, -1
	v_lshrrev_b32_e32 v165, v163, v162
	v_lshlrev_b32_e64 v167, v163, 0x80000
	s_delay_alu instid0(VALU_DEP_4) | instskip(NEXT) | instid1(VALU_DEP_4)
	v_add_nc_u32_e32 v163, v163, v13
	v_and_b32_e32 v162, v164, v162
	s_delay_alu instid0(VALU_DEP_4) | instskip(NEXT) | instid1(VALU_DEP_2)
	v_bfe_u32 v166, v165, 20, 1
	v_cmp_eq_u32_e64 s14, v162, v167
	s_delay_alu instid0(VALU_DEP_2) | instskip(NEXT) | instid1(VALU_DEP_1)
	v_add_nc_u32_e32 v164, -1, v166
	v_cndmask_b32_e64 v162, 0, v164, s14
	v_lshrrev_b32_e32 v164, 23, v165
	s_mov_b32 s14, exec_lo
	s_delay_alu instid0(VALU_DEP_2) | instskip(NEXT) | instid1(VALU_DEP_2)
	v_add_nc_u32_e32 v162, v162, v165
	v_xor_b32_e32 v164, 1, v164
	s_delay_alu instid0(VALU_DEP_2) | instskip(NEXT) | instid1(VALU_DEP_1)
	v_and_b32_e32 v13, 0xfffff, v162
	v_add_nc_u32_e32 v162, v13, v165
                                        ; implicit-def: $vgpr13
	s_delay_alu instid0(VALU_DEP_3)
	v_cmpx_ne_u32_e64 v163, v164
	s_xor_b32 s14, exec_lo, s14
; %bb.3476:                             ;   in Loop: Header=BB2_3220 Depth=3
	s_delay_alu instid0(VALU_DEP_2) | instskip(SKIP_2) | instid1(VALU_DEP_2)
	v_cmp_lt_u32_e32 vcc_lo, 0xffffff, v162
	v_sub_nc_u32_e32 v13, v163, v164
	v_cndmask_b32_e64 v163, 0, 1, vcc_lo
	v_add_co_ci_u32_e32 v13, vcc_lo, 0, v13, vcc_lo
	s_delay_alu instid0(VALU_DEP_2)
	v_lshrrev_b32_e32 v162, v163, v162
; %bb.3477:                             ;   in Loop: Header=BB2_3220 Depth=3
	s_and_not1_saveexec_b32 s14, s14
; %bb.3478:                             ;   in Loop: Header=BB2_3220 Depth=3
	s_delay_alu instid0(VALU_DEP_1)
	v_bfe_u32 v13, v162, 23, 1
; %bb.3479:                             ;   in Loop: Header=BB2_3220 Depth=3
	s_or_b32 exec_lo, exec_lo, s14
	v_lshrrev_b32_e32 v162, 20, v162
	s_delay_alu instid0(VALU_DEP_2) | instskip(SKIP_2) | instid1(VALU_DEP_2)
	v_cmp_gt_i32_e32 vcc_lo, 16, v13
	v_lshrrev_b32_e32 v161, 24, v161
	v_min_i32_e32 v163, 15, v13
	v_dual_cndmask_b32 v162, 7, v162 :: v_dual_and_b32 v161, 0x80, v161
	s_delay_alu instid0(VALU_DEP_2) | instskip(NEXT) | instid1(VALU_DEP_2)
	v_lshlrev_b32_e32 v163, 3, v163
	v_or_b32_e32 v13, v13, v162
	s_delay_alu instid0(VALU_DEP_1) | instskip(SKIP_1) | instid1(VALU_DEP_1)
	v_cmp_ne_u32_e32 vcc_lo, 0, v13
	v_and_b32_e32 v164, 7, v162
	v_or3_b32 v161, v163, v161, v164
	s_delay_alu instid0(VALU_DEP_1)
	v_cndmask_b32_e32 v13, 0, v161, vcc_lo
.LBB2_3480:                             ;   in Loop: Header=BB2_3220 Depth=3
	s_or_b32 exec_lo, exec_lo, s35
.LBB2_3481:                             ;   in Loop: Header=BB2_3220 Depth=3
	s_delay_alu instid0(SALU_CYCLE_1) | instskip(SKIP_3) | instid1(VALU_DEP_2)
	s_or_b32 exec_lo, exec_lo, s15
	v_lshrrev_b16 v162, 8, v14
	v_lshrrev_b16 v161, 8, v10
	s_and_b32 vcc_lo, exec_lo, s34
	v_cmp_lt_i16_e64 s14, 0x7f, v162
	s_cbranch_vccz .LBB2_3491
; %bb.3482:                             ;   in Loop: Header=BB2_3220 Depth=3
	s_mov_b32 s15, 0
                                        ; implicit-def: $sgpr35
	s_delay_alu instid0(VALU_DEP_1) | instskip(NEXT) | instid1(SALU_CYCLE_1)
	s_and_saveexec_b32 vcc_lo, s14
	s_xor_b32 s14, exec_lo, vcc_lo
	s_cbranch_execnz .LBB2_3831
; %bb.3483:                             ;   in Loop: Header=BB2_3220 Depth=3
	s_or_saveexec_b32 s14, s14
	v_mov_b32_e32 v163, s35
	s_xor_b32 exec_lo, exec_lo, s14
	s_cbranch_execnz .LBB2_3834
.LBB2_3484:                             ;   in Loop: Header=BB2_3220 Depth=3
	s_or_b32 exec_lo, exec_lo, s14
	s_and_saveexec_b32 s14, s15
	s_cbranch_execz .LBB2_3486
.LBB2_3485:                             ;   in Loop: Header=BB2_3220 Depth=3
	v_and_b32_e32 v163, 0xffff, v162
	v_lshlrev_b32_e32 v167, 16, v14
	s_delay_alu instid0(VALU_DEP_2) | instskip(NEXT) | instid1(VALU_DEP_1)
	v_and_b32_e32 v164, 7, v163
	v_clz_i32_u32_e32 v165, v164
	s_delay_alu instid0(VALU_DEP_1) | instskip(NEXT) | instid1(VALU_DEP_1)
	v_min_u32_e32 v165, 32, v165
	v_subrev_nc_u32_e32 v166, 28, v165
	v_sub_nc_u32_e32 v165, 29, v165
	s_delay_alu instid0(VALU_DEP_2) | instskip(SKIP_1) | instid1(VALU_DEP_2)
	v_lshlrev_b32_e32 v166, v166, v163
	v_bfe_u32 v163, v163, 3, 4
	v_and_b32_e32 v166, 7, v166
	s_delay_alu instid0(VALU_DEP_2) | instskip(NEXT) | instid1(VALU_DEP_2)
	v_cmp_eq_u32_e32 vcc_lo, 0, v163
	v_dual_cndmask_b32 v163, v163, v165 :: v_dual_cndmask_b32 v164, v164, v166
	v_and_b32_e32 v165, 0x80000000, v167
	s_delay_alu instid0(VALU_DEP_2) | instskip(NEXT) | instid1(VALU_DEP_3)
	v_lshl_add_u32 v163, v163, 23, 0x3b800000
	v_lshlrev_b32_e32 v164, 20, v164
	s_delay_alu instid0(VALU_DEP_1)
	v_or3_b32 v163, v165, v163, v164
.LBB2_3486:                             ;   in Loop: Header=BB2_3220 Depth=3
	s_or_b32 exec_lo, exec_lo, s14
	s_mov_b32 s14, 0
	s_mov_b32 s35, exec_lo
                                        ; implicit-def: $sgpr15
	v_cmpx_lt_i16_e64 0x7f, v161
	s_xor_b32 s35, exec_lo, s35
	s_cbranch_execnz .LBB2_3835
; %bb.3487:                             ;   in Loop: Header=BB2_3220 Depth=3
	s_or_saveexec_b32 s35, s35
	v_mov_b32_e32 v164, s15
	s_xor_b32 exec_lo, exec_lo, s35
	s_cbranch_execnz .LBB2_3838
.LBB2_3488:                             ;   in Loop: Header=BB2_3220 Depth=3
	s_or_b32 exec_lo, exec_lo, s35
	s_and_saveexec_b32 s15, s14
	s_cbranch_execz .LBB2_3490
.LBB2_3489:                             ;   in Loop: Header=BB2_3220 Depth=3
	v_and_b32_e32 v164, 0xffff, v161
	v_lshlrev_b32_e32 v176, 16, v10
	s_delay_alu instid0(VALU_DEP_2) | instskip(NEXT) | instid1(VALU_DEP_1)
	v_and_b32_e32 v165, 7, v164
	v_clz_i32_u32_e32 v166, v165
	s_delay_alu instid0(VALU_DEP_1) | instskip(NEXT) | instid1(VALU_DEP_1)
	v_min_u32_e32 v166, 32, v166
	v_subrev_nc_u32_e32 v167, 28, v166
	v_sub_nc_u32_e32 v166, 29, v166
	s_delay_alu instid0(VALU_DEP_2) | instskip(SKIP_1) | instid1(VALU_DEP_2)
	v_lshlrev_b32_e32 v167, v167, v164
	v_bfe_u32 v164, v164, 3, 4
	v_and_b32_e32 v167, 7, v167
	s_delay_alu instid0(VALU_DEP_2) | instskip(NEXT) | instid1(VALU_DEP_2)
	v_cmp_eq_u32_e32 vcc_lo, 0, v164
	v_dual_cndmask_b32 v164, v164, v166 :: v_dual_cndmask_b32 v165, v165, v167
	v_and_b32_e32 v166, 0x80000000, v176
	s_delay_alu instid0(VALU_DEP_2) | instskip(NEXT) | instid1(VALU_DEP_3)
	v_lshl_add_u32 v164, v164, 23, 0x3b800000
	v_lshlrev_b32_e32 v165, 20, v165
	s_delay_alu instid0(VALU_DEP_1)
	v_or3_b32 v164, v166, v164, v165
.LBB2_3490:                             ;   in Loop: Header=BB2_3220 Depth=3
	s_or_b32 exec_lo, exec_lo, s15
	s_delay_alu instid0(VALU_DEP_1) | instskip(SKIP_1) | instid1(VALU_DEP_1)
	v_dual_max_f32 v164, v164, v164 :: v_dual_max_f32 v163, v163, v163
	s_mov_b32 s14, 0
	v_max_f32_e32 v163, v163, v164
	s_branch .LBB2_3492
.LBB2_3491:                             ;   in Loop: Header=BB2_3220 Depth=3
	s_mov_b32 s14, -1
                                        ; implicit-def: $vgpr163
.LBB2_3492:                             ;   in Loop: Header=BB2_3220 Depth=3
	s_delay_alu instid0(SALU_CYCLE_1)
	s_and_b32 vcc_lo, exec_lo, s14
	s_cbranch_vccz .LBB2_3502
; %bb.3493:                             ;   in Loop: Header=BB2_3220 Depth=3
	s_mov_b32 s14, 0
	s_mov_b32 s35, exec_lo
                                        ; implicit-def: $sgpr15
	v_cmpx_lt_i16_e64 0x7f, v162
	s_xor_b32 s35, exec_lo, s35
	s_cbranch_execnz .LBB2_3839
; %bb.3494:                             ;   in Loop: Header=BB2_3220 Depth=3
	s_or_saveexec_b32 s35, s35
	v_mov_b32_e32 v163, s15
	s_xor_b32 exec_lo, exec_lo, s35
	s_cbranch_execnz .LBB2_3842
.LBB2_3495:                             ;   in Loop: Header=BB2_3220 Depth=3
	s_or_b32 exec_lo, exec_lo, s35
	s_and_saveexec_b32 s15, s14
	s_cbranch_execz .LBB2_3497
.LBB2_3496:                             ;   in Loop: Header=BB2_3220 Depth=3
	v_and_b32_e32 v162, 0xffff, v162
	v_lshlrev_b32_e32 v166, 16, v14
	s_delay_alu instid0(VALU_DEP_2) | instskip(NEXT) | instid1(VALU_DEP_1)
	v_and_b32_e32 v163, 7, v162
	v_clz_i32_u32_e32 v164, v163
	s_delay_alu instid0(VALU_DEP_1) | instskip(NEXT) | instid1(VALU_DEP_1)
	v_min_u32_e32 v164, 32, v164
	v_subrev_nc_u32_e32 v165, 28, v164
	v_sub_nc_u32_e32 v164, 29, v164
	s_delay_alu instid0(VALU_DEP_2) | instskip(SKIP_1) | instid1(VALU_DEP_2)
	v_lshlrev_b32_e32 v165, v165, v162
	v_bfe_u32 v162, v162, 3, 4
	v_and_b32_e32 v165, 7, v165
	s_delay_alu instid0(VALU_DEP_2) | instskip(NEXT) | instid1(VALU_DEP_2)
	v_cmp_eq_u32_e32 vcc_lo, 0, v162
	v_dual_cndmask_b32 v162, v162, v164 :: v_dual_cndmask_b32 v163, v163, v165
	v_and_b32_e32 v164, 0x80000000, v166
	s_delay_alu instid0(VALU_DEP_2) | instskip(NEXT) | instid1(VALU_DEP_3)
	v_lshl_add_u32 v162, v162, 23, 0x3b800000
	v_lshlrev_b32_e32 v163, 20, v163
	s_delay_alu instid0(VALU_DEP_1)
	v_or3_b32 v163, v164, v162, v163
.LBB2_3497:                             ;   in Loop: Header=BB2_3220 Depth=3
	s_or_b32 exec_lo, exec_lo, s15
	s_mov_b32 s14, 0
	s_mov_b32 s35, exec_lo
                                        ; implicit-def: $sgpr15
	v_cmpx_lt_i16_e64 0x7f, v161
	s_xor_b32 s35, exec_lo, s35
	s_cbranch_execnz .LBB2_3843
; %bb.3498:                             ;   in Loop: Header=BB2_3220 Depth=3
	s_or_saveexec_b32 s35, s35
	v_mov_b32_e32 v162, s15
	s_xor_b32 exec_lo, exec_lo, s35
	s_cbranch_execnz .LBB2_3846
.LBB2_3499:                             ;   in Loop: Header=BB2_3220 Depth=3
	s_or_b32 exec_lo, exec_lo, s35
	s_and_saveexec_b32 s15, s14
	s_cbranch_execz .LBB2_3501
.LBB2_3500:                             ;   in Loop: Header=BB2_3220 Depth=3
	v_and_b32_e32 v161, 0xffff, v161
	v_lshlrev_b32_e32 v166, 16, v10
	s_delay_alu instid0(VALU_DEP_2) | instskip(NEXT) | instid1(VALU_DEP_1)
	v_and_b32_e32 v162, 7, v161
	v_clz_i32_u32_e32 v164, v162
	s_delay_alu instid0(VALU_DEP_1) | instskip(NEXT) | instid1(VALU_DEP_1)
	v_min_u32_e32 v164, 32, v164
	v_subrev_nc_u32_e32 v165, 28, v164
	v_sub_nc_u32_e32 v164, 29, v164
	s_delay_alu instid0(VALU_DEP_2) | instskip(SKIP_1) | instid1(VALU_DEP_2)
	v_lshlrev_b32_e32 v165, v165, v161
	v_bfe_u32 v161, v161, 3, 4
	v_and_b32_e32 v165, 7, v165
	s_delay_alu instid0(VALU_DEP_2) | instskip(NEXT) | instid1(VALU_DEP_2)
	v_cmp_eq_u32_e32 vcc_lo, 0, v161
	v_dual_cndmask_b32 v161, v161, v164 :: v_dual_cndmask_b32 v162, v162, v165
	v_and_b32_e32 v164, 0x80000000, v166
	s_delay_alu instid0(VALU_DEP_2) | instskip(NEXT) | instid1(VALU_DEP_3)
	v_lshl_add_u32 v161, v161, 23, 0x3b800000
	v_lshlrev_b32_e32 v162, 20, v162
	s_delay_alu instid0(VALU_DEP_1)
	v_or3_b32 v162, v164, v161, v162
.LBB2_3501:                             ;   in Loop: Header=BB2_3220 Depth=3
	s_or_b32 exec_lo, exec_lo, s15
	s_delay_alu instid0(VALU_DEP_1) | instskip(NEXT) | instid1(VALU_DEP_1)
	v_dual_max_f32 v161, v162, v162 :: v_dual_max_f32 v162, v163, v163
	v_min_f32_e32 v163, v162, v161
.LBB2_3502:                             ;   in Loop: Header=BB2_3220 Depth=3
	s_delay_alu instid0(VALU_DEP_1) | instskip(NEXT) | instid1(VALU_DEP_1)
	v_and_b32_e32 v161, 0x7f800000, v163
	v_cmp_ne_u32_e32 vcc_lo, 0x7f800000, v161
	v_mov_b32_e32 v161, 0x80
	s_and_saveexec_b32 s15, vcc_lo
	s_cbranch_execz .LBB2_3510
; %bb.3503:                             ;   in Loop: Header=BB2_3220 Depth=3
	v_mov_b32_e32 v161, 0
	s_mov_b32 s35, exec_lo
	v_cmpx_ne_u32_e32 0, v163
	s_cbranch_execz .LBB2_3509
; %bb.3504:                             ;   in Loop: Header=BB2_3220 Depth=3
	v_bfe_u32 v161, v163, 23, 8
	v_and_b32_e32 v162, 0x7fffff, v163
	s_delay_alu instid0(VALU_DEP_2) | instskip(SKIP_1) | instid1(VALU_DEP_3)
	v_sub_nc_u32_e32 v164, 0x78, v161
	v_cmp_gt_u32_e32 vcc_lo, 0x79, v161
	v_or_b32_e32 v165, 0x800000, v162
	s_delay_alu instid0(VALU_DEP_3) | instskip(SKIP_2) | instid1(VALU_DEP_3)
	v_cndmask_b32_e32 v164, 0, v164, vcc_lo
	v_cmp_eq_u32_e32 vcc_lo, 0, v161
	v_add_nc_u32_e32 v161, 0xffffff89, v161
	v_cndmask_b32_e64 v164, v164, 0x77, vcc_lo
	v_cndmask_b32_e32 v162, v165, v162, vcc_lo
	s_delay_alu instid0(VALU_DEP_3) | instskip(NEXT) | instid1(VALU_DEP_3)
	v_cndmask_b32_e64 v161, v161, 0xffffff8a, vcc_lo
	v_lshl_add_u32 v165, 0x100000, v164, -1
	s_delay_alu instid0(VALU_DEP_3) | instskip(SKIP_1) | instid1(VALU_DEP_4)
	v_lshrrev_b32_e32 v166, v164, v162
	v_lshlrev_b32_e64 v176, v164, 0x80000
	v_add_nc_u32_e32 v164, v164, v161
	s_delay_alu instid0(VALU_DEP_4) | instskip(NEXT) | instid1(VALU_DEP_4)
	v_and_b32_e32 v162, v165, v162
	v_bfe_u32 v167, v166, 20, 1
	s_delay_alu instid0(VALU_DEP_2) | instskip(NEXT) | instid1(VALU_DEP_2)
	v_cmp_eq_u32_e64 s14, v162, v176
	v_add_nc_u32_e32 v165, -1, v167
	s_delay_alu instid0(VALU_DEP_1) | instskip(SKIP_2) | instid1(VALU_DEP_2)
	v_cndmask_b32_e64 v162, 0, v165, s14
	v_lshrrev_b32_e32 v165, 23, v166
	s_mov_b32 s14, exec_lo
	v_add_nc_u32_e32 v162, v162, v166
	s_delay_alu instid0(VALU_DEP_2) | instskip(NEXT) | instid1(VALU_DEP_2)
	v_xor_b32_e32 v165, 1, v165
	v_and_b32_e32 v161, 0xfffff, v162
	s_delay_alu instid0(VALU_DEP_1) | instskip(NEXT) | instid1(VALU_DEP_3)
	v_add_nc_u32_e32 v162, v161, v166
                                        ; implicit-def: $vgpr161
	v_cmpx_ne_u32_e64 v164, v165
	s_xor_b32 s14, exec_lo, s14
; %bb.3505:                             ;   in Loop: Header=BB2_3220 Depth=3
	s_delay_alu instid0(VALU_DEP_2) | instskip(SKIP_2) | instid1(VALU_DEP_2)
	v_cmp_lt_u32_e32 vcc_lo, 0xffffff, v162
	v_sub_nc_u32_e32 v161, v164, v165
	v_cndmask_b32_e64 v164, 0, 1, vcc_lo
	v_add_co_ci_u32_e32 v161, vcc_lo, 0, v161, vcc_lo
	s_delay_alu instid0(VALU_DEP_2)
	v_lshrrev_b32_e32 v162, v164, v162
; %bb.3506:                             ;   in Loop: Header=BB2_3220 Depth=3
	s_and_not1_saveexec_b32 s14, s14
; %bb.3507:                             ;   in Loop: Header=BB2_3220 Depth=3
	s_delay_alu instid0(VALU_DEP_1)
	v_bfe_u32 v161, v162, 23, 1
; %bb.3508:                             ;   in Loop: Header=BB2_3220 Depth=3
	s_or_b32 exec_lo, exec_lo, s14
	v_lshrrev_b32_e32 v162, 20, v162
	s_delay_alu instid0(VALU_DEP_2) | instskip(SKIP_2) | instid1(VALU_DEP_2)
	v_cmp_gt_i32_e32 vcc_lo, 16, v161
	v_lshrrev_b32_e32 v163, 24, v163
	v_min_i32_e32 v164, 15, v161
	v_dual_cndmask_b32 v162, 7, v162 :: v_dual_and_b32 v163, 0x80, v163
	s_delay_alu instid0(VALU_DEP_1) | instskip(SKIP_1) | instid1(VALU_DEP_2)
	v_or_b32_e32 v161, v161, v162
	v_and_b32_e32 v165, 7, v162
	v_cmp_ne_u32_e32 vcc_lo, 0, v161
	v_lshlrev_b32_e32 v164, 3, v164
	s_delay_alu instid0(VALU_DEP_1) | instskip(NEXT) | instid1(VALU_DEP_1)
	v_or3_b32 v162, v164, v163, v165
	v_cndmask_b32_e32 v161, 0, v162, vcc_lo
.LBB2_3509:                             ;   in Loop: Header=BB2_3220 Depth=3
	s_or_b32 exec_lo, exec_lo, s35
.LBB2_3510:                             ;   in Loop: Header=BB2_3220 Depth=3
	s_delay_alu instid0(SALU_CYCLE_1) | instskip(SKIP_3) | instid1(VALU_DEP_2)
	s_or_b32 exec_lo, exec_lo, s15
	v_lshrrev_b32_e32 v163, 16, v14
	v_lshrrev_b32_e32 v162, 16, v10
	s_and_b32 vcc_lo, exec_lo, s34
	v_and_b32_e32 v164, 0xff, v163
	s_delay_alu instid0(VALU_DEP_1)
	v_cmp_lt_i16_e64 s14, 0x7f, v164
	s_cbranch_vccz .LBB2_3520
; %bb.3511:                             ;   in Loop: Header=BB2_3220 Depth=3
	s_mov_b32 s15, 0
                                        ; implicit-def: $sgpr35
	s_delay_alu instid0(VALU_DEP_1) | instskip(NEXT) | instid1(SALU_CYCLE_1)
	s_and_saveexec_b32 vcc_lo, s14
	s_xor_b32 s14, exec_lo, vcc_lo
	s_cbranch_execnz .LBB2_3847
; %bb.3512:                             ;   in Loop: Header=BB2_3220 Depth=3
	s_or_saveexec_b32 s14, s14
	v_mov_b32_e32 v165, s35
	s_xor_b32 exec_lo, exec_lo, s14
	s_cbranch_execnz .LBB2_3850
.LBB2_3513:                             ;   in Loop: Header=BB2_3220 Depth=3
	s_or_b32 exec_lo, exec_lo, s14
	s_and_saveexec_b32 s14, s15
	s_cbranch_execz .LBB2_3515
.LBB2_3514:                             ;   in Loop: Header=BB2_3220 Depth=3
	v_bfe_u32 v165, v14, 16, 3
	v_bfe_u32 v176, v14, 19, 4
	v_lshlrev_b32_e32 v177, 24, v163
	s_delay_alu instid0(VALU_DEP_3) | instskip(NEXT) | instid1(VALU_DEP_3)
	v_clz_i32_u32_e32 v166, v165
	v_cmp_eq_u32_e32 vcc_lo, 0, v176
	s_delay_alu instid0(VALU_DEP_2) | instskip(NEXT) | instid1(VALU_DEP_1)
	v_min_u32_e32 v166, 32, v166
	v_subrev_nc_u32_e32 v167, 28, v166
	v_sub_nc_u32_e32 v166, 29, v166
	s_delay_alu instid0(VALU_DEP_1) | instskip(NEXT) | instid1(VALU_DEP_1)
	v_dual_cndmask_b32 v166, v176, v166 :: v_dual_lshlrev_b32 v167, v167, v163
	v_and_b32_e32 v167, 7, v167
	s_delay_alu instid0(VALU_DEP_2) | instskip(NEXT) | instid1(VALU_DEP_2)
	v_lshl_add_u32 v166, v166, 23, 0x3b800000
	v_cndmask_b32_e32 v165, v165, v167, vcc_lo
	v_and_b32_e32 v167, 0x80000000, v177
	s_delay_alu instid0(VALU_DEP_2) | instskip(NEXT) | instid1(VALU_DEP_1)
	v_lshlrev_b32_e32 v165, 20, v165
	v_or3_b32 v165, v167, v166, v165
.LBB2_3515:                             ;   in Loop: Header=BB2_3220 Depth=3
	s_or_b32 exec_lo, exec_lo, s14
	v_and_b32_e32 v167, 0xff, v162
	s_mov_b32 s14, 0
	s_mov_b32 s35, exec_lo
                                        ; implicit-def: $sgpr15
	s_delay_alu instid0(VALU_DEP_1)
	v_cmpx_lt_i16_e64 0x7f, v167
	s_xor_b32 s35, exec_lo, s35
	s_cbranch_execnz .LBB2_3851
; %bb.3516:                             ;   in Loop: Header=BB2_3220 Depth=3
	s_or_saveexec_b32 s35, s35
	v_mov_b32_e32 v166, s15
	s_xor_b32 exec_lo, exec_lo, s35
	s_cbranch_execnz .LBB2_3854
.LBB2_3517:                             ;   in Loop: Header=BB2_3220 Depth=3
	s_or_b32 exec_lo, exec_lo, s35
	s_and_saveexec_b32 s15, s14
	s_cbranch_execz .LBB2_3519
.LBB2_3518:                             ;   in Loop: Header=BB2_3220 Depth=3
	v_bfe_u32 v166, v10, 16, 3
	v_bfe_u32 v177, v10, 19, 4
	v_lshlrev_b32_e32 v178, 24, v162
	s_delay_alu instid0(VALU_DEP_3) | instskip(NEXT) | instid1(VALU_DEP_3)
	v_clz_i32_u32_e32 v167, v166
	v_cmp_eq_u32_e32 vcc_lo, 0, v177
	s_delay_alu instid0(VALU_DEP_2) | instskip(NEXT) | instid1(VALU_DEP_1)
	v_min_u32_e32 v167, 32, v167
	v_subrev_nc_u32_e32 v176, 28, v167
	v_sub_nc_u32_e32 v167, 29, v167
	s_delay_alu instid0(VALU_DEP_1) | instskip(NEXT) | instid1(VALU_DEP_1)
	v_dual_cndmask_b32 v167, v177, v167 :: v_dual_lshlrev_b32 v176, v176, v162
	v_and_b32_e32 v176, 7, v176
	s_delay_alu instid0(VALU_DEP_2) | instskip(NEXT) | instid1(VALU_DEP_2)
	v_lshl_add_u32 v167, v167, 23, 0x3b800000
	v_cndmask_b32_e32 v166, v166, v176, vcc_lo
	v_and_b32_e32 v176, 0x80000000, v178
	s_delay_alu instid0(VALU_DEP_2) | instskip(NEXT) | instid1(VALU_DEP_1)
	v_lshlrev_b32_e32 v166, 20, v166
	v_or3_b32 v166, v176, v167, v166
.LBB2_3519:                             ;   in Loop: Header=BB2_3220 Depth=3
	s_or_b32 exec_lo, exec_lo, s15
	s_delay_alu instid0(VALU_DEP_1) | instskip(SKIP_1) | instid1(VALU_DEP_1)
	v_dual_max_f32 v166, v166, v166 :: v_dual_max_f32 v165, v165, v165
	s_mov_b32 s14, 0
	v_max_f32_e32 v165, v165, v166
	s_branch .LBB2_3521
.LBB2_3520:                             ;   in Loop: Header=BB2_3220 Depth=3
	s_mov_b32 s14, -1
                                        ; implicit-def: $vgpr165
.LBB2_3521:                             ;   in Loop: Header=BB2_3220 Depth=3
	s_delay_alu instid0(SALU_CYCLE_1)
	s_and_b32 vcc_lo, exec_lo, s14
	s_cbranch_vccz .LBB2_3531
; %bb.3522:                             ;   in Loop: Header=BB2_3220 Depth=3
	s_mov_b32 s14, 0
	s_mov_b32 s35, exec_lo
                                        ; implicit-def: $sgpr15
	v_cmpx_lt_i16_e64 0x7f, v164
	s_xor_b32 s35, exec_lo, s35
	s_cbranch_execnz .LBB2_3855
; %bb.3523:                             ;   in Loop: Header=BB2_3220 Depth=3
	s_or_saveexec_b32 s35, s35
	v_mov_b32_e32 v165, s15
	s_xor_b32 exec_lo, exec_lo, s35
	s_cbranch_execnz .LBB2_3858
.LBB2_3524:                             ;   in Loop: Header=BB2_3220 Depth=3
	s_or_b32 exec_lo, exec_lo, s35
	s_and_saveexec_b32 s15, s14
	s_cbranch_execz .LBB2_3526
.LBB2_3525:                             ;   in Loop: Header=BB2_3220 Depth=3
	v_bfe_u32 v164, v14, 16, 3
	v_bfe_u32 v167, v14, 19, 4
	s_delay_alu instid0(VALU_DEP_2) | instskip(NEXT) | instid1(VALU_DEP_2)
	v_clz_i32_u32_e32 v165, v164
	v_cmp_eq_u32_e32 vcc_lo, 0, v167
	s_delay_alu instid0(VALU_DEP_2) | instskip(NEXT) | instid1(VALU_DEP_1)
	v_min_u32_e32 v165, 32, v165
	v_subrev_nc_u32_e32 v166, 28, v165
	v_sub_nc_u32_e32 v165, 29, v165
	s_delay_alu instid0(VALU_DEP_1) | instskip(NEXT) | instid1(VALU_DEP_1)
	v_dual_cndmask_b32 v165, v167, v165 :: v_dual_lshlrev_b32 v166, v166, v163
	v_and_b32_e32 v166, 7, v166
	v_lshlrev_b32_e32 v163, 24, v163
	s_delay_alu instid0(VALU_DEP_3) | instskip(NEXT) | instid1(VALU_DEP_2)
	v_lshl_add_u32 v165, v165, 23, 0x3b800000
	v_dual_cndmask_b32 v164, v164, v166 :: v_dual_and_b32 v163, 0x80000000, v163
	s_delay_alu instid0(VALU_DEP_1) | instskip(NEXT) | instid1(VALU_DEP_1)
	v_lshlrev_b32_e32 v164, 20, v164
	v_or3_b32 v165, v163, v165, v164
.LBB2_3526:                             ;   in Loop: Header=BB2_3220 Depth=3
	s_or_b32 exec_lo, exec_lo, s15
	v_and_b32_e32 v164, 0xff, v162
	s_mov_b32 s14, 0
	s_mov_b32 s35, exec_lo
                                        ; implicit-def: $sgpr15
	s_delay_alu instid0(VALU_DEP_1)
	v_cmpx_lt_i16_e64 0x7f, v164
	s_xor_b32 s35, exec_lo, s35
	s_cbranch_execnz .LBB2_3859
; %bb.3527:                             ;   in Loop: Header=BB2_3220 Depth=3
	s_or_saveexec_b32 s35, s35
	v_mov_b32_e32 v163, s15
	s_xor_b32 exec_lo, exec_lo, s35
	s_cbranch_execnz .LBB2_3862
.LBB2_3528:                             ;   in Loop: Header=BB2_3220 Depth=3
	s_or_b32 exec_lo, exec_lo, s35
	s_and_saveexec_b32 s15, s14
	s_cbranch_execz .LBB2_3530
.LBB2_3529:                             ;   in Loop: Header=BB2_3220 Depth=3
	v_bfe_u32 v163, v10, 16, 3
	v_bfe_u32 v167, v10, 19, 4
	s_delay_alu instid0(VALU_DEP_2) | instskip(NEXT) | instid1(VALU_DEP_2)
	v_clz_i32_u32_e32 v164, v163
	v_cmp_eq_u32_e32 vcc_lo, 0, v167
	s_delay_alu instid0(VALU_DEP_2) | instskip(NEXT) | instid1(VALU_DEP_1)
	v_min_u32_e32 v164, 32, v164
	v_subrev_nc_u32_e32 v166, 28, v164
	v_sub_nc_u32_e32 v164, 29, v164
	s_delay_alu instid0(VALU_DEP_2) | instskip(SKIP_1) | instid1(VALU_DEP_2)
	v_lshlrev_b32_e32 v166, v166, v162
	v_lshlrev_b32_e32 v162, 24, v162
	v_and_b32_e32 v166, 7, v166
	s_delay_alu instid0(VALU_DEP_2) | instskip(NEXT) | instid1(VALU_DEP_2)
	v_and_b32_e32 v162, 0x80000000, v162
	v_cndmask_b32_e32 v163, v163, v166, vcc_lo
	s_delay_alu instid0(VALU_DEP_1) | instskip(NEXT) | instid1(VALU_DEP_1)
	v_dual_cndmask_b32 v164, v167, v164 :: v_dual_lshlrev_b32 v163, 20, v163
	v_lshl_add_u32 v164, v164, 23, 0x3b800000
	s_delay_alu instid0(VALU_DEP_1)
	v_or3_b32 v163, v162, v164, v163
.LBB2_3530:                             ;   in Loop: Header=BB2_3220 Depth=3
	s_or_b32 exec_lo, exec_lo, s15
	s_delay_alu instid0(VALU_DEP_1) | instskip(NEXT) | instid1(VALU_DEP_1)
	v_dual_max_f32 v162, v163, v163 :: v_dual_max_f32 v163, v165, v165
	v_min_f32_e32 v165, v163, v162
.LBB2_3531:                             ;   in Loop: Header=BB2_3220 Depth=3
	s_delay_alu instid0(VALU_DEP_1) | instskip(NEXT) | instid1(VALU_DEP_1)
	v_and_b32_e32 v162, 0x7f800000, v165
	v_cmp_ne_u32_e32 vcc_lo, 0x7f800000, v162
	v_mov_b32_e32 v162, 0x80
	s_and_saveexec_b32 s15, vcc_lo
	s_cbranch_execz .LBB2_3539
; %bb.3532:                             ;   in Loop: Header=BB2_3220 Depth=3
	v_mov_b32_e32 v162, 0
	s_mov_b32 s35, exec_lo
	v_cmpx_ne_u32_e32 0, v165
	s_cbranch_execz .LBB2_3538
; %bb.3533:                             ;   in Loop: Header=BB2_3220 Depth=3
	v_bfe_u32 v162, v165, 23, 8
	s_delay_alu instid0(VALU_DEP_1) | instskip(SKIP_1) | instid1(VALU_DEP_2)
	v_sub_nc_u32_e32 v164, 0x78, v162
	v_cmp_gt_u32_e32 vcc_lo, 0x79, v162
	v_dual_cndmask_b32 v164, 0, v164 :: v_dual_and_b32 v163, 0x7fffff, v165
	s_delay_alu instid0(VALU_DEP_1) | instskip(SKIP_2) | instid1(VALU_DEP_4)
	v_or_b32_e32 v166, 0x800000, v163
	v_cmp_eq_u32_e32 vcc_lo, 0, v162
	v_add_nc_u32_e32 v162, 0xffffff89, v162
	v_cndmask_b32_e64 v164, v164, 0x77, vcc_lo
	s_delay_alu instid0(VALU_DEP_4) | instskip(NEXT) | instid1(VALU_DEP_3)
	v_cndmask_b32_e32 v163, v166, v163, vcc_lo
	v_cndmask_b32_e64 v162, v162, 0xffffff8a, vcc_lo
	s_delay_alu instid0(VALU_DEP_3) | instskip(NEXT) | instid1(VALU_DEP_3)
	v_lshl_add_u32 v166, 0x100000, v164, -1
	v_lshrrev_b32_e32 v167, v164, v163
	v_lshlrev_b32_e64 v177, v164, 0x80000
	s_delay_alu instid0(VALU_DEP_4) | instskip(NEXT) | instid1(VALU_DEP_4)
	v_add_nc_u32_e32 v164, v164, v162
	v_and_b32_e32 v163, v166, v163
	s_delay_alu instid0(VALU_DEP_4) | instskip(NEXT) | instid1(VALU_DEP_2)
	v_bfe_u32 v176, v167, 20, 1
	v_cmp_eq_u32_e64 s14, v163, v177
	s_delay_alu instid0(VALU_DEP_2) | instskip(NEXT) | instid1(VALU_DEP_1)
	v_add_nc_u32_e32 v166, -1, v176
	v_cndmask_b32_e64 v163, 0, v166, s14
	v_lshrrev_b32_e32 v166, 23, v167
	s_mov_b32 s14, exec_lo
	s_delay_alu instid0(VALU_DEP_2) | instskip(NEXT) | instid1(VALU_DEP_2)
	v_add_nc_u32_e32 v163, v163, v167
	v_xor_b32_e32 v166, 1, v166
	s_delay_alu instid0(VALU_DEP_2) | instskip(NEXT) | instid1(VALU_DEP_1)
	v_and_b32_e32 v162, 0xfffff, v163
	v_add_nc_u32_e32 v163, v162, v167
                                        ; implicit-def: $vgpr162
	s_delay_alu instid0(VALU_DEP_3)
	v_cmpx_ne_u32_e64 v164, v166
	s_xor_b32 s14, exec_lo, s14
; %bb.3534:                             ;   in Loop: Header=BB2_3220 Depth=3
	s_delay_alu instid0(VALU_DEP_2) | instskip(SKIP_2) | instid1(VALU_DEP_2)
	v_cmp_lt_u32_e32 vcc_lo, 0xffffff, v163
	v_sub_nc_u32_e32 v162, v164, v166
	v_cndmask_b32_e64 v164, 0, 1, vcc_lo
	v_add_co_ci_u32_e32 v162, vcc_lo, 0, v162, vcc_lo
	s_delay_alu instid0(VALU_DEP_2)
	v_lshrrev_b32_e32 v163, v164, v163
; %bb.3535:                             ;   in Loop: Header=BB2_3220 Depth=3
	s_and_not1_saveexec_b32 s14, s14
; %bb.3536:                             ;   in Loop: Header=BB2_3220 Depth=3
	s_delay_alu instid0(VALU_DEP_1)
	v_bfe_u32 v162, v163, 23, 1
; %bb.3537:                             ;   in Loop: Header=BB2_3220 Depth=3
	s_or_b32 exec_lo, exec_lo, s14
	v_lshrrev_b32_e32 v163, 20, v163
	s_delay_alu instid0(VALU_DEP_2) | instskip(SKIP_2) | instid1(VALU_DEP_2)
	v_cmp_gt_i32_e32 vcc_lo, 16, v162
	v_lshrrev_b32_e32 v164, 24, v165
	v_min_i32_e32 v165, 15, v162
	v_dual_cndmask_b32 v163, 7, v163 :: v_dual_and_b32 v164, 0x80, v164
	s_delay_alu instid0(VALU_DEP_1) | instskip(SKIP_1) | instid1(VALU_DEP_2)
	v_or_b32_e32 v162, v162, v163
	v_and_b32_e32 v166, 7, v163
	v_cmp_ne_u32_e32 vcc_lo, 0, v162
	v_lshlrev_b32_e32 v165, 3, v165
	s_delay_alu instid0(VALU_DEP_1) | instskip(NEXT) | instid1(VALU_DEP_1)
	v_or3_b32 v163, v165, v164, v166
	v_cndmask_b32_e32 v162, 0, v163, vcc_lo
.LBB2_3538:                             ;   in Loop: Header=BB2_3220 Depth=3
	s_or_b32 exec_lo, exec_lo, s35
.LBB2_3539:                             ;   in Loop: Header=BB2_3220 Depth=3
	s_delay_alu instid0(SALU_CYCLE_1) | instskip(SKIP_3) | instid1(VALU_DEP_2)
	s_or_b32 exec_lo, exec_lo, s15
	v_lshrrev_b32_e32 v164, 24, v14
	v_lshrrev_b32_e32 v163, 24, v10
	s_and_b32 vcc_lo, exec_lo, s34
	v_cmp_lt_i16_e64 s14, 0x7f, v164
	s_cbranch_vccz .LBB2_3549
; %bb.3540:                             ;   in Loop: Header=BB2_3220 Depth=3
	s_mov_b32 s15, 0
                                        ; implicit-def: $sgpr35
	s_delay_alu instid0(VALU_DEP_1) | instskip(NEXT) | instid1(SALU_CYCLE_1)
	s_and_saveexec_b32 vcc_lo, s14
	s_xor_b32 s14, exec_lo, vcc_lo
	s_cbranch_execnz .LBB2_3863
; %bb.3541:                             ;   in Loop: Header=BB2_3220 Depth=3
	s_or_saveexec_b32 s14, s14
	v_mov_b32_e32 v165, s35
	s_xor_b32 exec_lo, exec_lo, s14
	s_cbranch_execnz .LBB2_3866
.LBB2_3542:                             ;   in Loop: Header=BB2_3220 Depth=3
	s_or_b32 exec_lo, exec_lo, s14
	s_and_saveexec_b32 s14, s15
	s_cbranch_execz .LBB2_3544
.LBB2_3543:                             ;   in Loop: Header=BB2_3220 Depth=3
	v_bfe_u32 v165, v14, 24, 3
	v_bfe_u32 v176, v14, 27, 4
	s_delay_alu instid0(VALU_DEP_2) | instskip(NEXT) | instid1(VALU_DEP_2)
	v_clz_i32_u32_e32 v166, v165
	v_cmp_eq_u32_e32 vcc_lo, 0, v176
	s_delay_alu instid0(VALU_DEP_2) | instskip(NEXT) | instid1(VALU_DEP_1)
	v_min_u32_e32 v166, 32, v166
	v_subrev_nc_u32_e32 v167, 28, v166
	v_sub_nc_u32_e32 v166, 29, v166
	s_delay_alu instid0(VALU_DEP_1) | instskip(NEXT) | instid1(VALU_DEP_1)
	v_dual_cndmask_b32 v166, v176, v166 :: v_dual_lshlrev_b32 v167, v167, v164
	v_and_b32_e32 v167, 7, v167
	s_delay_alu instid0(VALU_DEP_2) | instskip(NEXT) | instid1(VALU_DEP_2)
	v_lshl_add_u32 v166, v166, 23, 0x3b800000
	v_cndmask_b32_e32 v165, v165, v167, vcc_lo
	v_and_b32_e32 v167, 0x80000000, v14
	s_delay_alu instid0(VALU_DEP_2) | instskip(NEXT) | instid1(VALU_DEP_1)
	v_lshlrev_b32_e32 v165, 20, v165
	v_or3_b32 v165, v167, v166, v165
.LBB2_3544:                             ;   in Loop: Header=BB2_3220 Depth=3
	s_or_b32 exec_lo, exec_lo, s14
	s_mov_b32 s14, 0
	s_mov_b32 s35, exec_lo
                                        ; implicit-def: $sgpr15
	v_cmpx_lt_i16_e64 0x7f, v163
	s_xor_b32 s35, exec_lo, s35
	s_cbranch_execnz .LBB2_3867
; %bb.3545:                             ;   in Loop: Header=BB2_3220 Depth=3
	s_or_saveexec_b32 s35, s35
	v_mov_b32_e32 v166, s15
	s_xor_b32 exec_lo, exec_lo, s35
	s_cbranch_execnz .LBB2_3870
.LBB2_3546:                             ;   in Loop: Header=BB2_3220 Depth=3
	s_or_b32 exec_lo, exec_lo, s35
	s_and_saveexec_b32 s15, s14
	s_cbranch_execz .LBB2_3548
.LBB2_3547:                             ;   in Loop: Header=BB2_3220 Depth=3
	v_bfe_u32 v166, v10, 24, 3
	v_bfe_u32 v177, v10, 27, 4
	s_delay_alu instid0(VALU_DEP_2) | instskip(NEXT) | instid1(VALU_DEP_2)
	v_clz_i32_u32_e32 v167, v166
	v_cmp_eq_u32_e32 vcc_lo, 0, v177
	s_delay_alu instid0(VALU_DEP_2) | instskip(NEXT) | instid1(VALU_DEP_1)
	v_min_u32_e32 v167, 32, v167
	v_subrev_nc_u32_e32 v176, 28, v167
	v_sub_nc_u32_e32 v167, 29, v167
	s_delay_alu instid0(VALU_DEP_2) | instskip(NEXT) | instid1(VALU_DEP_1)
	v_lshlrev_b32_e32 v176, v176, v163
	v_dual_cndmask_b32 v167, v177, v167 :: v_dual_and_b32 v176, 7, v176
	s_delay_alu instid0(VALU_DEP_1) | instskip(NEXT) | instid1(VALU_DEP_2)
	v_lshl_add_u32 v167, v167, 23, 0x3b800000
	v_cndmask_b32_e32 v166, v166, v176, vcc_lo
	v_and_b32_e32 v176, 0x80000000, v10
	s_delay_alu instid0(VALU_DEP_2) | instskip(NEXT) | instid1(VALU_DEP_1)
	v_lshlrev_b32_e32 v166, 20, v166
	v_or3_b32 v166, v176, v167, v166
.LBB2_3548:                             ;   in Loop: Header=BB2_3220 Depth=3
	s_or_b32 exec_lo, exec_lo, s15
	s_delay_alu instid0(VALU_DEP_1) | instskip(SKIP_1) | instid1(VALU_DEP_1)
	v_dual_max_f32 v166, v166, v166 :: v_dual_max_f32 v165, v165, v165
	s_mov_b32 s14, 0
	v_max_f32_e32 v165, v165, v166
	s_branch .LBB2_3550
.LBB2_3549:                             ;   in Loop: Header=BB2_3220 Depth=3
	s_mov_b32 s14, -1
                                        ; implicit-def: $vgpr165
.LBB2_3550:                             ;   in Loop: Header=BB2_3220 Depth=3
	s_delay_alu instid0(SALU_CYCLE_1)
	s_and_b32 vcc_lo, exec_lo, s14
	s_cbranch_vccz .LBB2_3560
; %bb.3551:                             ;   in Loop: Header=BB2_3220 Depth=3
	s_mov_b32 s14, 0
	s_mov_b32 s35, exec_lo
                                        ; implicit-def: $sgpr15
	v_cmpx_lt_i16_e64 0x7f, v164
	s_xor_b32 s35, exec_lo, s35
	s_cbranch_execnz .LBB2_3871
; %bb.3552:                             ;   in Loop: Header=BB2_3220 Depth=3
	s_or_saveexec_b32 s35, s35
	v_mov_b32_e32 v165, s15
	s_xor_b32 exec_lo, exec_lo, s35
	s_cbranch_execnz .LBB2_3874
.LBB2_3553:                             ;   in Loop: Header=BB2_3220 Depth=3
	s_or_b32 exec_lo, exec_lo, s35
	s_and_saveexec_b32 s15, s14
	s_cbranch_execz .LBB2_3555
.LBB2_3554:                             ;   in Loop: Header=BB2_3220 Depth=3
	v_bfe_u32 v165, v14, 24, 3
	s_delay_alu instid0(VALU_DEP_1) | instskip(NEXT) | instid1(VALU_DEP_1)
	v_clz_i32_u32_e32 v166, v165
	v_min_u32_e32 v166, 32, v166
	s_delay_alu instid0(VALU_DEP_1) | instskip(SKIP_1) | instid1(VALU_DEP_2)
	v_subrev_nc_u32_e32 v167, 28, v166
	v_sub_nc_u32_e32 v166, 29, v166
	v_lshlrev_b32_e32 v164, v167, v164
	v_bfe_u32 v167, v14, 27, 4
	v_and_b32_e32 v14, 0x80000000, v14
	s_delay_alu instid0(VALU_DEP_3) | instskip(NEXT) | instid1(VALU_DEP_3)
	v_and_b32_e32 v164, 7, v164
	v_cmp_eq_u32_e32 vcc_lo, 0, v167
	v_cndmask_b32_e32 v166, v167, v166, vcc_lo
	s_delay_alu instid0(VALU_DEP_3) | instskip(NEXT) | instid1(VALU_DEP_2)
	v_cndmask_b32_e32 v164, v165, v164, vcc_lo
	v_lshl_add_u32 v165, v166, 23, 0x3b800000
	s_delay_alu instid0(VALU_DEP_2) | instskip(NEXT) | instid1(VALU_DEP_1)
	v_lshlrev_b32_e32 v164, 20, v164
	v_or3_b32 v165, v14, v165, v164
.LBB2_3555:                             ;   in Loop: Header=BB2_3220 Depth=3
	s_or_b32 exec_lo, exec_lo, s15
	s_mov_b32 s14, 0
	s_mov_b32 s35, exec_lo
                                        ; implicit-def: $sgpr15
	v_cmpx_lt_i16_e64 0x7f, v163
	s_xor_b32 s35, exec_lo, s35
	s_cbranch_execnz .LBB2_3875
; %bb.3556:                             ;   in Loop: Header=BB2_3220 Depth=3
	s_or_saveexec_b32 s35, s35
	v_mov_b32_e32 v14, s15
	s_xor_b32 exec_lo, exec_lo, s35
	s_cbranch_execnz .LBB2_3878
.LBB2_3557:                             ;   in Loop: Header=BB2_3220 Depth=3
	s_or_b32 exec_lo, exec_lo, s35
	s_and_saveexec_b32 s15, s14
	s_cbranch_execz .LBB2_3559
.LBB2_3558:                             ;   in Loop: Header=BB2_3220 Depth=3
	v_bfe_u32 v14, v10, 24, 3
	s_delay_alu instid0(VALU_DEP_1) | instskip(NEXT) | instid1(VALU_DEP_1)
	v_clz_i32_u32_e32 v164, v14
	v_min_u32_e32 v164, 32, v164
	s_delay_alu instid0(VALU_DEP_1) | instskip(SKIP_1) | instid1(VALU_DEP_2)
	v_subrev_nc_u32_e32 v166, 28, v164
	v_sub_nc_u32_e32 v164, 29, v164
	v_lshlrev_b32_e32 v163, v166, v163
	v_bfe_u32 v166, v10, 27, 4
	v_and_b32_e32 v10, 0x80000000, v10
	s_delay_alu instid0(VALU_DEP_2) | instskip(NEXT) | instid1(VALU_DEP_4)
	v_cmp_eq_u32_e32 vcc_lo, 0, v166
	v_dual_cndmask_b32 v164, v166, v164 :: v_dual_and_b32 v163, 7, v163
	s_delay_alu instid0(VALU_DEP_1) | instskip(NEXT) | instid1(VALU_DEP_2)
	v_cndmask_b32_e32 v14, v14, v163, vcc_lo
	v_lshl_add_u32 v163, v164, 23, 0x3b800000
	s_delay_alu instid0(VALU_DEP_2) | instskip(NEXT) | instid1(VALU_DEP_1)
	v_lshlrev_b32_e32 v14, 20, v14
	v_or3_b32 v14, v10, v163, v14
.LBB2_3559:                             ;   in Loop: Header=BB2_3220 Depth=3
	s_or_b32 exec_lo, exec_lo, s15
	s_delay_alu instid0(VALU_DEP_1) | instskip(SKIP_1) | instid1(VALU_DEP_1)
	v_max_f32_e32 v10, v14, v14
	v_max_f32_e32 v14, v165, v165
	v_min_f32_e32 v165, v14, v10
.LBB2_3560:                             ;   in Loop: Header=BB2_3220 Depth=3
	s_delay_alu instid0(VALU_DEP_1) | instskip(NEXT) | instid1(VALU_DEP_1)
	v_and_b32_e32 v10, 0x7f800000, v165
	v_cmp_ne_u32_e32 vcc_lo, 0x7f800000, v10
	v_mov_b32_e32 v10, 0x80
	s_and_saveexec_b32 s15, vcc_lo
	s_cbranch_execz .LBB2_3568
; %bb.3561:                             ;   in Loop: Header=BB2_3220 Depth=3
	v_mov_b32_e32 v10, 0
	s_mov_b32 s35, exec_lo
	v_cmpx_ne_u32_e32 0, v165
	s_cbranch_execz .LBB2_3567
; %bb.3562:                             ;   in Loop: Header=BB2_3220 Depth=3
	v_bfe_u32 v10, v165, 23, 8
	s_delay_alu instid0(VALU_DEP_1) | instskip(SKIP_1) | instid1(VALU_DEP_2)
	v_sub_nc_u32_e32 v163, 0x78, v10
	v_cmp_gt_u32_e32 vcc_lo, 0x79, v10
	v_dual_cndmask_b32 v163, 0, v163 :: v_dual_and_b32 v14, 0x7fffff, v165
	s_delay_alu instid0(VALU_DEP_1) | instskip(SKIP_2) | instid1(VALU_DEP_4)
	v_or_b32_e32 v164, 0x800000, v14
	v_cmp_eq_u32_e32 vcc_lo, 0, v10
	v_add_nc_u32_e32 v10, 0xffffff89, v10
	v_cndmask_b32_e64 v163, v163, 0x77, vcc_lo
	s_delay_alu instid0(VALU_DEP_4) | instskip(NEXT) | instid1(VALU_DEP_3)
	v_cndmask_b32_e32 v14, v164, v14, vcc_lo
	v_cndmask_b32_e64 v10, v10, 0xffffff8a, vcc_lo
	s_delay_alu instid0(VALU_DEP_3) | instskip(NEXT) | instid1(VALU_DEP_3)
	v_lshl_add_u32 v164, 0x100000, v163, -1
	v_lshrrev_b32_e32 v166, v163, v14
	v_lshlrev_b32_e64 v176, v163, 0x80000
	s_delay_alu instid0(VALU_DEP_4) | instskip(NEXT) | instid1(VALU_DEP_4)
	v_add_nc_u32_e32 v163, v163, v10
	v_and_b32_e32 v14, v164, v14
	s_delay_alu instid0(VALU_DEP_4) | instskip(NEXT) | instid1(VALU_DEP_2)
	v_bfe_u32 v167, v166, 20, 1
	v_cmp_eq_u32_e64 s14, v14, v176
	s_delay_alu instid0(VALU_DEP_2) | instskip(NEXT) | instid1(VALU_DEP_1)
	v_add_nc_u32_e32 v164, -1, v167
	v_cndmask_b32_e64 v14, 0, v164, s14
	v_lshrrev_b32_e32 v164, 23, v166
	s_mov_b32 s14, exec_lo
	s_delay_alu instid0(VALU_DEP_2) | instskip(NEXT) | instid1(VALU_DEP_2)
	v_add_nc_u32_e32 v14, v14, v166
	v_xor_b32_e32 v164, 1, v164
	s_delay_alu instid0(VALU_DEP_2) | instskip(NEXT) | instid1(VALU_DEP_1)
	v_and_b32_e32 v10, 0xfffff, v14
	v_add_nc_u32_e32 v14, v10, v166
                                        ; implicit-def: $vgpr10
	s_delay_alu instid0(VALU_DEP_3)
	v_cmpx_ne_u32_e64 v163, v164
	s_xor_b32 s14, exec_lo, s14
; %bb.3563:                             ;   in Loop: Header=BB2_3220 Depth=3
	s_delay_alu instid0(VALU_DEP_2) | instskip(SKIP_2) | instid1(VALU_DEP_2)
	v_cmp_lt_u32_e32 vcc_lo, 0xffffff, v14
	v_sub_nc_u32_e32 v10, v163, v164
	v_cndmask_b32_e64 v163, 0, 1, vcc_lo
	v_add_co_ci_u32_e32 v10, vcc_lo, 0, v10, vcc_lo
	s_delay_alu instid0(VALU_DEP_2)
	v_lshrrev_b32_e32 v14, v163, v14
; %bb.3564:                             ;   in Loop: Header=BB2_3220 Depth=3
	s_and_not1_saveexec_b32 s14, s14
; %bb.3565:                             ;   in Loop: Header=BB2_3220 Depth=3
	s_delay_alu instid0(VALU_DEP_1)
	v_bfe_u32 v10, v14, 23, 1
; %bb.3566:                             ;   in Loop: Header=BB2_3220 Depth=3
	s_or_b32 exec_lo, exec_lo, s14
	v_lshrrev_b32_e32 v14, 20, v14
	s_delay_alu instid0(VALU_DEP_2) | instskip(SKIP_2) | instid1(VALU_DEP_2)
	v_cmp_gt_i32_e32 vcc_lo, 16, v10
	v_lshrrev_b32_e32 v163, 24, v165
	v_min_i32_e32 v164, 15, v10
	v_dual_cndmask_b32 v14, 7, v14 :: v_dual_and_b32 v163, 0x80, v163
	s_delay_alu instid0(VALU_DEP_2) | instskip(NEXT) | instid1(VALU_DEP_2)
	v_lshlrev_b32_e32 v164, 3, v164
	v_and_b32_e32 v165, 7, v14
	v_or_b32_e32 v10, v10, v14
	s_delay_alu instid0(VALU_DEP_2) | instskip(NEXT) | instid1(VALU_DEP_2)
	v_or3_b32 v14, v164, v163, v165
	v_cmp_ne_u32_e32 vcc_lo, 0, v10
	s_delay_alu instid0(VALU_DEP_2)
	v_cndmask_b32_e32 v10, 0, v14, vcc_lo
.LBB2_3567:                             ;   in Loop: Header=BB2_3220 Depth=3
	s_or_b32 exec_lo, exec_lo, s35
.LBB2_3568:                             ;   in Loop: Header=BB2_3220 Depth=3
	s_delay_alu instid0(SALU_CYCLE_1) | instskip(SKIP_2) | instid1(VALU_DEP_1)
	s_or_b32 exec_lo, exec_lo, s15
	v_and_b32_e32 v14, 0xff, v15
	s_and_b32 vcc_lo, exec_lo, s34
	v_cmp_lt_i16_e64 s14, 0x7f, v14
	s_cbranch_vccz .LBB2_3578
; %bb.3569:                             ;   in Loop: Header=BB2_3220 Depth=3
	s_mov_b32 s15, 0
                                        ; implicit-def: $sgpr35
	s_delay_alu instid0(VALU_DEP_1) | instskip(NEXT) | instid1(SALU_CYCLE_1)
	s_and_saveexec_b32 vcc_lo, s14
	s_xor_b32 s14, exec_lo, vcc_lo
	s_cbranch_execnz .LBB2_3879
; %bb.3570:                             ;   in Loop: Header=BB2_3220 Depth=3
	s_or_saveexec_b32 s14, s14
	v_mov_b32_e32 v163, s35
	s_xor_b32 exec_lo, exec_lo, s14
	s_cbranch_execnz .LBB2_3882
.LBB2_3571:                             ;   in Loop: Header=BB2_3220 Depth=3
	s_or_b32 exec_lo, exec_lo, s14
	s_and_saveexec_b32 s14, s15
	s_cbranch_execz .LBB2_3573
.LBB2_3572:                             ;   in Loop: Header=BB2_3220 Depth=3
	v_bfe_u32 v166, v15, 3, 4
	v_lshlrev_b32_e32 v167, 24, v15
	s_delay_alu instid0(VALU_DEP_2) | instskip(SKIP_1) | instid1(VALU_DEP_1)
	v_cmp_eq_u32_e32 vcc_lo, 0, v166
	v_and_b32_e32 v163, 7, v15
	v_clz_i32_u32_e32 v164, v163
	s_delay_alu instid0(VALU_DEP_1) | instskip(NEXT) | instid1(VALU_DEP_1)
	v_min_u32_e32 v164, 32, v164
	v_subrev_nc_u32_e32 v165, 28, v164
	v_sub_nc_u32_e32 v164, 29, v164
	s_delay_alu instid0(VALU_DEP_1) | instskip(NEXT) | instid1(VALU_DEP_1)
	v_dual_cndmask_b32 v164, v166, v164 :: v_dual_lshlrev_b32 v165, v165, v15
	v_and_b32_e32 v165, 7, v165
	s_delay_alu instid0(VALU_DEP_2) | instskip(NEXT) | instid1(VALU_DEP_2)
	v_lshl_add_u32 v164, v164, 23, 0x3b800000
	v_cndmask_b32_e32 v163, v163, v165, vcc_lo
	v_and_b32_e32 v165, 0x80000000, v167
	s_delay_alu instid0(VALU_DEP_2) | instskip(NEXT) | instid1(VALU_DEP_1)
	v_lshlrev_b32_e32 v163, 20, v163
	v_or3_b32 v163, v165, v164, v163
.LBB2_3573:                             ;   in Loop: Header=BB2_3220 Depth=3
	s_or_b32 exec_lo, exec_lo, s14
	v_and_b32_e32 v165, 0xff, v11
	s_mov_b32 s14, 0
	s_mov_b32 s35, exec_lo
                                        ; implicit-def: $sgpr15
	s_delay_alu instid0(VALU_DEP_1)
	v_cmpx_lt_i16_e64 0x7f, v165
	s_xor_b32 s35, exec_lo, s35
	s_cbranch_execnz .LBB2_3883
; %bb.3574:                             ;   in Loop: Header=BB2_3220 Depth=3
	s_or_saveexec_b32 s35, s35
	v_mov_b32_e32 v164, s15
	s_xor_b32 exec_lo, exec_lo, s35
	s_cbranch_execnz .LBB2_3886
.LBB2_3575:                             ;   in Loop: Header=BB2_3220 Depth=3
	s_or_b32 exec_lo, exec_lo, s35
	s_and_saveexec_b32 s15, s14
	s_cbranch_execz .LBB2_3577
.LBB2_3576:                             ;   in Loop: Header=BB2_3220 Depth=3
	v_bfe_u32 v167, v11, 3, 4
	v_lshlrev_b32_e32 v176, 24, v11
	s_delay_alu instid0(VALU_DEP_2) | instskip(SKIP_1) | instid1(VALU_DEP_1)
	v_cmp_eq_u32_e32 vcc_lo, 0, v167
	v_and_b32_e32 v164, 7, v11
	v_clz_i32_u32_e32 v165, v164
	s_delay_alu instid0(VALU_DEP_1) | instskip(NEXT) | instid1(VALU_DEP_1)
	v_min_u32_e32 v165, 32, v165
	v_subrev_nc_u32_e32 v166, 28, v165
	v_sub_nc_u32_e32 v165, 29, v165
	s_delay_alu instid0(VALU_DEP_1) | instskip(NEXT) | instid1(VALU_DEP_1)
	v_dual_cndmask_b32 v165, v167, v165 :: v_dual_lshlrev_b32 v166, v166, v11
	v_and_b32_e32 v166, 7, v166
	s_delay_alu instid0(VALU_DEP_2) | instskip(NEXT) | instid1(VALU_DEP_2)
	v_lshl_add_u32 v165, v165, 23, 0x3b800000
	v_cndmask_b32_e32 v164, v164, v166, vcc_lo
	v_and_b32_e32 v166, 0x80000000, v176
	s_delay_alu instid0(VALU_DEP_2) | instskip(NEXT) | instid1(VALU_DEP_1)
	v_lshlrev_b32_e32 v164, 20, v164
	v_or3_b32 v164, v166, v165, v164
.LBB2_3577:                             ;   in Loop: Header=BB2_3220 Depth=3
	s_or_b32 exec_lo, exec_lo, s15
	s_delay_alu instid0(VALU_DEP_1) | instskip(SKIP_1) | instid1(VALU_DEP_1)
	v_dual_max_f32 v164, v164, v164 :: v_dual_max_f32 v163, v163, v163
	s_mov_b32 s14, 0
	v_max_f32_e32 v163, v163, v164
	s_branch .LBB2_3579
.LBB2_3578:                             ;   in Loop: Header=BB2_3220 Depth=3
	s_mov_b32 s14, -1
                                        ; implicit-def: $vgpr163
.LBB2_3579:                             ;   in Loop: Header=BB2_3220 Depth=3
	s_delay_alu instid0(SALU_CYCLE_1)
	s_and_b32 vcc_lo, exec_lo, s14
	s_cbranch_vccz .LBB2_3589
; %bb.3580:                             ;   in Loop: Header=BB2_3220 Depth=3
	s_mov_b32 s14, 0
	s_mov_b32 s35, exec_lo
                                        ; implicit-def: $sgpr15
	v_cmpx_lt_i16_e32 0x7f, v14
	s_xor_b32 s35, exec_lo, s35
	s_cbranch_execnz .LBB2_3887
; %bb.3581:                             ;   in Loop: Header=BB2_3220 Depth=3
	s_or_saveexec_b32 s35, s35
	v_mov_b32_e32 v163, s15
	s_xor_b32 exec_lo, exec_lo, s35
	s_cbranch_execnz .LBB2_3890
.LBB2_3582:                             ;   in Loop: Header=BB2_3220 Depth=3
	s_or_b32 exec_lo, exec_lo, s35
	s_and_saveexec_b32 s15, s14
	s_cbranch_execz .LBB2_3584
.LBB2_3583:                             ;   in Loop: Header=BB2_3220 Depth=3
	v_and_b32_e32 v14, 7, v15
	v_bfe_u32 v165, v15, 3, 4
	v_lshlrev_b32_e32 v166, 24, v15
	s_delay_alu instid0(VALU_DEP_3) | instskip(NEXT) | instid1(VALU_DEP_3)
	v_clz_i32_u32_e32 v163, v14
	v_cmp_eq_u32_e32 vcc_lo, 0, v165
	s_delay_alu instid0(VALU_DEP_2) | instskip(NEXT) | instid1(VALU_DEP_1)
	v_min_u32_e32 v163, 32, v163
	v_subrev_nc_u32_e32 v164, 28, v163
	v_sub_nc_u32_e32 v163, 29, v163
	s_delay_alu instid0(VALU_DEP_2) | instskip(NEXT) | instid1(VALU_DEP_1)
	v_lshlrev_b32_e32 v164, v164, v15
	v_dual_cndmask_b32 v163, v165, v163 :: v_dual_and_b32 v164, 7, v164
	s_delay_alu instid0(VALU_DEP_1) | instskip(NEXT) | instid1(VALU_DEP_2)
	v_lshl_add_u32 v163, v163, 23, 0x3b800000
	v_cndmask_b32_e32 v14, v14, v164, vcc_lo
	v_and_b32_e32 v164, 0x80000000, v166
	s_delay_alu instid0(VALU_DEP_2) | instskip(NEXT) | instid1(VALU_DEP_1)
	v_lshlrev_b32_e32 v14, 20, v14
	v_or3_b32 v163, v164, v163, v14
.LBB2_3584:                             ;   in Loop: Header=BB2_3220 Depth=3
	s_or_b32 exec_lo, exec_lo, s15
	v_and_b32_e32 v164, 0xff, v11
	s_mov_b32 s14, 0
	s_mov_b32 s35, exec_lo
                                        ; implicit-def: $sgpr15
	s_delay_alu instid0(VALU_DEP_1)
	v_cmpx_lt_i16_e64 0x7f, v164
	s_xor_b32 s35, exec_lo, s35
	s_cbranch_execnz .LBB2_3891
; %bb.3585:                             ;   in Loop: Header=BB2_3220 Depth=3
	s_or_saveexec_b32 s35, s35
	v_mov_b32_e32 v14, s15
	s_xor_b32 exec_lo, exec_lo, s35
	s_cbranch_execnz .LBB2_3894
.LBB2_3586:                             ;   in Loop: Header=BB2_3220 Depth=3
	s_or_b32 exec_lo, exec_lo, s35
	s_and_saveexec_b32 s15, s14
	s_cbranch_execz .LBB2_3588
.LBB2_3587:                             ;   in Loop: Header=BB2_3220 Depth=3
	v_and_b32_e32 v14, 7, v11
	v_bfe_u32 v166, v11, 3, 4
	s_delay_alu instid0(VALU_DEP_2) | instskip(NEXT) | instid1(VALU_DEP_2)
	v_clz_i32_u32_e32 v164, v14
	v_cmp_eq_u32_e32 vcc_lo, 0, v166
	s_delay_alu instid0(VALU_DEP_2) | instskip(NEXT) | instid1(VALU_DEP_1)
	v_min_u32_e32 v164, 32, v164
	v_subrev_nc_u32_e32 v165, 28, v164
	v_sub_nc_u32_e32 v164, 29, v164
	s_delay_alu instid0(VALU_DEP_1) | instskip(NEXT) | instid1(VALU_DEP_1)
	v_dual_cndmask_b32 v164, v166, v164 :: v_dual_lshlrev_b32 v165, v165, v11
	v_and_b32_e32 v165, 7, v165
	v_lshlrev_b32_e32 v167, 24, v11
	s_delay_alu instid0(VALU_DEP_3) | instskip(NEXT) | instid1(VALU_DEP_2)
	v_lshl_add_u32 v164, v164, 23, 0x3b800000
	v_dual_cndmask_b32 v14, v14, v165 :: v_dual_and_b32 v165, 0x80000000, v167
	s_delay_alu instid0(VALU_DEP_1) | instskip(NEXT) | instid1(VALU_DEP_1)
	v_lshlrev_b32_e32 v14, 20, v14
	v_or3_b32 v14, v165, v164, v14
.LBB2_3588:                             ;   in Loop: Header=BB2_3220 Depth=3
	s_or_b32 exec_lo, exec_lo, s15
	s_delay_alu instid0(VALU_DEP_1) | instskip(NEXT) | instid1(VALU_DEP_1)
	v_dual_max_f32 v14, v14, v14 :: v_dual_max_f32 v163, v163, v163
	v_min_f32_e32 v163, v163, v14
.LBB2_3589:                             ;   in Loop: Header=BB2_3220 Depth=3
	s_delay_alu instid0(VALU_DEP_1) | instskip(NEXT) | instid1(VALU_DEP_1)
	v_and_b32_e32 v14, 0x7f800000, v163
	v_cmp_ne_u32_e32 vcc_lo, 0x7f800000, v14
	v_mov_b32_e32 v14, 0x80
	s_and_saveexec_b32 s15, vcc_lo
	s_cbranch_execz .LBB2_3597
; %bb.3590:                             ;   in Loop: Header=BB2_3220 Depth=3
	v_mov_b32_e32 v14, 0
	s_mov_b32 s35, exec_lo
	v_cmpx_ne_u32_e32 0, v163
	s_cbranch_execz .LBB2_3596
; %bb.3591:                             ;   in Loop: Header=BB2_3220 Depth=3
	v_bfe_u32 v14, v163, 23, 8
	s_delay_alu instid0(VALU_DEP_1) | instskip(SKIP_1) | instid1(VALU_DEP_2)
	v_sub_nc_u32_e32 v165, 0x78, v14
	v_cmp_gt_u32_e32 vcc_lo, 0x79, v14
	v_dual_cndmask_b32 v165, 0, v165 :: v_dual_and_b32 v164, 0x7fffff, v163
	s_delay_alu instid0(VALU_DEP_1) | instskip(SKIP_2) | instid1(VALU_DEP_4)
	v_or_b32_e32 v166, 0x800000, v164
	v_cmp_eq_u32_e32 vcc_lo, 0, v14
	v_add_nc_u32_e32 v14, 0xffffff89, v14
	v_cndmask_b32_e64 v165, v165, 0x77, vcc_lo
	s_delay_alu instid0(VALU_DEP_2) | instskip(SKIP_1) | instid1(VALU_DEP_3)
	v_cndmask_b32_e64 v14, v14, 0xffffff8a, vcc_lo
	v_cndmask_b32_e32 v164, v166, v164, vcc_lo
	v_lshl_add_u32 v166, 0x100000, v165, -1
	v_lshlrev_b32_e64 v177, v165, 0x80000
	s_delay_alu instid0(VALU_DEP_3) | instskip(SKIP_1) | instid1(VALU_DEP_4)
	v_lshrrev_b32_e32 v167, v165, v164
	v_add_nc_u32_e32 v165, v165, v14
	v_and_b32_e32 v164, v166, v164
	s_delay_alu instid0(VALU_DEP_3) | instskip(NEXT) | instid1(VALU_DEP_2)
	v_bfe_u32 v176, v167, 20, 1
	v_cmp_eq_u32_e64 s14, v164, v177
	s_delay_alu instid0(VALU_DEP_2) | instskip(NEXT) | instid1(VALU_DEP_1)
	v_add_nc_u32_e32 v166, -1, v176
	v_cndmask_b32_e64 v164, 0, v166, s14
	v_lshrrev_b32_e32 v166, 23, v167
	s_mov_b32 s14, exec_lo
	s_delay_alu instid0(VALU_DEP_2) | instskip(NEXT) | instid1(VALU_DEP_2)
	v_add_nc_u32_e32 v164, v164, v167
	v_xor_b32_e32 v166, 1, v166
	s_delay_alu instid0(VALU_DEP_2) | instskip(NEXT) | instid1(VALU_DEP_1)
	v_and_b32_e32 v14, 0xfffff, v164
	v_add_nc_u32_e32 v164, v14, v167
                                        ; implicit-def: $vgpr14
	s_delay_alu instid0(VALU_DEP_3)
	v_cmpx_ne_u32_e64 v165, v166
	s_xor_b32 s14, exec_lo, s14
; %bb.3592:                             ;   in Loop: Header=BB2_3220 Depth=3
	s_delay_alu instid0(VALU_DEP_2) | instskip(SKIP_2) | instid1(VALU_DEP_2)
	v_cmp_lt_u32_e32 vcc_lo, 0xffffff, v164
	v_sub_nc_u32_e32 v14, v165, v166
	v_cndmask_b32_e64 v165, 0, 1, vcc_lo
	v_add_co_ci_u32_e32 v14, vcc_lo, 0, v14, vcc_lo
	s_delay_alu instid0(VALU_DEP_2)
	v_lshrrev_b32_e32 v164, v165, v164
; %bb.3593:                             ;   in Loop: Header=BB2_3220 Depth=3
	s_and_not1_saveexec_b32 s14, s14
; %bb.3594:                             ;   in Loop: Header=BB2_3220 Depth=3
	s_delay_alu instid0(VALU_DEP_1)
	v_bfe_u32 v14, v164, 23, 1
; %bb.3595:                             ;   in Loop: Header=BB2_3220 Depth=3
	s_or_b32 exec_lo, exec_lo, s14
	v_lshrrev_b32_e32 v164, 20, v164
	s_delay_alu instid0(VALU_DEP_2) | instskip(SKIP_2) | instid1(VALU_DEP_2)
	v_cmp_gt_i32_e32 vcc_lo, 16, v14
	v_lshrrev_b32_e32 v163, 24, v163
	v_min_i32_e32 v165, 15, v14
	v_dual_cndmask_b32 v164, 7, v164 :: v_dual_and_b32 v163, 0x80, v163
	s_delay_alu instid0(VALU_DEP_1) | instskip(SKIP_1) | instid1(VALU_DEP_2)
	v_or_b32_e32 v14, v14, v164
	v_and_b32_e32 v166, 7, v164
	v_cmp_ne_u32_e32 vcc_lo, 0, v14
	v_lshlrev_b32_e32 v165, 3, v165
	s_delay_alu instid0(VALU_DEP_1) | instskip(NEXT) | instid1(VALU_DEP_1)
	v_or3_b32 v163, v165, v163, v166
	v_cndmask_b32_e32 v14, 0, v163, vcc_lo
.LBB2_3596:                             ;   in Loop: Header=BB2_3220 Depth=3
	s_or_b32 exec_lo, exec_lo, s35
.LBB2_3597:                             ;   in Loop: Header=BB2_3220 Depth=3
	s_delay_alu instid0(SALU_CYCLE_1) | instskip(SKIP_3) | instid1(VALU_DEP_2)
	s_or_b32 exec_lo, exec_lo, s15
	v_lshrrev_b16 v164, 8, v15
	v_lshrrev_b16 v163, 8, v11
	s_and_b32 vcc_lo, exec_lo, s34
	v_cmp_lt_i16_e64 s14, 0x7f, v164
	s_cbranch_vccz .LBB2_3607
; %bb.3598:                             ;   in Loop: Header=BB2_3220 Depth=3
	s_mov_b32 s15, 0
                                        ; implicit-def: $sgpr35
	s_delay_alu instid0(VALU_DEP_1) | instskip(NEXT) | instid1(SALU_CYCLE_1)
	s_and_saveexec_b32 vcc_lo, s14
	s_xor_b32 s14, exec_lo, vcc_lo
	s_cbranch_execnz .LBB2_3895
; %bb.3599:                             ;   in Loop: Header=BB2_3220 Depth=3
	s_or_saveexec_b32 s14, s14
	v_mov_b32_e32 v165, s35
	s_xor_b32 exec_lo, exec_lo, s14
	s_cbranch_execnz .LBB2_3898
.LBB2_3600:                             ;   in Loop: Header=BB2_3220 Depth=3
	s_or_b32 exec_lo, exec_lo, s14
	s_and_saveexec_b32 s14, s15
	s_cbranch_execz .LBB2_3602
.LBB2_3601:                             ;   in Loop: Header=BB2_3220 Depth=3
	v_and_b32_e32 v165, 0xffff, v164
	s_delay_alu instid0(VALU_DEP_1) | instskip(NEXT) | instid1(VALU_DEP_1)
	v_and_b32_e32 v166, 7, v165
	v_clz_i32_u32_e32 v167, v166
	s_delay_alu instid0(VALU_DEP_1) | instskip(NEXT) | instid1(VALU_DEP_1)
	v_min_u32_e32 v167, 32, v167
	v_subrev_nc_u32_e32 v176, 28, v167
	v_sub_nc_u32_e32 v167, 29, v167
	s_delay_alu instid0(VALU_DEP_2) | instskip(SKIP_1) | instid1(VALU_DEP_2)
	v_lshlrev_b32_e32 v176, v176, v165
	v_bfe_u32 v165, v165, 3, 4
	v_and_b32_e32 v176, 7, v176
	s_delay_alu instid0(VALU_DEP_2) | instskip(SKIP_1) | instid1(VALU_DEP_3)
	v_cmp_eq_u32_e32 vcc_lo, 0, v165
	v_cndmask_b32_e32 v165, v165, v167, vcc_lo
	v_dual_cndmask_b32 v166, v166, v176 :: v_dual_lshlrev_b32 v177, 16, v15
	s_delay_alu instid0(VALU_DEP_2) | instskip(NEXT) | instid1(VALU_DEP_2)
	v_lshl_add_u32 v165, v165, 23, 0x3b800000
	v_and_b32_e32 v167, 0x80000000, v177
	s_delay_alu instid0(VALU_DEP_3) | instskip(NEXT) | instid1(VALU_DEP_1)
	v_lshlrev_b32_e32 v166, 20, v166
	v_or3_b32 v165, v167, v165, v166
.LBB2_3602:                             ;   in Loop: Header=BB2_3220 Depth=3
	s_or_b32 exec_lo, exec_lo, s14
	s_mov_b32 s14, 0
	s_mov_b32 s35, exec_lo
                                        ; implicit-def: $sgpr15
	v_cmpx_lt_i16_e64 0x7f, v163
	s_xor_b32 s35, exec_lo, s35
	s_cbranch_execnz .LBB2_3899
; %bb.3603:                             ;   in Loop: Header=BB2_3220 Depth=3
	s_or_saveexec_b32 s35, s35
	v_mov_b32_e32 v166, s15
	s_xor_b32 exec_lo, exec_lo, s35
	s_cbranch_execnz .LBB2_3902
.LBB2_3604:                             ;   in Loop: Header=BB2_3220 Depth=3
	s_or_b32 exec_lo, exec_lo, s35
	s_and_saveexec_b32 s15, s14
	s_cbranch_execz .LBB2_3606
.LBB2_3605:                             ;   in Loop: Header=BB2_3220 Depth=3
	v_and_b32_e32 v166, 0xffff, v163
	v_lshlrev_b32_e32 v178, 16, v11
	s_delay_alu instid0(VALU_DEP_2) | instskip(NEXT) | instid1(VALU_DEP_1)
	v_and_b32_e32 v167, 7, v166
	v_clz_i32_u32_e32 v176, v167
	s_delay_alu instid0(VALU_DEP_1) | instskip(NEXT) | instid1(VALU_DEP_1)
	v_min_u32_e32 v176, 32, v176
	v_subrev_nc_u32_e32 v177, 28, v176
	v_sub_nc_u32_e32 v176, 29, v176
	s_delay_alu instid0(VALU_DEP_2) | instskip(SKIP_1) | instid1(VALU_DEP_2)
	v_lshlrev_b32_e32 v177, v177, v166
	v_bfe_u32 v166, v166, 3, 4
	v_and_b32_e32 v177, 7, v177
	s_delay_alu instid0(VALU_DEP_2) | instskip(NEXT) | instid1(VALU_DEP_2)
	v_cmp_eq_u32_e32 vcc_lo, 0, v166
	v_dual_cndmask_b32 v166, v166, v176 :: v_dual_cndmask_b32 v167, v167, v177
	v_and_b32_e32 v176, 0x80000000, v178
	s_delay_alu instid0(VALU_DEP_2) | instskip(NEXT) | instid1(VALU_DEP_3)
	v_lshl_add_u32 v166, v166, 23, 0x3b800000
	v_lshlrev_b32_e32 v167, 20, v167
	s_delay_alu instid0(VALU_DEP_1)
	v_or3_b32 v166, v176, v166, v167
.LBB2_3606:                             ;   in Loop: Header=BB2_3220 Depth=3
	s_or_b32 exec_lo, exec_lo, s15
	s_delay_alu instid0(VALU_DEP_1) | instskip(SKIP_1) | instid1(VALU_DEP_1)
	v_dual_max_f32 v166, v166, v166 :: v_dual_max_f32 v165, v165, v165
	s_mov_b32 s14, 0
	v_max_f32_e32 v165, v165, v166
	s_branch .LBB2_3608
.LBB2_3607:                             ;   in Loop: Header=BB2_3220 Depth=3
	s_mov_b32 s14, -1
                                        ; implicit-def: $vgpr165
.LBB2_3608:                             ;   in Loop: Header=BB2_3220 Depth=3
	s_delay_alu instid0(SALU_CYCLE_1)
	s_and_b32 vcc_lo, exec_lo, s14
	s_cbranch_vccz .LBB2_3618
; %bb.3609:                             ;   in Loop: Header=BB2_3220 Depth=3
	s_mov_b32 s14, 0
	s_mov_b32 s35, exec_lo
                                        ; implicit-def: $sgpr15
	v_cmpx_lt_i16_e64 0x7f, v164
	s_xor_b32 s35, exec_lo, s35
	s_cbranch_execnz .LBB2_3903
; %bb.3610:                             ;   in Loop: Header=BB2_3220 Depth=3
	s_or_saveexec_b32 s35, s35
	v_mov_b32_e32 v165, s15
	s_xor_b32 exec_lo, exec_lo, s35
	s_cbranch_execnz .LBB2_3906
.LBB2_3611:                             ;   in Loop: Header=BB2_3220 Depth=3
	s_or_b32 exec_lo, exec_lo, s35
	s_and_saveexec_b32 s15, s14
	s_cbranch_execz .LBB2_3613
.LBB2_3612:                             ;   in Loop: Header=BB2_3220 Depth=3
	v_and_b32_e32 v164, 0xffff, v164
	v_lshlrev_b32_e32 v176, 16, v15
	s_delay_alu instid0(VALU_DEP_2) | instskip(NEXT) | instid1(VALU_DEP_1)
	v_and_b32_e32 v165, 7, v164
	v_clz_i32_u32_e32 v166, v165
	s_delay_alu instid0(VALU_DEP_1) | instskip(NEXT) | instid1(VALU_DEP_1)
	v_min_u32_e32 v166, 32, v166
	v_subrev_nc_u32_e32 v167, 28, v166
	v_sub_nc_u32_e32 v166, 29, v166
	s_delay_alu instid0(VALU_DEP_2) | instskip(SKIP_1) | instid1(VALU_DEP_2)
	v_lshlrev_b32_e32 v167, v167, v164
	v_bfe_u32 v164, v164, 3, 4
	v_and_b32_e32 v167, 7, v167
	s_delay_alu instid0(VALU_DEP_2) | instskip(NEXT) | instid1(VALU_DEP_2)
	v_cmp_eq_u32_e32 vcc_lo, 0, v164
	v_dual_cndmask_b32 v164, v164, v166 :: v_dual_cndmask_b32 v165, v165, v167
	v_and_b32_e32 v166, 0x80000000, v176
	s_delay_alu instid0(VALU_DEP_2) | instskip(NEXT) | instid1(VALU_DEP_3)
	v_lshl_add_u32 v164, v164, 23, 0x3b800000
	v_lshlrev_b32_e32 v165, 20, v165
	s_delay_alu instid0(VALU_DEP_1)
	v_or3_b32 v165, v166, v164, v165
.LBB2_3613:                             ;   in Loop: Header=BB2_3220 Depth=3
	s_or_b32 exec_lo, exec_lo, s15
	s_mov_b32 s14, 0
	s_mov_b32 s35, exec_lo
                                        ; implicit-def: $sgpr15
	v_cmpx_lt_i16_e64 0x7f, v163
	s_xor_b32 s35, exec_lo, s35
	s_cbranch_execnz .LBB2_3907
; %bb.3614:                             ;   in Loop: Header=BB2_3220 Depth=3
	s_or_saveexec_b32 s35, s35
	v_mov_b32_e32 v164, s15
	s_xor_b32 exec_lo, exec_lo, s35
	s_cbranch_execnz .LBB2_3910
.LBB2_3615:                             ;   in Loop: Header=BB2_3220 Depth=3
	s_or_b32 exec_lo, exec_lo, s35
	s_and_saveexec_b32 s15, s14
	s_cbranch_execz .LBB2_3617
.LBB2_3616:                             ;   in Loop: Header=BB2_3220 Depth=3
	v_and_b32_e32 v163, 0xffff, v163
	v_lshlrev_b32_e32 v176, 16, v11
	s_delay_alu instid0(VALU_DEP_2) | instskip(NEXT) | instid1(VALU_DEP_1)
	v_and_b32_e32 v164, 7, v163
	v_clz_i32_u32_e32 v166, v164
	s_delay_alu instid0(VALU_DEP_1) | instskip(NEXT) | instid1(VALU_DEP_1)
	v_min_u32_e32 v166, 32, v166
	v_subrev_nc_u32_e32 v167, 28, v166
	v_sub_nc_u32_e32 v166, 29, v166
	s_delay_alu instid0(VALU_DEP_2) | instskip(SKIP_1) | instid1(VALU_DEP_2)
	v_lshlrev_b32_e32 v167, v167, v163
	v_bfe_u32 v163, v163, 3, 4
	v_and_b32_e32 v167, 7, v167
	s_delay_alu instid0(VALU_DEP_2) | instskip(NEXT) | instid1(VALU_DEP_2)
	v_cmp_eq_u32_e32 vcc_lo, 0, v163
	v_dual_cndmask_b32 v163, v163, v166 :: v_dual_cndmask_b32 v164, v164, v167
	v_and_b32_e32 v166, 0x80000000, v176
	s_delay_alu instid0(VALU_DEP_2) | instskip(NEXT) | instid1(VALU_DEP_3)
	v_lshl_add_u32 v163, v163, 23, 0x3b800000
	v_lshlrev_b32_e32 v164, 20, v164
	s_delay_alu instid0(VALU_DEP_1)
	v_or3_b32 v164, v166, v163, v164
.LBB2_3617:                             ;   in Loop: Header=BB2_3220 Depth=3
	s_or_b32 exec_lo, exec_lo, s15
	s_delay_alu instid0(VALU_DEP_1) | instskip(NEXT) | instid1(VALU_DEP_1)
	v_dual_max_f32 v163, v164, v164 :: v_dual_max_f32 v164, v165, v165
	v_min_f32_e32 v165, v164, v163
.LBB2_3618:                             ;   in Loop: Header=BB2_3220 Depth=3
	s_delay_alu instid0(VALU_DEP_1) | instskip(NEXT) | instid1(VALU_DEP_1)
	v_and_b32_e32 v163, 0x7f800000, v165
	v_cmp_ne_u32_e32 vcc_lo, 0x7f800000, v163
	v_mov_b32_e32 v163, 0x80
	s_and_saveexec_b32 s15, vcc_lo
	s_cbranch_execz .LBB2_3626
; %bb.3619:                             ;   in Loop: Header=BB2_3220 Depth=3
	v_mov_b32_e32 v163, 0
	s_mov_b32 s35, exec_lo
	v_cmpx_ne_u32_e32 0, v165
	s_cbranch_execz .LBB2_3625
; %bb.3620:                             ;   in Loop: Header=BB2_3220 Depth=3
	v_bfe_u32 v163, v165, 23, 8
	v_and_b32_e32 v164, 0x7fffff, v165
	s_delay_alu instid0(VALU_DEP_2) | instskip(SKIP_1) | instid1(VALU_DEP_3)
	v_sub_nc_u32_e32 v166, 0x78, v163
	v_cmp_gt_u32_e32 vcc_lo, 0x79, v163
	v_or_b32_e32 v167, 0x800000, v164
	s_delay_alu instid0(VALU_DEP_3) | instskip(SKIP_2) | instid1(VALU_DEP_3)
	v_cndmask_b32_e32 v166, 0, v166, vcc_lo
	v_cmp_eq_u32_e32 vcc_lo, 0, v163
	v_add_nc_u32_e32 v163, 0xffffff89, v163
	v_cndmask_b32_e64 v166, v166, 0x77, vcc_lo
	v_cndmask_b32_e32 v164, v167, v164, vcc_lo
	s_delay_alu instid0(VALU_DEP_3) | instskip(NEXT) | instid1(VALU_DEP_3)
	v_cndmask_b32_e64 v163, v163, 0xffffff8a, vcc_lo
	v_lshl_add_u32 v167, 0x100000, v166, -1
	s_delay_alu instid0(VALU_DEP_3) | instskip(SKIP_1) | instid1(VALU_DEP_4)
	v_lshrrev_b32_e32 v176, v166, v164
	v_lshlrev_b32_e64 v178, v166, 0x80000
	v_add_nc_u32_e32 v166, v166, v163
	s_delay_alu instid0(VALU_DEP_4) | instskip(NEXT) | instid1(VALU_DEP_4)
	v_and_b32_e32 v164, v167, v164
	v_bfe_u32 v177, v176, 20, 1
	s_delay_alu instid0(VALU_DEP_2) | instskip(NEXT) | instid1(VALU_DEP_2)
	v_cmp_eq_u32_e64 s14, v164, v178
	v_add_nc_u32_e32 v167, -1, v177
	s_delay_alu instid0(VALU_DEP_1) | instskip(SKIP_2) | instid1(VALU_DEP_2)
	v_cndmask_b32_e64 v164, 0, v167, s14
	v_lshrrev_b32_e32 v167, 23, v176
	s_mov_b32 s14, exec_lo
	v_add_nc_u32_e32 v164, v164, v176
	s_delay_alu instid0(VALU_DEP_2) | instskip(NEXT) | instid1(VALU_DEP_2)
	v_xor_b32_e32 v167, 1, v167
	v_and_b32_e32 v163, 0xfffff, v164
	s_delay_alu instid0(VALU_DEP_1) | instskip(NEXT) | instid1(VALU_DEP_3)
	v_add_nc_u32_e32 v164, v163, v176
                                        ; implicit-def: $vgpr163
	v_cmpx_ne_u32_e64 v166, v167
	s_xor_b32 s14, exec_lo, s14
; %bb.3621:                             ;   in Loop: Header=BB2_3220 Depth=3
	s_delay_alu instid0(VALU_DEP_2) | instskip(SKIP_2) | instid1(VALU_DEP_2)
	v_cmp_lt_u32_e32 vcc_lo, 0xffffff, v164
	v_sub_nc_u32_e32 v163, v166, v167
	v_cndmask_b32_e64 v166, 0, 1, vcc_lo
	v_add_co_ci_u32_e32 v163, vcc_lo, 0, v163, vcc_lo
	s_delay_alu instid0(VALU_DEP_2)
	v_lshrrev_b32_e32 v164, v166, v164
; %bb.3622:                             ;   in Loop: Header=BB2_3220 Depth=3
	s_and_not1_saveexec_b32 s14, s14
; %bb.3623:                             ;   in Loop: Header=BB2_3220 Depth=3
	s_delay_alu instid0(VALU_DEP_1)
	v_bfe_u32 v163, v164, 23, 1
; %bb.3624:                             ;   in Loop: Header=BB2_3220 Depth=3
	s_or_b32 exec_lo, exec_lo, s14
	v_lshrrev_b32_e32 v164, 20, v164
	s_delay_alu instid0(VALU_DEP_2) | instskip(SKIP_2) | instid1(VALU_DEP_2)
	v_cmp_gt_i32_e32 vcc_lo, 16, v163
	v_lshrrev_b32_e32 v165, 24, v165
	v_min_i32_e32 v166, 15, v163
	v_dual_cndmask_b32 v164, 7, v164 :: v_dual_and_b32 v165, 0x80, v165
	s_delay_alu instid0(VALU_DEP_1) | instskip(SKIP_1) | instid1(VALU_DEP_2)
	v_or_b32_e32 v163, v163, v164
	v_and_b32_e32 v167, 7, v164
	v_cmp_ne_u32_e32 vcc_lo, 0, v163
	v_lshlrev_b32_e32 v166, 3, v166
	s_delay_alu instid0(VALU_DEP_1) | instskip(NEXT) | instid1(VALU_DEP_1)
	v_or3_b32 v164, v166, v165, v167
	v_cndmask_b32_e32 v163, 0, v164, vcc_lo
.LBB2_3625:                             ;   in Loop: Header=BB2_3220 Depth=3
	s_or_b32 exec_lo, exec_lo, s35
.LBB2_3626:                             ;   in Loop: Header=BB2_3220 Depth=3
	s_delay_alu instid0(SALU_CYCLE_1) | instskip(SKIP_3) | instid1(VALU_DEP_2)
	s_or_b32 exec_lo, exec_lo, s15
	v_lshrrev_b32_e32 v165, 16, v15
	v_lshrrev_b32_e32 v164, 16, v11
	s_and_b32 vcc_lo, exec_lo, s34
	v_and_b32_e32 v166, 0xff, v165
	s_delay_alu instid0(VALU_DEP_1)
	v_cmp_lt_i16_e64 s14, 0x7f, v166
	s_cbranch_vccz .LBB2_3636
; %bb.3627:                             ;   in Loop: Header=BB2_3220 Depth=3
	s_mov_b32 s15, 0
                                        ; implicit-def: $sgpr35
	s_delay_alu instid0(VALU_DEP_1) | instskip(NEXT) | instid1(SALU_CYCLE_1)
	s_and_saveexec_b32 vcc_lo, s14
	s_xor_b32 s14, exec_lo, vcc_lo
	s_cbranch_execnz .LBB2_3911
; %bb.3628:                             ;   in Loop: Header=BB2_3220 Depth=3
	s_or_saveexec_b32 s14, s14
	v_mov_b32_e32 v167, s35
	s_xor_b32 exec_lo, exec_lo, s14
	s_cbranch_execnz .LBB2_3914
.LBB2_3629:                             ;   in Loop: Header=BB2_3220 Depth=3
	s_or_b32 exec_lo, exec_lo, s14
	s_and_saveexec_b32 s14, s15
	s_cbranch_execz .LBB2_3631
.LBB2_3630:                             ;   in Loop: Header=BB2_3220 Depth=3
	v_bfe_u32 v167, v15, 16, 3
	v_bfe_u32 v178, v15, 19, 4
	v_lshlrev_b32_e32 v179, 24, v165
	s_delay_alu instid0(VALU_DEP_3) | instskip(NEXT) | instid1(VALU_DEP_3)
	v_clz_i32_u32_e32 v176, v167
	v_cmp_eq_u32_e32 vcc_lo, 0, v178
	s_delay_alu instid0(VALU_DEP_2) | instskip(NEXT) | instid1(VALU_DEP_1)
	v_min_u32_e32 v176, 32, v176
	v_subrev_nc_u32_e32 v177, 28, v176
	v_sub_nc_u32_e32 v176, 29, v176
	s_delay_alu instid0(VALU_DEP_1) | instskip(NEXT) | instid1(VALU_DEP_1)
	v_dual_cndmask_b32 v176, v178, v176 :: v_dual_lshlrev_b32 v177, v177, v165
	v_and_b32_e32 v177, 7, v177
	s_delay_alu instid0(VALU_DEP_2) | instskip(NEXT) | instid1(VALU_DEP_2)
	v_lshl_add_u32 v176, v176, 23, 0x3b800000
	v_cndmask_b32_e32 v167, v167, v177, vcc_lo
	v_and_b32_e32 v177, 0x80000000, v179
	s_delay_alu instid0(VALU_DEP_2) | instskip(NEXT) | instid1(VALU_DEP_1)
	v_lshlrev_b32_e32 v167, 20, v167
	v_or3_b32 v167, v177, v176, v167
.LBB2_3631:                             ;   in Loop: Header=BB2_3220 Depth=3
	s_or_b32 exec_lo, exec_lo, s14
	v_and_b32_e32 v177, 0xff, v164
	s_mov_b32 s14, 0
	s_mov_b32 s35, exec_lo
                                        ; implicit-def: $sgpr15
	s_delay_alu instid0(VALU_DEP_1)
	v_cmpx_lt_i16_e64 0x7f, v177
	s_xor_b32 s35, exec_lo, s35
	s_cbranch_execnz .LBB2_3915
; %bb.3632:                             ;   in Loop: Header=BB2_3220 Depth=3
	s_or_saveexec_b32 s35, s35
	v_mov_b32_e32 v176, s15
	s_xor_b32 exec_lo, exec_lo, s35
	s_cbranch_execnz .LBB2_3918
.LBB2_3633:                             ;   in Loop: Header=BB2_3220 Depth=3
	s_or_b32 exec_lo, exec_lo, s35
	s_and_saveexec_b32 s15, s14
	s_cbranch_execz .LBB2_3635
.LBB2_3634:                             ;   in Loop: Header=BB2_3220 Depth=3
	v_bfe_u32 v176, v11, 16, 3
	v_bfe_u32 v179, v11, 19, 4
	v_lshlrev_b32_e32 v180, 24, v164
	s_delay_alu instid0(VALU_DEP_3) | instskip(NEXT) | instid1(VALU_DEP_3)
	v_clz_i32_u32_e32 v177, v176
	v_cmp_eq_u32_e32 vcc_lo, 0, v179
	s_delay_alu instid0(VALU_DEP_2) | instskip(NEXT) | instid1(VALU_DEP_1)
	v_min_u32_e32 v177, 32, v177
	v_subrev_nc_u32_e32 v178, 28, v177
	v_sub_nc_u32_e32 v177, 29, v177
	s_delay_alu instid0(VALU_DEP_1) | instskip(NEXT) | instid1(VALU_DEP_1)
	v_dual_cndmask_b32 v177, v179, v177 :: v_dual_lshlrev_b32 v178, v178, v164
	v_and_b32_e32 v178, 7, v178
	s_delay_alu instid0(VALU_DEP_2) | instskip(NEXT) | instid1(VALU_DEP_2)
	v_lshl_add_u32 v177, v177, 23, 0x3b800000
	v_cndmask_b32_e32 v176, v176, v178, vcc_lo
	v_and_b32_e32 v178, 0x80000000, v180
	s_delay_alu instid0(VALU_DEP_2) | instskip(NEXT) | instid1(VALU_DEP_1)
	v_lshlrev_b32_e32 v176, 20, v176
	v_or3_b32 v176, v178, v177, v176
.LBB2_3635:                             ;   in Loop: Header=BB2_3220 Depth=3
	s_or_b32 exec_lo, exec_lo, s15
	s_delay_alu instid0(VALU_DEP_1) | instskip(SKIP_1) | instid1(VALU_DEP_1)
	v_dual_max_f32 v176, v176, v176 :: v_dual_max_f32 v167, v167, v167
	s_mov_b32 s14, 0
	v_max_f32_e32 v167, v167, v176
	s_branch .LBB2_3637
.LBB2_3636:                             ;   in Loop: Header=BB2_3220 Depth=3
	s_mov_b32 s14, -1
                                        ; implicit-def: $vgpr167
.LBB2_3637:                             ;   in Loop: Header=BB2_3220 Depth=3
	s_delay_alu instid0(SALU_CYCLE_1)
	s_and_b32 vcc_lo, exec_lo, s14
	s_cbranch_vccz .LBB2_3647
; %bb.3638:                             ;   in Loop: Header=BB2_3220 Depth=3
	s_mov_b32 s14, 0
	s_mov_b32 s35, exec_lo
                                        ; implicit-def: $sgpr15
	v_cmpx_lt_i16_e64 0x7f, v166
	s_xor_b32 s35, exec_lo, s35
	s_cbranch_execnz .LBB2_3919
; %bb.3639:                             ;   in Loop: Header=BB2_3220 Depth=3
	s_or_saveexec_b32 s35, s35
	v_mov_b32_e32 v167, s15
	s_xor_b32 exec_lo, exec_lo, s35
	s_cbranch_execnz .LBB2_3922
.LBB2_3640:                             ;   in Loop: Header=BB2_3220 Depth=3
	s_or_b32 exec_lo, exec_lo, s35
	s_and_saveexec_b32 s15, s14
	s_cbranch_execz .LBB2_3642
.LBB2_3641:                             ;   in Loop: Header=BB2_3220 Depth=3
	v_bfe_u32 v166, v15, 16, 3
	v_bfe_u32 v177, v15, 19, 4
	s_delay_alu instid0(VALU_DEP_2) | instskip(NEXT) | instid1(VALU_DEP_2)
	v_clz_i32_u32_e32 v167, v166
	v_cmp_eq_u32_e32 vcc_lo, 0, v177
	s_delay_alu instid0(VALU_DEP_2) | instskip(NEXT) | instid1(VALU_DEP_1)
	v_min_u32_e32 v167, 32, v167
	v_subrev_nc_u32_e32 v176, 28, v167
	v_sub_nc_u32_e32 v167, 29, v167
	s_delay_alu instid0(VALU_DEP_1) | instskip(NEXT) | instid1(VALU_DEP_1)
	v_dual_cndmask_b32 v167, v177, v167 :: v_dual_lshlrev_b32 v176, v176, v165
	v_and_b32_e32 v176, 7, v176
	v_lshlrev_b32_e32 v165, 24, v165
	s_delay_alu instid0(VALU_DEP_3) | instskip(NEXT) | instid1(VALU_DEP_2)
	v_lshl_add_u32 v167, v167, 23, 0x3b800000
	v_dual_cndmask_b32 v166, v166, v176 :: v_dual_and_b32 v165, 0x80000000, v165
	s_delay_alu instid0(VALU_DEP_1) | instskip(NEXT) | instid1(VALU_DEP_1)
	v_lshlrev_b32_e32 v166, 20, v166
	v_or3_b32 v167, v165, v167, v166
.LBB2_3642:                             ;   in Loop: Header=BB2_3220 Depth=3
	s_or_b32 exec_lo, exec_lo, s15
	v_and_b32_e32 v166, 0xff, v164
	s_mov_b32 s14, 0
	s_mov_b32 s35, exec_lo
                                        ; implicit-def: $sgpr15
	s_delay_alu instid0(VALU_DEP_1)
	v_cmpx_lt_i16_e64 0x7f, v166
	s_xor_b32 s35, exec_lo, s35
	s_cbranch_execnz .LBB2_3923
; %bb.3643:                             ;   in Loop: Header=BB2_3220 Depth=3
	s_or_saveexec_b32 s35, s35
	v_mov_b32_e32 v165, s15
	s_xor_b32 exec_lo, exec_lo, s35
	s_cbranch_execnz .LBB2_3926
.LBB2_3644:                             ;   in Loop: Header=BB2_3220 Depth=3
	s_or_b32 exec_lo, exec_lo, s35
	s_and_saveexec_b32 s15, s14
	s_cbranch_execz .LBB2_3646
.LBB2_3645:                             ;   in Loop: Header=BB2_3220 Depth=3
	v_bfe_u32 v165, v11, 16, 3
	v_bfe_u32 v177, v11, 19, 4
	s_delay_alu instid0(VALU_DEP_2) | instskip(NEXT) | instid1(VALU_DEP_2)
	v_clz_i32_u32_e32 v166, v165
	v_cmp_eq_u32_e32 vcc_lo, 0, v177
	s_delay_alu instid0(VALU_DEP_2) | instskip(NEXT) | instid1(VALU_DEP_1)
	v_min_u32_e32 v166, 32, v166
	v_subrev_nc_u32_e32 v176, 28, v166
	v_sub_nc_u32_e32 v166, 29, v166
	s_delay_alu instid0(VALU_DEP_2) | instskip(SKIP_1) | instid1(VALU_DEP_2)
	v_lshlrev_b32_e32 v176, v176, v164
	v_lshlrev_b32_e32 v164, 24, v164
	v_and_b32_e32 v176, 7, v176
	s_delay_alu instid0(VALU_DEP_2) | instskip(NEXT) | instid1(VALU_DEP_2)
	v_and_b32_e32 v164, 0x80000000, v164
	v_cndmask_b32_e32 v165, v165, v176, vcc_lo
	s_delay_alu instid0(VALU_DEP_1) | instskip(NEXT) | instid1(VALU_DEP_1)
	v_dual_cndmask_b32 v166, v177, v166 :: v_dual_lshlrev_b32 v165, 20, v165
	v_lshl_add_u32 v166, v166, 23, 0x3b800000
	s_delay_alu instid0(VALU_DEP_1)
	v_or3_b32 v165, v164, v166, v165
.LBB2_3646:                             ;   in Loop: Header=BB2_3220 Depth=3
	s_or_b32 exec_lo, exec_lo, s15
	s_delay_alu instid0(VALU_DEP_1) | instskip(NEXT) | instid1(VALU_DEP_1)
	v_dual_max_f32 v164, v165, v165 :: v_dual_max_f32 v165, v167, v167
	v_min_f32_e32 v167, v165, v164
.LBB2_3647:                             ;   in Loop: Header=BB2_3220 Depth=3
	s_delay_alu instid0(VALU_DEP_1) | instskip(NEXT) | instid1(VALU_DEP_1)
	v_and_b32_e32 v164, 0x7f800000, v167
	v_cmp_ne_u32_e32 vcc_lo, 0x7f800000, v164
	v_mov_b32_e32 v164, 0x80
	s_and_saveexec_b32 s15, vcc_lo
	s_cbranch_execz .LBB2_3655
; %bb.3648:                             ;   in Loop: Header=BB2_3220 Depth=3
	v_mov_b32_e32 v164, 0
	s_mov_b32 s35, exec_lo
	v_cmpx_ne_u32_e32 0, v167
	s_cbranch_execz .LBB2_3654
; %bb.3649:                             ;   in Loop: Header=BB2_3220 Depth=3
	v_bfe_u32 v164, v167, 23, 8
	s_delay_alu instid0(VALU_DEP_1) | instskip(SKIP_1) | instid1(VALU_DEP_2)
	v_sub_nc_u32_e32 v166, 0x78, v164
	v_cmp_gt_u32_e32 vcc_lo, 0x79, v164
	v_dual_cndmask_b32 v166, 0, v166 :: v_dual_and_b32 v165, 0x7fffff, v167
	s_delay_alu instid0(VALU_DEP_1) | instskip(SKIP_2) | instid1(VALU_DEP_4)
	v_or_b32_e32 v176, 0x800000, v165
	v_cmp_eq_u32_e32 vcc_lo, 0, v164
	v_add_nc_u32_e32 v164, 0xffffff89, v164
	v_cndmask_b32_e64 v166, v166, 0x77, vcc_lo
	s_delay_alu instid0(VALU_DEP_4) | instskip(NEXT) | instid1(VALU_DEP_3)
	v_cndmask_b32_e32 v165, v176, v165, vcc_lo
	v_cndmask_b32_e64 v164, v164, 0xffffff8a, vcc_lo
	s_delay_alu instid0(VALU_DEP_3) | instskip(NEXT) | instid1(VALU_DEP_3)
	v_lshl_add_u32 v176, 0x100000, v166, -1
	v_lshrrev_b32_e32 v177, v166, v165
	v_lshlrev_b32_e64 v179, v166, 0x80000
	s_delay_alu instid0(VALU_DEP_4) | instskip(NEXT) | instid1(VALU_DEP_4)
	v_add_nc_u32_e32 v166, v166, v164
	v_and_b32_e32 v165, v176, v165
	s_delay_alu instid0(VALU_DEP_4) | instskip(NEXT) | instid1(VALU_DEP_2)
	v_bfe_u32 v178, v177, 20, 1
	v_cmp_eq_u32_e64 s14, v165, v179
	s_delay_alu instid0(VALU_DEP_2) | instskip(NEXT) | instid1(VALU_DEP_1)
	v_add_nc_u32_e32 v176, -1, v178
	v_cndmask_b32_e64 v165, 0, v176, s14
	v_lshrrev_b32_e32 v176, 23, v177
	s_mov_b32 s14, exec_lo
	s_delay_alu instid0(VALU_DEP_2) | instskip(NEXT) | instid1(VALU_DEP_2)
	v_add_nc_u32_e32 v165, v165, v177
	v_xor_b32_e32 v176, 1, v176
	s_delay_alu instid0(VALU_DEP_2) | instskip(NEXT) | instid1(VALU_DEP_1)
	v_and_b32_e32 v164, 0xfffff, v165
	v_add_nc_u32_e32 v165, v164, v177
                                        ; implicit-def: $vgpr164
	s_delay_alu instid0(VALU_DEP_3)
	v_cmpx_ne_u32_e64 v166, v176
	s_xor_b32 s14, exec_lo, s14
; %bb.3650:                             ;   in Loop: Header=BB2_3220 Depth=3
	s_delay_alu instid0(VALU_DEP_2) | instskip(SKIP_2) | instid1(VALU_DEP_2)
	v_cmp_lt_u32_e32 vcc_lo, 0xffffff, v165
	v_sub_nc_u32_e32 v164, v166, v176
	v_cndmask_b32_e64 v166, 0, 1, vcc_lo
	v_add_co_ci_u32_e32 v164, vcc_lo, 0, v164, vcc_lo
	s_delay_alu instid0(VALU_DEP_2)
	v_lshrrev_b32_e32 v165, v166, v165
; %bb.3651:                             ;   in Loop: Header=BB2_3220 Depth=3
	s_and_not1_saveexec_b32 s14, s14
; %bb.3652:                             ;   in Loop: Header=BB2_3220 Depth=3
	s_delay_alu instid0(VALU_DEP_1)
	v_bfe_u32 v164, v165, 23, 1
; %bb.3653:                             ;   in Loop: Header=BB2_3220 Depth=3
	s_or_b32 exec_lo, exec_lo, s14
	v_lshrrev_b32_e32 v165, 20, v165
	s_delay_alu instid0(VALU_DEP_2) | instskip(SKIP_2) | instid1(VALU_DEP_2)
	v_cmp_gt_i32_e32 vcc_lo, 16, v164
	v_min_i32_e32 v166, 15, v164
	v_lshrrev_b32_e32 v167, 24, v167
	v_dual_cndmask_b32 v165, 7, v165 :: v_dual_lshlrev_b32 v166, 3, v166
	s_delay_alu instid0(VALU_DEP_1) | instskip(SKIP_1) | instid1(VALU_DEP_3)
	v_or_b32_e32 v164, v164, v165
	v_and_b32_e32 v176, 7, v165
	v_and_b32_e32 v166, 0xf8, v166
	s_delay_alu instid0(VALU_DEP_3) | instskip(SKIP_1) | instid1(VALU_DEP_1)
	v_cmp_ne_u32_e32 vcc_lo, 0, v164
	v_and_b32_e32 v167, 0x80, v167
	v_or3_b32 v165, v166, v167, v176
	s_delay_alu instid0(VALU_DEP_1)
	v_cndmask_b32_e32 v164, 0, v165, vcc_lo
.LBB2_3654:                             ;   in Loop: Header=BB2_3220 Depth=3
	s_or_b32 exec_lo, exec_lo, s35
.LBB2_3655:                             ;   in Loop: Header=BB2_3220 Depth=3
	s_delay_alu instid0(SALU_CYCLE_1) | instskip(SKIP_3) | instid1(VALU_DEP_2)
	s_or_b32 exec_lo, exec_lo, s15
	v_lshrrev_b32_e32 v166, 24, v15
	v_lshrrev_b32_e32 v165, 24, v11
	s_and_b32 vcc_lo, exec_lo, s34
	v_cmp_lt_i16_e64 s14, 0x7f, v166
	s_cbranch_vccz .LBB2_3665
; %bb.3656:                             ;   in Loop: Header=BB2_3220 Depth=3
	s_mov_b32 s15, 0
                                        ; implicit-def: $sgpr35
	s_delay_alu instid0(VALU_DEP_1) | instskip(NEXT) | instid1(SALU_CYCLE_1)
	s_and_saveexec_b32 vcc_lo, s14
	s_xor_b32 s14, exec_lo, vcc_lo
	s_cbranch_execnz .LBB2_3927
; %bb.3657:                             ;   in Loop: Header=BB2_3220 Depth=3
	s_or_saveexec_b32 s14, s14
	v_mov_b32_e32 v167, s35
	s_xor_b32 exec_lo, exec_lo, s14
	s_cbranch_execnz .LBB2_3930
.LBB2_3658:                             ;   in Loop: Header=BB2_3220 Depth=3
	s_or_b32 exec_lo, exec_lo, s14
	s_and_saveexec_b32 s14, s15
	s_cbranch_execz .LBB2_3660
.LBB2_3659:                             ;   in Loop: Header=BB2_3220 Depth=3
	v_bfe_u32 v167, v15, 24, 3
	v_bfe_u32 v178, v15, 27, 4
	s_delay_alu instid0(VALU_DEP_2) | instskip(NEXT) | instid1(VALU_DEP_2)
	v_clz_i32_u32_e32 v176, v167
	v_cmp_eq_u32_e32 vcc_lo, 0, v178
	s_delay_alu instid0(VALU_DEP_2) | instskip(NEXT) | instid1(VALU_DEP_1)
	v_min_u32_e32 v176, 32, v176
	v_subrev_nc_u32_e32 v177, 28, v176
	v_sub_nc_u32_e32 v176, 29, v176
	s_delay_alu instid0(VALU_DEP_1) | instskip(NEXT) | instid1(VALU_DEP_1)
	v_dual_cndmask_b32 v176, v178, v176 :: v_dual_lshlrev_b32 v177, v177, v166
	v_and_b32_e32 v177, 7, v177
	s_delay_alu instid0(VALU_DEP_2) | instskip(NEXT) | instid1(VALU_DEP_2)
	v_lshl_add_u32 v176, v176, 23, 0x3b800000
	v_cndmask_b32_e32 v167, v167, v177, vcc_lo
	v_and_b32_e32 v177, 0x80000000, v15
	s_delay_alu instid0(VALU_DEP_2) | instskip(NEXT) | instid1(VALU_DEP_1)
	v_lshlrev_b32_e32 v167, 20, v167
	v_or3_b32 v167, v177, v176, v167
.LBB2_3660:                             ;   in Loop: Header=BB2_3220 Depth=3
	s_or_b32 exec_lo, exec_lo, s14
	s_mov_b32 s14, 0
	s_mov_b32 s35, exec_lo
                                        ; implicit-def: $sgpr15
	v_cmpx_lt_i16_e64 0x7f, v165
	s_xor_b32 s35, exec_lo, s35
	s_cbranch_execnz .LBB2_3931
; %bb.3661:                             ;   in Loop: Header=BB2_3220 Depth=3
	s_or_saveexec_b32 s35, s35
	v_mov_b32_e32 v176, s15
	s_xor_b32 exec_lo, exec_lo, s35
	s_cbranch_execnz .LBB2_3934
.LBB2_3662:                             ;   in Loop: Header=BB2_3220 Depth=3
	s_or_b32 exec_lo, exec_lo, s35
	s_and_saveexec_b32 s15, s14
	s_cbranch_execz .LBB2_3664
.LBB2_3663:                             ;   in Loop: Header=BB2_3220 Depth=3
	v_bfe_u32 v176, v11, 24, 3
	v_bfe_u32 v179, v11, 27, 4
	s_delay_alu instid0(VALU_DEP_2) | instskip(NEXT) | instid1(VALU_DEP_2)
	v_clz_i32_u32_e32 v177, v176
	v_cmp_eq_u32_e32 vcc_lo, 0, v179
	s_delay_alu instid0(VALU_DEP_2) | instskip(NEXT) | instid1(VALU_DEP_1)
	v_min_u32_e32 v177, 32, v177
	v_subrev_nc_u32_e32 v178, 28, v177
	v_sub_nc_u32_e32 v177, 29, v177
	s_delay_alu instid0(VALU_DEP_2) | instskip(NEXT) | instid1(VALU_DEP_1)
	v_lshlrev_b32_e32 v178, v178, v165
	v_dual_cndmask_b32 v177, v179, v177 :: v_dual_and_b32 v178, 7, v178
	s_delay_alu instid0(VALU_DEP_1) | instskip(NEXT) | instid1(VALU_DEP_2)
	v_lshl_add_u32 v177, v177, 23, 0x3b800000
	v_cndmask_b32_e32 v176, v176, v178, vcc_lo
	v_and_b32_e32 v178, 0x80000000, v11
	s_delay_alu instid0(VALU_DEP_2) | instskip(NEXT) | instid1(VALU_DEP_1)
	v_lshlrev_b32_e32 v176, 20, v176
	v_or3_b32 v176, v178, v177, v176
.LBB2_3664:                             ;   in Loop: Header=BB2_3220 Depth=3
	s_or_b32 exec_lo, exec_lo, s15
	s_delay_alu instid0(VALU_DEP_1) | instskip(SKIP_1) | instid1(VALU_DEP_1)
	v_dual_max_f32 v176, v176, v176 :: v_dual_max_f32 v167, v167, v167
	s_mov_b32 s14, 0
	v_max_f32_e32 v167, v167, v176
	s_branch .LBB2_3666
.LBB2_3665:                             ;   in Loop: Header=BB2_3220 Depth=3
	s_mov_b32 s14, -1
                                        ; implicit-def: $vgpr167
.LBB2_3666:                             ;   in Loop: Header=BB2_3220 Depth=3
	s_delay_alu instid0(SALU_CYCLE_1)
	s_and_b32 vcc_lo, exec_lo, s14
	s_cbranch_vccz .LBB2_3676
; %bb.3667:                             ;   in Loop: Header=BB2_3220 Depth=3
	s_mov_b32 s14, 0
	s_mov_b32 s35, exec_lo
                                        ; implicit-def: $sgpr15
	v_cmpx_lt_i16_e64 0x7f, v166
	s_xor_b32 s35, exec_lo, s35
	s_cbranch_execnz .LBB2_3935
; %bb.3668:                             ;   in Loop: Header=BB2_3220 Depth=3
	s_or_saveexec_b32 s35, s35
	v_mov_b32_e32 v167, s15
	s_xor_b32 exec_lo, exec_lo, s35
	s_cbranch_execnz .LBB2_3938
.LBB2_3669:                             ;   in Loop: Header=BB2_3220 Depth=3
	s_or_b32 exec_lo, exec_lo, s35
	s_and_saveexec_b32 s15, s14
	s_cbranch_execz .LBB2_3671
.LBB2_3670:                             ;   in Loop: Header=BB2_3220 Depth=3
	v_bfe_u32 v167, v15, 24, 3
	s_delay_alu instid0(VALU_DEP_1) | instskip(NEXT) | instid1(VALU_DEP_1)
	v_clz_i32_u32_e32 v176, v167
	v_min_u32_e32 v176, 32, v176
	s_delay_alu instid0(VALU_DEP_1) | instskip(SKIP_1) | instid1(VALU_DEP_2)
	v_subrev_nc_u32_e32 v177, 28, v176
	v_sub_nc_u32_e32 v176, 29, v176
	v_lshlrev_b32_e32 v166, v177, v166
	v_bfe_u32 v177, v15, 27, 4
	v_and_b32_e32 v15, 0x80000000, v15
	s_delay_alu instid0(VALU_DEP_3) | instskip(NEXT) | instid1(VALU_DEP_3)
	v_and_b32_e32 v166, 7, v166
	v_cmp_eq_u32_e32 vcc_lo, 0, v177
	v_cndmask_b32_e32 v176, v177, v176, vcc_lo
	s_delay_alu instid0(VALU_DEP_3) | instskip(NEXT) | instid1(VALU_DEP_2)
	v_cndmask_b32_e32 v166, v167, v166, vcc_lo
	v_lshl_add_u32 v167, v176, 23, 0x3b800000
	s_delay_alu instid0(VALU_DEP_2) | instskip(NEXT) | instid1(VALU_DEP_1)
	v_lshlrev_b32_e32 v166, 20, v166
	v_or3_b32 v167, v15, v167, v166
.LBB2_3671:                             ;   in Loop: Header=BB2_3220 Depth=3
	s_or_b32 exec_lo, exec_lo, s15
	s_mov_b32 s14, 0
	s_mov_b32 s35, exec_lo
                                        ; implicit-def: $sgpr15
	v_cmpx_lt_i16_e64 0x7f, v165
	s_xor_b32 s35, exec_lo, s35
	s_cbranch_execnz .LBB2_3939
; %bb.3672:                             ;   in Loop: Header=BB2_3220 Depth=3
	s_or_saveexec_b32 s35, s35
	v_mov_b32_e32 v15, s15
	s_xor_b32 exec_lo, exec_lo, s35
	s_cbranch_execnz .LBB2_3942
.LBB2_3673:                             ;   in Loop: Header=BB2_3220 Depth=3
	s_or_b32 exec_lo, exec_lo, s35
	s_and_saveexec_b32 s15, s14
	s_cbranch_execz .LBB2_3675
.LBB2_3674:                             ;   in Loop: Header=BB2_3220 Depth=3
	v_bfe_u32 v15, v11, 24, 3
	s_delay_alu instid0(VALU_DEP_1) | instskip(NEXT) | instid1(VALU_DEP_1)
	v_clz_i32_u32_e32 v166, v15
	v_min_u32_e32 v166, 32, v166
	s_delay_alu instid0(VALU_DEP_1) | instskip(SKIP_1) | instid1(VALU_DEP_2)
	v_subrev_nc_u32_e32 v176, 28, v166
	v_sub_nc_u32_e32 v166, 29, v166
	v_lshlrev_b32_e32 v165, v176, v165
	v_bfe_u32 v176, v11, 27, 4
	v_and_b32_e32 v11, 0x80000000, v11
	s_delay_alu instid0(VALU_DEP_2) | instskip(NEXT) | instid1(VALU_DEP_4)
	v_cmp_eq_u32_e32 vcc_lo, 0, v176
	v_dual_cndmask_b32 v166, v176, v166 :: v_dual_and_b32 v165, 7, v165
	s_delay_alu instid0(VALU_DEP_1) | instskip(NEXT) | instid1(VALU_DEP_2)
	v_cndmask_b32_e32 v15, v15, v165, vcc_lo
	v_lshl_add_u32 v165, v166, 23, 0x3b800000
	s_delay_alu instid0(VALU_DEP_2) | instskip(NEXT) | instid1(VALU_DEP_1)
	v_lshlrev_b32_e32 v15, 20, v15
	v_or3_b32 v15, v11, v165, v15
.LBB2_3675:                             ;   in Loop: Header=BB2_3220 Depth=3
	s_or_b32 exec_lo, exec_lo, s15
	s_delay_alu instid0(VALU_DEP_1) | instskip(SKIP_1) | instid1(VALU_DEP_1)
	v_max_f32_e32 v11, v15, v15
	v_max_f32_e32 v15, v167, v167
	v_min_f32_e32 v167, v15, v11
.LBB2_3676:                             ;   in Loop: Header=BB2_3220 Depth=3
	s_delay_alu instid0(VALU_DEP_1) | instskip(NEXT) | instid1(VALU_DEP_1)
	v_and_b32_e32 v11, 0x7f800000, v167
	v_cmp_ne_u32_e32 vcc_lo, 0x7f800000, v11
	v_mov_b32_e32 v11, 0x8000
	s_and_saveexec_b32 s15, vcc_lo
	s_cbranch_execz .LBB2_3684
; %bb.3677:                             ;   in Loop: Header=BB2_3220 Depth=3
	v_mov_b32_e32 v11, 0
	s_mov_b32 s35, exec_lo
	v_cmpx_ne_u32_e32 0, v167
	s_cbranch_execz .LBB2_3683
; %bb.3678:                             ;   in Loop: Header=BB2_3220 Depth=3
	v_bfe_u32 v11, v167, 23, 8
	v_and_b32_e32 v15, 0x7fffff, v167
	s_delay_alu instid0(VALU_DEP_2) | instskip(SKIP_1) | instid1(VALU_DEP_3)
	v_sub_nc_u32_e32 v165, 0x78, v11
	v_cmp_gt_u32_e32 vcc_lo, 0x79, v11
	v_or_b32_e32 v166, 0x800000, v15
	s_delay_alu instid0(VALU_DEP_3) | instskip(SKIP_2) | instid1(VALU_DEP_3)
	v_cndmask_b32_e32 v165, 0, v165, vcc_lo
	v_cmp_eq_u32_e32 vcc_lo, 0, v11
	v_add_nc_u32_e32 v11, 0xffffff89, v11
	v_cndmask_b32_e64 v165, v165, 0x77, vcc_lo
	v_cndmask_b32_e32 v15, v166, v15, vcc_lo
	s_delay_alu instid0(VALU_DEP_3) | instskip(NEXT) | instid1(VALU_DEP_3)
	v_cndmask_b32_e64 v11, v11, 0xffffff8a, vcc_lo
	v_lshl_add_u32 v166, 0x100000, v165, -1
	s_delay_alu instid0(VALU_DEP_3) | instskip(SKIP_1) | instid1(VALU_DEP_4)
	v_lshrrev_b32_e32 v176, v165, v15
	v_lshlrev_b32_e64 v178, v165, 0x80000
	v_add_nc_u32_e32 v165, v165, v11
	s_delay_alu instid0(VALU_DEP_4) | instskip(NEXT) | instid1(VALU_DEP_4)
	v_and_b32_e32 v15, v166, v15
	v_bfe_u32 v177, v176, 20, 1
	s_delay_alu instid0(VALU_DEP_2) | instskip(NEXT) | instid1(VALU_DEP_2)
	v_cmp_eq_u32_e64 s14, v15, v178
	v_add_nc_u32_e32 v166, -1, v177
	s_delay_alu instid0(VALU_DEP_1) | instskip(SKIP_2) | instid1(VALU_DEP_2)
	v_cndmask_b32_e64 v15, 0, v166, s14
	v_lshrrev_b32_e32 v166, 23, v176
	s_mov_b32 s14, exec_lo
	v_add_nc_u32_e32 v15, v15, v176
	s_delay_alu instid0(VALU_DEP_2) | instskip(NEXT) | instid1(VALU_DEP_2)
	v_xor_b32_e32 v166, 1, v166
	v_and_b32_e32 v11, 0xfffff, v15
	s_delay_alu instid0(VALU_DEP_1) | instskip(NEXT) | instid1(VALU_DEP_3)
	v_add_nc_u32_e32 v15, v11, v176
                                        ; implicit-def: $vgpr11
	v_cmpx_ne_u32_e64 v165, v166
	s_xor_b32 s14, exec_lo, s14
; %bb.3679:                             ;   in Loop: Header=BB2_3220 Depth=3
	s_delay_alu instid0(VALU_DEP_2) | instskip(SKIP_2) | instid1(VALU_DEP_2)
	v_cmp_lt_u32_e32 vcc_lo, 0xffffff, v15
	v_sub_nc_u32_e32 v11, v165, v166
	v_cndmask_b32_e64 v165, 0, 1, vcc_lo
	v_add_co_ci_u32_e32 v11, vcc_lo, 0, v11, vcc_lo
	s_delay_alu instid0(VALU_DEP_2)
	v_lshrrev_b32_e32 v15, v165, v15
; %bb.3680:                             ;   in Loop: Header=BB2_3220 Depth=3
	s_and_not1_saveexec_b32 s14, s14
; %bb.3681:                             ;   in Loop: Header=BB2_3220 Depth=3
	s_delay_alu instid0(VALU_DEP_1)
	v_bfe_u32 v11, v15, 23, 1
; %bb.3682:                             ;   in Loop: Header=BB2_3220 Depth=3
	s_or_b32 exec_lo, exec_lo, s14
	v_lshrrev_b32_e32 v15, 20, v15
	s_delay_alu instid0(VALU_DEP_2) | instskip(SKIP_2) | instid1(VALU_DEP_3)
	v_min_i32_e32 v165, 15, v11
	v_cmp_gt_i32_e32 vcc_lo, 16, v11
	v_lshrrev_b32_e32 v166, 24, v167
	v_lshlrev_b32_e32 v165, 3, v165
	s_delay_alu instid0(VALU_DEP_2) | instskip(NEXT) | instid1(VALU_DEP_2)
	v_dual_cndmask_b32 v15, 7, v15 :: v_dual_and_b32 v166, 0x80, v166
	v_and_b32_e32 v165, 0xf8, v165
	s_delay_alu instid0(VALU_DEP_2) | instskip(SKIP_1) | instid1(VALU_DEP_2)
	v_and_b32_e32 v167, 7, v15
	v_or_b32_e32 v11, v11, v15
	v_or3_b32 v165, v166, v165, v167
	s_delay_alu instid0(VALU_DEP_2) | instskip(NEXT) | instid1(VALU_DEP_2)
	v_cmp_ne_u32_e32 vcc_lo, 0, v11
	v_lshlrev_b32_e32 v15, 8, v165
	s_delay_alu instid0(VALU_DEP_1)
	v_cndmask_b32_e32 v11, 0, v15, vcc_lo
.LBB2_3683:                             ;   in Loop: Header=BB2_3220 Depth=3
	s_or_b32 exec_lo, exec_lo, s35
.LBB2_3684:                             ;   in Loop: Header=BB2_3220 Depth=3
	s_delay_alu instid0(SALU_CYCLE_1)
	s_or_b32 exec_lo, exec_lo, s15
	v_lshlrev_b32_e32 v15, 8, v151
	v_and_b32_e32 v150, 0xff, v150
	v_or_b32_e32 v9, v9, v160
	v_lshlrev_b32_e32 v149, 8, v149
	v_lshlrev_b32_e32 v151, 8, v161
	v_perm_b32 v12, v15, v12, 0xc0c0500
	v_lshlrev_b32_e32 v15, 16, v150
	v_and_b32_e32 v150, 0xff, v162
	v_lshlrev_b32_e32 v160, 8, v163
	v_lshlrev_b32_e32 v8, 24, v8
	v_perm_b32 v148, v149, v148, 0xc0c0500
	v_lshlrev_b32_e32 v10, 24, v10
	v_lshlrev_b32_e32 v149, 16, v150
	v_perm_b32 v13, v151, v13, 0xc0c0500
	v_perm_b32 v14, v160, v14, 0xc0c0500
	v_or_b32_e32 v11, v11, v164
	v_lshl_or_b32 v9, v9, 16, v12
	v_or3_b32 v8, v8, v15, v148
	v_or3_b32 v10, v10, v149, v13
	s_mov_b64 s[14:15], 0
	v_lshl_or_b32 v11, v11, 16, v14
	s_mov_b32 s35, -1
.LBB2_3685:                             ;   Parent Loop BB2_51 Depth=1
                                        ;     Parent Loop BB2_2404 Depth=2
                                        ;       Parent Loop BB2_3220 Depth=3
                                        ; =>      This Inner Loop Header: Depth=4
	s_cmp_eq_u32 s14, 0
	v_cndmask_b32_e64 v14, 0, 1, s35
	s_cselect_b32 vcc_lo, -1, 0
	s_cmp_eq_u32 s14, 1
	s_mov_b32 s35, 0
	s_cselect_b32 s14, -1, 0
	s_delay_alu instid0(SALU_CYCLE_1) | instskip(SKIP_1) | instid1(VALU_DEP_2)
	v_cndmask_b32_e64 v12, v64, v66, s14
	v_cndmask_b32_e64 v13, v65, v67, s14
	v_add_co_u32 v15, s15, 0x200, v12
	s_delay_alu instid0(VALU_DEP_1) | instskip(SKIP_1) | instid1(VALU_DEP_3)
	v_add_co_ci_u32_e64 v148, s15, 0, v13, s15
	v_cmp_ne_u32_e64 s15, 1, v14
	v_cndmask_b32_e64 v66, v66, v15, s14
	v_cndmask_b32_e32 v64, v64, v15, vcc_lo
	s_delay_alu instid0(VALU_DEP_4)
	v_cndmask_b32_e64 v67, v67, v148, s14
	v_cndmask_b32_e32 v65, v65, v148, vcc_lo
	s_and_b32 vcc_lo, exec_lo, s15
	s_mov_b64 s[14:15], 1
	global_store_b128 v[12:13], v[8:11], off glc slc dlc
	s_cbranch_vccz .LBB2_3685
; %bb.3686:                             ;   in Loop: Header=BB2_3220 Depth=3
	v_add_co_u32 v68, vcc_lo, v68, v100
	v_add_co_ci_u32_e32 v69, vcc_lo, v69, v101, vcc_lo
	v_add_co_u32 v70, vcc_lo, v70, v100
	v_sub_nc_u32_e32 v147, v147, v86
	v_add_co_ci_u32_e32 v71, vcc_lo, v71, v101, vcc_lo
	v_add_co_u32 v64, vcc_lo, v64, v87
	v_add_co_ci_u32_e32 v65, vcc_lo, v65, v98, vcc_lo
	s_delay_alu instid0(VALU_DEP_4) | instskip(SKIP_1) | instid1(VALU_DEP_1)
	v_cmp_gt_i32_e32 vcc_lo, 16, v147
	v_add_co_u32 v66, s14, v66, v87
	v_add_co_ci_u32_e64 v67, s14, v67, v98, s14
	v_sub_nc_u32_e32 v146, v146, v83
	s_or_b32 s31, vcc_lo, s31
	s_delay_alu instid0(SALU_CYCLE_1)
	s_and_not1_b32 exec_lo, exec_lo, s31
	s_cbranch_execnz .LBB2_3220
	s_branch .LBB2_3943
.LBB2_3687:                             ;   in Loop: Header=BB2_3220 Depth=3
	s_mov_b32 s15, -1
	s_mov_b32 s36, exec_lo
                                        ; implicit-def: $sgpr35
	v_cmpx_eq_u16_e64 0x80, v148
; %bb.3688:                             ;   in Loop: Header=BB2_3220 Depth=3
	s_mov_b32 s35, 0x7f800001
	s_xor_b32 s15, exec_lo, -1
; %bb.3689:                             ;   in Loop: Header=BB2_3220 Depth=3
	s_or_b32 exec_lo, exec_lo, s36
	s_delay_alu instid0(SALU_CYCLE_1)
	s_and_b32 s15, s15, exec_lo
	s_or_saveexec_b32 s14, s14
	v_mov_b32_e32 v149, s35
	s_xor_b32 exec_lo, exec_lo, s14
	s_cbranch_execz .LBB2_3223
.LBB2_3690:                             ;   in Loop: Header=BB2_3220 Depth=3
	v_cmp_ne_u16_e64 vcc_lo, 0, v148
	v_mov_b32_e32 v149, 0
	s_and_not1_b32 s15, s15, exec_lo
	s_delay_alu instid0(VALU_DEP_2) | instskip(NEXT) | instid1(SALU_CYCLE_1)
	s_and_b32 vcc_lo, vcc_lo, exec_lo
	s_or_b32 s15, s15, vcc_lo
	s_or_b32 exec_lo, exec_lo, s14
	s_and_saveexec_b32 s14, s15
	s_cbranch_execnz .LBB2_3224
	s_branch .LBB2_3225
.LBB2_3691:                             ;   in Loop: Header=BB2_3220 Depth=3
	s_mov_b32 s14, -1
	s_mov_b32 s36, exec_lo
                                        ; implicit-def: $sgpr15
	v_cmpx_eq_u16_e64 0x80, v151
; %bb.3692:                             ;   in Loop: Header=BB2_3220 Depth=3
	s_mov_b32 s15, 0x7f800001
	s_xor_b32 s14, exec_lo, -1
; %bb.3693:                             ;   in Loop: Header=BB2_3220 Depth=3
	s_or_b32 exec_lo, exec_lo, s36
	s_delay_alu instid0(SALU_CYCLE_1)
	s_and_b32 s14, s14, exec_lo
                                        ; implicit-def: $vgpr151
	s_or_saveexec_b32 s35, s35
	v_mov_b32_e32 v150, s15
	s_xor_b32 exec_lo, exec_lo, s35
	s_cbranch_execz .LBB2_3227
.LBB2_3694:                             ;   in Loop: Header=BB2_3220 Depth=3
	v_cmp_ne_u16_e64 vcc_lo, 0, v151
	v_mov_b32_e32 v150, 0
	s_and_not1_b32 s14, s14, exec_lo
	s_delay_alu instid0(VALU_DEP_2) | instskip(NEXT) | instid1(SALU_CYCLE_1)
	s_and_b32 s15, vcc_lo, exec_lo
	s_or_b32 s14, s14, s15
	s_or_b32 exec_lo, exec_lo, s35
	s_and_saveexec_b32 s15, s14
	s_cbranch_execnz .LBB2_3228
	s_branch .LBB2_3229
.LBB2_3695:                             ;   in Loop: Header=BB2_3220 Depth=3
	s_mov_b32 s14, -1
	s_mov_b32 s36, exec_lo
                                        ; implicit-def: $sgpr15
	v_cmpx_eq_u16_e64 0x80, v148
; %bb.3696:                             ;   in Loop: Header=BB2_3220 Depth=3
	s_mov_b32 s15, 0x7f800001
	s_xor_b32 s14, exec_lo, -1
; %bb.3697:                             ;   in Loop: Header=BB2_3220 Depth=3
	s_or_b32 exec_lo, exec_lo, s36
	s_delay_alu instid0(SALU_CYCLE_1)
	s_and_b32 s14, s14, exec_lo
                                        ; implicit-def: $vgpr148
	s_or_saveexec_b32 s35, s35
	v_mov_b32_e32 v149, s15
	s_xor_b32 exec_lo, exec_lo, s35
	s_cbranch_execz .LBB2_3234
.LBB2_3698:                             ;   in Loop: Header=BB2_3220 Depth=3
	v_cmp_ne_u16_e64 vcc_lo, 0, v148
	v_mov_b32_e32 v149, 0
	s_and_not1_b32 s14, s14, exec_lo
	s_delay_alu instid0(VALU_DEP_2) | instskip(NEXT) | instid1(SALU_CYCLE_1)
	s_and_b32 s15, vcc_lo, exec_lo
	s_or_b32 s14, s14, s15
	s_or_b32 exec_lo, exec_lo, s35
	s_and_saveexec_b32 s15, s14
	s_cbranch_execnz .LBB2_3235
	s_branch .LBB2_3236
.LBB2_3699:                             ;   in Loop: Header=BB2_3220 Depth=3
	s_mov_b32 s14, -1
	s_mov_b32 s36, exec_lo
                                        ; implicit-def: $sgpr15
	v_cmpx_eq_u16_e64 0x80, v150
; %bb.3700:                             ;   in Loop: Header=BB2_3220 Depth=3
	s_mov_b32 s15, 0x7f800001
	s_xor_b32 s14, exec_lo, -1
; %bb.3701:                             ;   in Loop: Header=BB2_3220 Depth=3
	s_or_b32 exec_lo, exec_lo, s36
	s_delay_alu instid0(SALU_CYCLE_1)
	s_and_b32 s14, s14, exec_lo
                                        ; implicit-def: $vgpr150
	s_or_saveexec_b32 s35, s35
	v_mov_b32_e32 v148, s15
	s_xor_b32 exec_lo, exec_lo, s35
	s_cbranch_execz .LBB2_3238
.LBB2_3702:                             ;   in Loop: Header=BB2_3220 Depth=3
	v_cmp_ne_u16_e64 vcc_lo, 0, v150
	v_mov_b32_e32 v148, 0
	s_and_not1_b32 s14, s14, exec_lo
	s_delay_alu instid0(VALU_DEP_2) | instskip(NEXT) | instid1(SALU_CYCLE_1)
	s_and_b32 s15, vcc_lo, exec_lo
	s_or_b32 s14, s14, s15
	s_or_b32 exec_lo, exec_lo, s35
	s_and_saveexec_b32 s15, s14
	s_cbranch_execnz .LBB2_3239
	s_branch .LBB2_3240
.LBB2_3703:                             ;   in Loop: Header=BB2_3220 Depth=3
	s_mov_b32 s15, -1
	s_mov_b32 s36, exec_lo
                                        ; implicit-def: $sgpr35
	v_cmpx_eq_u16_e64 0x80, v150
; %bb.3704:                             ;   in Loop: Header=BB2_3220 Depth=3
	s_mov_b32 s35, 0x7f800001
	s_xor_b32 s15, exec_lo, -1
; %bb.3705:                             ;   in Loop: Header=BB2_3220 Depth=3
	s_or_b32 exec_lo, exec_lo, s36
	s_delay_alu instid0(SALU_CYCLE_1)
	s_and_b32 s15, s15, exec_lo
	s_or_saveexec_b32 s14, s14
	v_mov_b32_e32 v151, s35
	s_xor_b32 exec_lo, exec_lo, s14
	s_cbranch_execz .LBB2_3252
.LBB2_3706:                             ;   in Loop: Header=BB2_3220 Depth=3
	v_cmp_ne_u16_e64 vcc_lo, 0, v150
	v_mov_b32_e32 v151, 0
	s_and_not1_b32 s15, s15, exec_lo
	s_delay_alu instid0(VALU_DEP_2) | instskip(NEXT) | instid1(SALU_CYCLE_1)
	s_and_b32 vcc_lo, vcc_lo, exec_lo
	s_or_b32 s15, s15, vcc_lo
	s_or_b32 exec_lo, exec_lo, s14
	s_and_saveexec_b32 s14, s15
	s_cbranch_execnz .LBB2_3253
	s_branch .LBB2_3254
.LBB2_3707:                             ;   in Loop: Header=BB2_3220 Depth=3
	s_mov_b32 s14, -1
	s_mov_b32 s36, exec_lo
                                        ; implicit-def: $sgpr15
	v_cmpx_eq_u16_e64 0x80, v149
; %bb.3708:                             ;   in Loop: Header=BB2_3220 Depth=3
	s_mov_b32 s15, 0x7f800001
	s_xor_b32 s14, exec_lo, -1
; %bb.3709:                             ;   in Loop: Header=BB2_3220 Depth=3
	s_or_b32 exec_lo, exec_lo, s36
	s_delay_alu instid0(SALU_CYCLE_1)
	s_and_b32 s14, s14, exec_lo
	s_or_saveexec_b32 s35, s35
	v_mov_b32_e32 v160, s15
	s_xor_b32 exec_lo, exec_lo, s35
	s_cbranch_execz .LBB2_3256
.LBB2_3710:                             ;   in Loop: Header=BB2_3220 Depth=3
	v_cmp_ne_u16_e64 vcc_lo, 0, v149
	v_mov_b32_e32 v160, 0
	s_and_not1_b32 s14, s14, exec_lo
	s_delay_alu instid0(VALU_DEP_2) | instskip(NEXT) | instid1(SALU_CYCLE_1)
	s_and_b32 s15, vcc_lo, exec_lo
	s_or_b32 s14, s14, s15
	s_or_b32 exec_lo, exec_lo, s35
	s_and_saveexec_b32 s15, s14
	s_cbranch_execnz .LBB2_3257
	s_branch .LBB2_3258
.LBB2_3711:                             ;   in Loop: Header=BB2_3220 Depth=3
	s_mov_b32 s14, -1
	s_mov_b32 s36, exec_lo
                                        ; implicit-def: $sgpr15
	v_cmpx_eq_u16_e64 0x80, v150
; %bb.3712:                             ;   in Loop: Header=BB2_3220 Depth=3
	s_mov_b32 s15, 0x7f800001
	s_xor_b32 s14, exec_lo, -1
; %bb.3713:                             ;   in Loop: Header=BB2_3220 Depth=3
	s_or_b32 exec_lo, exec_lo, s36
	s_delay_alu instid0(SALU_CYCLE_1)
	s_and_b32 s14, s14, exec_lo
	s_or_saveexec_b32 s35, s35
	v_mov_b32_e32 v151, s15
	s_xor_b32 exec_lo, exec_lo, s35
	s_cbranch_execz .LBB2_3263
.LBB2_3714:                             ;   in Loop: Header=BB2_3220 Depth=3
	v_cmp_ne_u16_e64 vcc_lo, 0, v150
	v_mov_b32_e32 v151, 0
	s_and_not1_b32 s14, s14, exec_lo
	s_delay_alu instid0(VALU_DEP_2) | instskip(NEXT) | instid1(SALU_CYCLE_1)
	s_and_b32 s15, vcc_lo, exec_lo
	s_or_b32 s14, s14, s15
	s_or_b32 exec_lo, exec_lo, s35
	s_and_saveexec_b32 s15, s14
	s_cbranch_execnz .LBB2_3264
	s_branch .LBB2_3265
.LBB2_3715:                             ;   in Loop: Header=BB2_3220 Depth=3
	s_mov_b32 s14, -1
	s_mov_b32 s36, exec_lo
                                        ; implicit-def: $sgpr15
	v_cmpx_eq_u16_e64 0x80, v149
; %bb.3716:                             ;   in Loop: Header=BB2_3220 Depth=3
	s_mov_b32 s15, 0x7f800001
	s_xor_b32 s14, exec_lo, -1
; %bb.3717:                             ;   in Loop: Header=BB2_3220 Depth=3
	s_or_b32 exec_lo, exec_lo, s36
	s_delay_alu instid0(SALU_CYCLE_1)
	s_and_b32 s14, s14, exec_lo
	s_or_saveexec_b32 s35, s35
	v_mov_b32_e32 v150, s15
	s_xor_b32 exec_lo, exec_lo, s35
	s_cbranch_execz .LBB2_3267
.LBB2_3718:                             ;   in Loop: Header=BB2_3220 Depth=3
	v_cmp_ne_u16_e64 vcc_lo, 0, v149
	v_mov_b32_e32 v150, 0
	s_and_not1_b32 s14, s14, exec_lo
	s_delay_alu instid0(VALU_DEP_2) | instskip(NEXT) | instid1(SALU_CYCLE_1)
	s_and_b32 s15, vcc_lo, exec_lo
	s_or_b32 s14, s14, s15
	s_or_b32 exec_lo, exec_lo, s35
	s_and_saveexec_b32 s15, s14
	s_cbranch_execnz .LBB2_3268
	s_branch .LBB2_3269
.LBB2_3719:                             ;   in Loop: Header=BB2_3220 Depth=3
	s_mov_b32 s15, -1
	s_mov_b32 s36, exec_lo
                                        ; implicit-def: $sgpr35
	v_cmpx_eq_u16_e64 0x80, v160
; %bb.3720:                             ;   in Loop: Header=BB2_3220 Depth=3
	s_mov_b32 s35, 0x7f800001
	s_xor_b32 s15, exec_lo, -1
; %bb.3721:                             ;   in Loop: Header=BB2_3220 Depth=3
	s_or_b32 exec_lo, exec_lo, s36
	s_delay_alu instid0(SALU_CYCLE_1)
	s_and_b32 s15, s15, exec_lo
	s_or_saveexec_b32 s14, s14
	v_mov_b32_e32 v161, s35
	s_xor_b32 exec_lo, exec_lo, s14
	s_cbranch_execz .LBB2_3281
.LBB2_3722:                             ;   in Loop: Header=BB2_3220 Depth=3
	v_cmp_ne_u16_e64 vcc_lo, 0, v160
	v_mov_b32_e32 v161, 0
	s_and_not1_b32 s15, s15, exec_lo
	s_delay_alu instid0(VALU_DEP_2) | instskip(NEXT) | instid1(SALU_CYCLE_1)
	s_and_b32 vcc_lo, vcc_lo, exec_lo
	s_or_b32 s15, s15, vcc_lo
	s_or_b32 exec_lo, exec_lo, s14
	s_and_saveexec_b32 s14, s15
	s_cbranch_execnz .LBB2_3282
	s_branch .LBB2_3283
.LBB2_3723:                             ;   in Loop: Header=BB2_3220 Depth=3
	s_mov_b32 s14, -1
	s_mov_b32 s36, exec_lo
                                        ; implicit-def: $sgpr15
	v_cmpx_eq_u16_e64 0x80, v163
; %bb.3724:                             ;   in Loop: Header=BB2_3220 Depth=3
	s_mov_b32 s15, 0x7f800001
	s_xor_b32 s14, exec_lo, -1
; %bb.3725:                             ;   in Loop: Header=BB2_3220 Depth=3
	s_or_b32 exec_lo, exec_lo, s36
	s_delay_alu instid0(SALU_CYCLE_1)
	s_and_b32 s14, s14, exec_lo
                                        ; implicit-def: $vgpr163
	s_or_saveexec_b32 s35, s35
	v_mov_b32_e32 v162, s15
	s_xor_b32 exec_lo, exec_lo, s35
	s_cbranch_execz .LBB2_3285
.LBB2_3726:                             ;   in Loop: Header=BB2_3220 Depth=3
	v_cmp_ne_u16_e64 vcc_lo, 0, v163
	v_mov_b32_e32 v162, 0
	s_and_not1_b32 s14, s14, exec_lo
	s_delay_alu instid0(VALU_DEP_2) | instskip(NEXT) | instid1(SALU_CYCLE_1)
	s_and_b32 s15, vcc_lo, exec_lo
	s_or_b32 s14, s14, s15
	s_or_b32 exec_lo, exec_lo, s35
	s_and_saveexec_b32 s15, s14
	s_cbranch_execnz .LBB2_3286
	s_branch .LBB2_3287
.LBB2_3727:                             ;   in Loop: Header=BB2_3220 Depth=3
	s_mov_b32 s14, -1
	s_mov_b32 s36, exec_lo
                                        ; implicit-def: $sgpr15
	v_cmpx_eq_u16_e64 0x80, v160
; %bb.3728:                             ;   in Loop: Header=BB2_3220 Depth=3
	s_mov_b32 s15, 0x7f800001
	s_xor_b32 s14, exec_lo, -1
; %bb.3729:                             ;   in Loop: Header=BB2_3220 Depth=3
	s_or_b32 exec_lo, exec_lo, s36
	s_delay_alu instid0(SALU_CYCLE_1)
	s_and_b32 s14, s14, exec_lo
                                        ; implicit-def: $vgpr160
	s_or_saveexec_b32 s35, s35
	v_mov_b32_e32 v161, s15
	s_xor_b32 exec_lo, exec_lo, s35
	s_cbranch_execz .LBB2_3292
.LBB2_3730:                             ;   in Loop: Header=BB2_3220 Depth=3
	v_cmp_ne_u16_e64 vcc_lo, 0, v160
	v_mov_b32_e32 v161, 0
	s_and_not1_b32 s14, s14, exec_lo
	s_delay_alu instid0(VALU_DEP_2) | instskip(NEXT) | instid1(SALU_CYCLE_1)
	s_and_b32 s15, vcc_lo, exec_lo
	s_or_b32 s14, s14, s15
	s_or_b32 exec_lo, exec_lo, s35
	s_and_saveexec_b32 s15, s14
	s_cbranch_execnz .LBB2_3293
	s_branch .LBB2_3294
.LBB2_3731:                             ;   in Loop: Header=BB2_3220 Depth=3
	s_mov_b32 s14, -1
	s_mov_b32 s36, exec_lo
                                        ; implicit-def: $sgpr15
	v_cmpx_eq_u16_e64 0x80, v160
; %bb.3732:                             ;   in Loop: Header=BB2_3220 Depth=3
	s_mov_b32 s15, 0x7f800001
	s_xor_b32 s14, exec_lo, -1
; %bb.3733:                             ;   in Loop: Header=BB2_3220 Depth=3
	s_or_b32 exec_lo, exec_lo, s36
	s_delay_alu instid0(SALU_CYCLE_1)
	s_and_b32 s14, s14, exec_lo
                                        ; implicit-def: $vgpr160
	s_or_saveexec_b32 s35, s35
	v_mov_b32_e32 v151, s15
	s_xor_b32 exec_lo, exec_lo, s35
	s_cbranch_execz .LBB2_3296
.LBB2_3734:                             ;   in Loop: Header=BB2_3220 Depth=3
	v_cmp_ne_u16_e64 vcc_lo, 0, v160
	v_mov_b32_e32 v151, 0
	s_and_not1_b32 s14, s14, exec_lo
	s_delay_alu instid0(VALU_DEP_2) | instskip(NEXT) | instid1(SALU_CYCLE_1)
	s_and_b32 s15, vcc_lo, exec_lo
	s_or_b32 s14, s14, s15
	s_or_b32 exec_lo, exec_lo, s35
	s_and_saveexec_b32 s15, s14
	s_cbranch_execnz .LBB2_3297
	s_branch .LBB2_3298
.LBB2_3735:                             ;   in Loop: Header=BB2_3220 Depth=3
	s_mov_b32 s15, -1
	s_mov_b32 s36, exec_lo
                                        ; implicit-def: $sgpr35
	v_cmpx_eq_u16_e64 0x80, v160
; %bb.3736:                             ;   in Loop: Header=BB2_3220 Depth=3
	s_mov_b32 s35, 0x7f800001
	s_xor_b32 s15, exec_lo, -1
; %bb.3737:                             ;   in Loop: Header=BB2_3220 Depth=3
	s_or_b32 exec_lo, exec_lo, s36
	s_delay_alu instid0(SALU_CYCLE_1)
	s_and_b32 s15, s15, exec_lo
	s_or_saveexec_b32 s14, s14
	v_mov_b32_e32 v161, s35
	s_xor_b32 exec_lo, exec_lo, s14
	s_cbranch_execz .LBB2_3310
.LBB2_3738:                             ;   in Loop: Header=BB2_3220 Depth=3
	v_cmp_ne_u16_e64 vcc_lo, 0, v160
	v_mov_b32_e32 v161, 0
	s_and_not1_b32 s15, s15, exec_lo
	s_delay_alu instid0(VALU_DEP_2) | instskip(NEXT) | instid1(SALU_CYCLE_1)
	s_and_b32 vcc_lo, vcc_lo, exec_lo
	s_or_b32 s15, s15, vcc_lo
	s_or_b32 exec_lo, exec_lo, s14
	s_and_saveexec_b32 s14, s15
	s_cbranch_execnz .LBB2_3311
	s_branch .LBB2_3312
.LBB2_3739:                             ;   in Loop: Header=BB2_3220 Depth=3
	s_mov_b32 s14, -1
	s_mov_b32 s36, exec_lo
                                        ; implicit-def: $sgpr15
	v_cmpx_eq_u16_e64 0x80, v151
; %bb.3740:                             ;   in Loop: Header=BB2_3220 Depth=3
	s_mov_b32 s15, 0x7f800001
	s_xor_b32 s14, exec_lo, -1
; %bb.3741:                             ;   in Loop: Header=BB2_3220 Depth=3
	s_or_b32 exec_lo, exec_lo, s36
	s_delay_alu instid0(SALU_CYCLE_1)
	s_and_b32 s14, s14, exec_lo
	s_or_saveexec_b32 s35, s35
	v_mov_b32_e32 v162, s15
	s_xor_b32 exec_lo, exec_lo, s35
	s_cbranch_execz .LBB2_3314
.LBB2_3742:                             ;   in Loop: Header=BB2_3220 Depth=3
	v_cmp_ne_u16_e64 vcc_lo, 0, v151
	v_mov_b32_e32 v162, 0
	s_and_not1_b32 s14, s14, exec_lo
	s_delay_alu instid0(VALU_DEP_2) | instskip(NEXT) | instid1(SALU_CYCLE_1)
	s_and_b32 s15, vcc_lo, exec_lo
	s_or_b32 s14, s14, s15
	s_or_b32 exec_lo, exec_lo, s35
	s_and_saveexec_b32 s15, s14
	s_cbranch_execnz .LBB2_3315
	s_branch .LBB2_3316
.LBB2_3743:                             ;   in Loop: Header=BB2_3220 Depth=3
	s_mov_b32 s14, -1
	s_mov_b32 s36, exec_lo
                                        ; implicit-def: $sgpr15
	v_cmpx_eq_u16_e64 0x80, v160
; %bb.3744:                             ;   in Loop: Header=BB2_3220 Depth=3
	s_mov_b32 s15, 0x7f800001
	s_xor_b32 s14, exec_lo, -1
; %bb.3745:                             ;   in Loop: Header=BB2_3220 Depth=3
	s_or_b32 exec_lo, exec_lo, s36
	s_delay_alu instid0(SALU_CYCLE_1)
	s_and_b32 s14, s14, exec_lo
	s_or_saveexec_b32 s35, s35
	v_mov_b32_e32 v161, s15
	s_xor_b32 exec_lo, exec_lo, s35
	s_cbranch_execz .LBB2_3321
.LBB2_3746:                             ;   in Loop: Header=BB2_3220 Depth=3
	v_cmp_ne_u16_e64 vcc_lo, 0, v160
	v_mov_b32_e32 v161, 0
	s_and_not1_b32 s14, s14, exec_lo
	s_delay_alu instid0(VALU_DEP_2) | instskip(NEXT) | instid1(SALU_CYCLE_1)
	s_and_b32 s15, vcc_lo, exec_lo
	s_or_b32 s14, s14, s15
	s_or_b32 exec_lo, exec_lo, s35
	s_and_saveexec_b32 s15, s14
	s_cbranch_execnz .LBB2_3322
	s_branch .LBB2_3323
.LBB2_3747:                             ;   in Loop: Header=BB2_3220 Depth=3
	s_mov_b32 s14, -1
	s_mov_b32 s36, exec_lo
                                        ; implicit-def: $sgpr15
	v_cmpx_eq_u16_e64 0x80, v151
; %bb.3748:                             ;   in Loop: Header=BB2_3220 Depth=3
	s_mov_b32 s15, 0x7f800001
	s_xor_b32 s14, exec_lo, -1
; %bb.3749:                             ;   in Loop: Header=BB2_3220 Depth=3
	s_or_b32 exec_lo, exec_lo, s36
	s_delay_alu instid0(SALU_CYCLE_1)
	s_and_b32 s14, s14, exec_lo
	s_or_saveexec_b32 s35, s35
	v_mov_b32_e32 v12, s15
	s_xor_b32 exec_lo, exec_lo, s35
	s_cbranch_execz .LBB2_3325
.LBB2_3750:                             ;   in Loop: Header=BB2_3220 Depth=3
	v_cmp_ne_u16_e64 vcc_lo, 0, v151
	v_mov_b32_e32 v12, 0
	s_and_not1_b32 s14, s14, exec_lo
	s_delay_alu instid0(VALU_DEP_2) | instskip(NEXT) | instid1(SALU_CYCLE_1)
	s_and_b32 s15, vcc_lo, exec_lo
	s_or_b32 s14, s14, s15
	s_or_b32 exec_lo, exec_lo, s35
	s_and_saveexec_b32 s15, s14
	s_cbranch_execnz .LBB2_3326
	s_branch .LBB2_3327
.LBB2_3751:                             ;   in Loop: Header=BB2_3220 Depth=3
	s_mov_b32 s15, -1
	s_mov_b32 s36, exec_lo
                                        ; implicit-def: $sgpr35
	v_cmpx_eq_u16_e32 0x80, v12
; %bb.3752:                             ;   in Loop: Header=BB2_3220 Depth=3
	s_mov_b32 s35, 0x7f800001
	s_xor_b32 s15, exec_lo, -1
; %bb.3753:                             ;   in Loop: Header=BB2_3220 Depth=3
	s_or_b32 exec_lo, exec_lo, s36
	s_delay_alu instid0(SALU_CYCLE_1)
	s_and_b32 s15, s15, exec_lo
	s_or_saveexec_b32 s14, s14
	v_mov_b32_e32 v151, s35
	s_xor_b32 exec_lo, exec_lo, s14
	s_cbranch_execz .LBB2_3339
.LBB2_3754:                             ;   in Loop: Header=BB2_3220 Depth=3
	v_cmp_ne_u16_e32 vcc_lo, 0, v12
	v_mov_b32_e32 v151, 0
	s_and_not1_b32 s15, s15, exec_lo
	s_and_b32 vcc_lo, vcc_lo, exec_lo
	s_delay_alu instid0(SALU_CYCLE_1)
	s_or_b32 s15, s15, vcc_lo
	s_or_b32 exec_lo, exec_lo, s14
	s_and_saveexec_b32 s14, s15
	s_cbranch_execnz .LBB2_3340
	s_branch .LBB2_3341
.LBB2_3755:                             ;   in Loop: Header=BB2_3220 Depth=3
	s_mov_b32 s14, -1
	s_mov_b32 s36, exec_lo
                                        ; implicit-def: $sgpr15
	v_cmpx_eq_u16_e64 0x80, v161
; %bb.3756:                             ;   in Loop: Header=BB2_3220 Depth=3
	s_mov_b32 s15, 0x7f800001
	s_xor_b32 s14, exec_lo, -1
; %bb.3757:                             ;   in Loop: Header=BB2_3220 Depth=3
	s_or_b32 exec_lo, exec_lo, s36
	s_delay_alu instid0(SALU_CYCLE_1)
	s_and_b32 s14, s14, exec_lo
                                        ; implicit-def: $vgpr161
	s_or_saveexec_b32 s35, s35
	v_mov_b32_e32 v160, s15
	s_xor_b32 exec_lo, exec_lo, s35
	s_cbranch_execz .LBB2_3343
.LBB2_3758:                             ;   in Loop: Header=BB2_3220 Depth=3
	v_cmp_ne_u16_e64 vcc_lo, 0, v161
	v_mov_b32_e32 v160, 0
	s_and_not1_b32 s14, s14, exec_lo
	s_delay_alu instid0(VALU_DEP_2) | instskip(NEXT) | instid1(SALU_CYCLE_1)
	s_and_b32 s15, vcc_lo, exec_lo
	s_or_b32 s14, s14, s15
	s_or_b32 exec_lo, exec_lo, s35
	s_and_saveexec_b32 s15, s14
	s_cbranch_execnz .LBB2_3344
	s_branch .LBB2_3345
.LBB2_3759:                             ;   in Loop: Header=BB2_3220 Depth=3
	s_mov_b32 s14, -1
	s_mov_b32 s36, exec_lo
                                        ; implicit-def: $sgpr15
	v_cmpx_eq_u16_e32 0x80, v12
; %bb.3760:                             ;   in Loop: Header=BB2_3220 Depth=3
	s_mov_b32 s15, 0x7f800001
	s_xor_b32 s14, exec_lo, -1
; %bb.3761:                             ;   in Loop: Header=BB2_3220 Depth=3
	s_or_b32 exec_lo, exec_lo, s36
	s_delay_alu instid0(SALU_CYCLE_1)
	s_and_b32 s14, s14, exec_lo
                                        ; implicit-def: $vgpr12
	s_or_saveexec_b32 s35, s35
	v_mov_b32_e32 v151, s15
	s_xor_b32 exec_lo, exec_lo, s35
	s_cbranch_execz .LBB2_3350
.LBB2_3762:                             ;   in Loop: Header=BB2_3220 Depth=3
	v_cmp_ne_u16_e32 vcc_lo, 0, v12
	v_mov_b32_e32 v151, 0
	s_and_not1_b32 s14, s14, exec_lo
	s_and_b32 s15, vcc_lo, exec_lo
	s_delay_alu instid0(SALU_CYCLE_1)
	s_or_b32 s14, s14, s15
	s_or_b32 exec_lo, exec_lo, s35
	s_and_saveexec_b32 s15, s14
	s_cbranch_execnz .LBB2_3351
	s_branch .LBB2_3352
.LBB2_3763:                             ;   in Loop: Header=BB2_3220 Depth=3
	s_mov_b32 s14, -1
	s_mov_b32 s36, exec_lo
                                        ; implicit-def: $sgpr15
	v_cmpx_eq_u16_e64 0x80, v160
; %bb.3764:                             ;   in Loop: Header=BB2_3220 Depth=3
	s_mov_b32 s15, 0x7f800001
	s_xor_b32 s14, exec_lo, -1
; %bb.3765:                             ;   in Loop: Header=BB2_3220 Depth=3
	s_or_b32 exec_lo, exec_lo, s36
	s_delay_alu instid0(SALU_CYCLE_1)
	s_and_b32 s14, s14, exec_lo
                                        ; implicit-def: $vgpr160
	s_or_saveexec_b32 s35, s35
	v_mov_b32_e32 v12, s15
	s_xor_b32 exec_lo, exec_lo, s35
	s_cbranch_execz .LBB2_3354
.LBB2_3766:                             ;   in Loop: Header=BB2_3220 Depth=3
	v_cmp_ne_u16_e64 vcc_lo, 0, v160
	v_mov_b32_e32 v12, 0
	s_and_not1_b32 s14, s14, exec_lo
	s_delay_alu instid0(VALU_DEP_2) | instskip(NEXT) | instid1(SALU_CYCLE_1)
	s_and_b32 s15, vcc_lo, exec_lo
	s_or_b32 s14, s14, s15
	s_or_b32 exec_lo, exec_lo, s35
	s_and_saveexec_b32 s15, s14
	s_cbranch_execnz .LBB2_3355
	s_branch .LBB2_3356
.LBB2_3767:                             ;   in Loop: Header=BB2_3220 Depth=3
	s_mov_b32 s15, -1
	s_mov_b32 s36, exec_lo
                                        ; implicit-def: $sgpr35
	v_cmpx_eq_u16_e64 0x80, v160
; %bb.3768:                             ;   in Loop: Header=BB2_3220 Depth=3
	s_mov_b32 s35, 0x7f800001
	s_xor_b32 s15, exec_lo, -1
; %bb.3769:                             ;   in Loop: Header=BB2_3220 Depth=3
	s_or_b32 exec_lo, exec_lo, s36
	s_delay_alu instid0(SALU_CYCLE_1)
	s_and_b32 s15, s15, exec_lo
	s_or_saveexec_b32 s14, s14
	v_mov_b32_e32 v161, s35
	s_xor_b32 exec_lo, exec_lo, s14
	s_cbranch_execz .LBB2_3368
.LBB2_3770:                             ;   in Loop: Header=BB2_3220 Depth=3
	v_cmp_ne_u16_e64 vcc_lo, 0, v160
	v_mov_b32_e32 v161, 0
	s_and_not1_b32 s15, s15, exec_lo
	s_delay_alu instid0(VALU_DEP_2) | instskip(NEXT) | instid1(SALU_CYCLE_1)
	s_and_b32 vcc_lo, vcc_lo, exec_lo
	s_or_b32 s15, s15, vcc_lo
	s_or_b32 exec_lo, exec_lo, s14
	s_and_saveexec_b32 s14, s15
	s_cbranch_execnz .LBB2_3369
	s_branch .LBB2_3370
.LBB2_3771:                             ;   in Loop: Header=BB2_3220 Depth=3
	s_mov_b32 s14, -1
	s_mov_b32 s36, exec_lo
                                        ; implicit-def: $sgpr15
	v_cmpx_eq_u16_e64 0x80, v151
; %bb.3772:                             ;   in Loop: Header=BB2_3220 Depth=3
	s_mov_b32 s15, 0x7f800001
	s_xor_b32 s14, exec_lo, -1
; %bb.3773:                             ;   in Loop: Header=BB2_3220 Depth=3
	s_or_b32 exec_lo, exec_lo, s36
	s_delay_alu instid0(SALU_CYCLE_1)
	s_and_b32 s14, s14, exec_lo
	s_or_saveexec_b32 s35, s35
	v_mov_b32_e32 v162, s15
	s_xor_b32 exec_lo, exec_lo, s35
	s_cbranch_execz .LBB2_3372
.LBB2_3774:                             ;   in Loop: Header=BB2_3220 Depth=3
	v_cmp_ne_u16_e64 vcc_lo, 0, v151
	v_mov_b32_e32 v162, 0
	s_and_not1_b32 s14, s14, exec_lo
	s_delay_alu instid0(VALU_DEP_2) | instskip(NEXT) | instid1(SALU_CYCLE_1)
	s_and_b32 s15, vcc_lo, exec_lo
	s_or_b32 s14, s14, s15
	s_or_b32 exec_lo, exec_lo, s35
	s_and_saveexec_b32 s15, s14
	s_cbranch_execnz .LBB2_3373
	s_branch .LBB2_3374
.LBB2_3775:                             ;   in Loop: Header=BB2_3220 Depth=3
	s_mov_b32 s14, -1
	s_mov_b32 s36, exec_lo
                                        ; implicit-def: $sgpr15
	v_cmpx_eq_u16_e64 0x80, v160
; %bb.3776:                             ;   in Loop: Header=BB2_3220 Depth=3
	s_mov_b32 s15, 0x7f800001
	s_xor_b32 s14, exec_lo, -1
; %bb.3777:                             ;   in Loop: Header=BB2_3220 Depth=3
	s_or_b32 exec_lo, exec_lo, s36
	s_delay_alu instid0(SALU_CYCLE_1)
	s_and_b32 s14, s14, exec_lo
	s_or_saveexec_b32 s35, s35
	v_mov_b32_e32 v161, s15
	s_xor_b32 exec_lo, exec_lo, s35
	s_cbranch_execz .LBB2_3379
.LBB2_3778:                             ;   in Loop: Header=BB2_3220 Depth=3
	v_cmp_ne_u16_e64 vcc_lo, 0, v160
	v_mov_b32_e32 v161, 0
	s_and_not1_b32 s14, s14, exec_lo
	s_delay_alu instid0(VALU_DEP_2) | instskip(NEXT) | instid1(SALU_CYCLE_1)
	s_and_b32 s15, vcc_lo, exec_lo
	s_or_b32 s14, s14, s15
	s_or_b32 exec_lo, exec_lo, s35
	s_and_saveexec_b32 s15, s14
	s_cbranch_execnz .LBB2_3380
	s_branch .LBB2_3381
.LBB2_3779:                             ;   in Loop: Header=BB2_3220 Depth=3
	s_mov_b32 s14, -1
	s_mov_b32 s36, exec_lo
                                        ; implicit-def: $sgpr15
	v_cmpx_eq_u16_e64 0x80, v151
; %bb.3780:                             ;   in Loop: Header=BB2_3220 Depth=3
	s_mov_b32 s15, 0x7f800001
	s_xor_b32 s14, exec_lo, -1
; %bb.3781:                             ;   in Loop: Header=BB2_3220 Depth=3
	s_or_b32 exec_lo, exec_lo, s36
	s_delay_alu instid0(SALU_CYCLE_1)
	s_and_b32 s14, s14, exec_lo
	s_or_saveexec_b32 s35, s35
	v_mov_b32_e32 v160, s15
	s_xor_b32 exec_lo, exec_lo, s35
	s_cbranch_execz .LBB2_3383
.LBB2_3782:                             ;   in Loop: Header=BB2_3220 Depth=3
	v_cmp_ne_u16_e64 vcc_lo, 0, v151
	v_mov_b32_e32 v160, 0
	s_and_not1_b32 s14, s14, exec_lo
	s_delay_alu instid0(VALU_DEP_2) | instskip(NEXT) | instid1(SALU_CYCLE_1)
	s_and_b32 s15, vcc_lo, exec_lo
	s_or_b32 s14, s14, s15
	s_or_b32 exec_lo, exec_lo, s35
	s_and_saveexec_b32 s15, s14
	s_cbranch_execnz .LBB2_3384
	s_branch .LBB2_3385
.LBB2_3783:                             ;   in Loop: Header=BB2_3220 Depth=3
	s_mov_b32 s15, -1
	s_mov_b32 s36, exec_lo
                                        ; implicit-def: $sgpr35
	v_cmpx_eq_u16_e64 0x80, v162
; %bb.3784:                             ;   in Loop: Header=BB2_3220 Depth=3
	s_mov_b32 s35, 0x7f800001
	s_xor_b32 s15, exec_lo, -1
; %bb.3785:                             ;   in Loop: Header=BB2_3220 Depth=3
	s_or_b32 exec_lo, exec_lo, s36
	s_delay_alu instid0(SALU_CYCLE_1)
	s_and_b32 s15, s15, exec_lo
	s_or_saveexec_b32 s14, s14
	v_mov_b32_e32 v163, s35
	s_xor_b32 exec_lo, exec_lo, s14
	s_cbranch_execz .LBB2_3397
.LBB2_3786:                             ;   in Loop: Header=BB2_3220 Depth=3
	v_cmp_ne_u16_e64 vcc_lo, 0, v162
	v_mov_b32_e32 v163, 0
	s_and_not1_b32 s15, s15, exec_lo
	s_delay_alu instid0(VALU_DEP_2) | instskip(NEXT) | instid1(SALU_CYCLE_1)
	s_and_b32 vcc_lo, vcc_lo, exec_lo
	s_or_b32 s15, s15, vcc_lo
	s_or_b32 exec_lo, exec_lo, s14
	s_and_saveexec_b32 s14, s15
	s_cbranch_execnz .LBB2_3398
	s_branch .LBB2_3399
.LBB2_3787:                             ;   in Loop: Header=BB2_3220 Depth=3
	s_mov_b32 s14, -1
	s_mov_b32 s36, exec_lo
                                        ; implicit-def: $sgpr15
	v_cmpx_eq_u16_e64 0x80, v165
; %bb.3788:                             ;   in Loop: Header=BB2_3220 Depth=3
	s_mov_b32 s15, 0x7f800001
	s_xor_b32 s14, exec_lo, -1
; %bb.3789:                             ;   in Loop: Header=BB2_3220 Depth=3
	s_or_b32 exec_lo, exec_lo, s36
	s_delay_alu instid0(SALU_CYCLE_1)
	s_and_b32 s14, s14, exec_lo
                                        ; implicit-def: $vgpr165
	s_or_saveexec_b32 s35, s35
	v_mov_b32_e32 v164, s15
	s_xor_b32 exec_lo, exec_lo, s35
	s_cbranch_execz .LBB2_3401
.LBB2_3790:                             ;   in Loop: Header=BB2_3220 Depth=3
	v_cmp_ne_u16_e64 vcc_lo, 0, v165
	v_mov_b32_e32 v164, 0
	s_and_not1_b32 s14, s14, exec_lo
	s_delay_alu instid0(VALU_DEP_2) | instskip(NEXT) | instid1(SALU_CYCLE_1)
	s_and_b32 s15, vcc_lo, exec_lo
	s_or_b32 s14, s14, s15
	s_or_b32 exec_lo, exec_lo, s35
	s_and_saveexec_b32 s15, s14
	s_cbranch_execnz .LBB2_3402
	s_branch .LBB2_3403
.LBB2_3791:                             ;   in Loop: Header=BB2_3220 Depth=3
	s_mov_b32 s14, -1
	s_mov_b32 s36, exec_lo
                                        ; implicit-def: $sgpr15
	v_cmpx_eq_u16_e64 0x80, v162
; %bb.3792:                             ;   in Loop: Header=BB2_3220 Depth=3
	s_mov_b32 s15, 0x7f800001
	s_xor_b32 s14, exec_lo, -1
; %bb.3793:                             ;   in Loop: Header=BB2_3220 Depth=3
	s_or_b32 exec_lo, exec_lo, s36
	s_delay_alu instid0(SALU_CYCLE_1)
	s_and_b32 s14, s14, exec_lo
                                        ; implicit-def: $vgpr162
	s_or_saveexec_b32 s35, s35
	v_mov_b32_e32 v163, s15
	s_xor_b32 exec_lo, exec_lo, s35
	s_cbranch_execz .LBB2_3408
.LBB2_3794:                             ;   in Loop: Header=BB2_3220 Depth=3
	v_cmp_ne_u16_e64 vcc_lo, 0, v162
	v_mov_b32_e32 v163, 0
	s_and_not1_b32 s14, s14, exec_lo
	s_delay_alu instid0(VALU_DEP_2) | instskip(NEXT) | instid1(SALU_CYCLE_1)
	s_and_b32 s15, vcc_lo, exec_lo
	s_or_b32 s14, s14, s15
	s_or_b32 exec_lo, exec_lo, s35
	s_and_saveexec_b32 s15, s14
	s_cbranch_execnz .LBB2_3409
	s_branch .LBB2_3410
.LBB2_3795:                             ;   in Loop: Header=BB2_3220 Depth=3
	s_mov_b32 s14, -1
	s_mov_b32 s36, exec_lo
                                        ; implicit-def: $sgpr15
	v_cmpx_eq_u16_e64 0x80, v162
; %bb.3796:                             ;   in Loop: Header=BB2_3220 Depth=3
	s_mov_b32 s15, 0x7f800001
	s_xor_b32 s14, exec_lo, -1
; %bb.3797:                             ;   in Loop: Header=BB2_3220 Depth=3
	s_or_b32 exec_lo, exec_lo, s36
	s_delay_alu instid0(SALU_CYCLE_1)
	s_and_b32 s14, s14, exec_lo
                                        ; implicit-def: $vgpr162
	s_or_saveexec_b32 s35, s35
	v_mov_b32_e32 v161, s15
	s_xor_b32 exec_lo, exec_lo, s35
	s_cbranch_execz .LBB2_3412
.LBB2_3798:                             ;   in Loop: Header=BB2_3220 Depth=3
	v_cmp_ne_u16_e64 vcc_lo, 0, v162
	v_mov_b32_e32 v161, 0
	s_and_not1_b32 s14, s14, exec_lo
	s_delay_alu instid0(VALU_DEP_2) | instskip(NEXT) | instid1(SALU_CYCLE_1)
	s_and_b32 s15, vcc_lo, exec_lo
	s_or_b32 s14, s14, s15
	s_or_b32 exec_lo, exec_lo, s35
	s_and_saveexec_b32 s15, s14
	s_cbranch_execnz .LBB2_3413
	s_branch .LBB2_3414
.LBB2_3799:                             ;   in Loop: Header=BB2_3220 Depth=3
	s_mov_b32 s15, -1
	s_mov_b32 s36, exec_lo
                                        ; implicit-def: $sgpr35
	v_cmpx_eq_u16_e64 0x80, v162
; %bb.3800:                             ;   in Loop: Header=BB2_3220 Depth=3
	s_mov_b32 s35, 0x7f800001
	s_xor_b32 s15, exec_lo, -1
; %bb.3801:                             ;   in Loop: Header=BB2_3220 Depth=3
	s_or_b32 exec_lo, exec_lo, s36
	s_delay_alu instid0(SALU_CYCLE_1)
	s_and_b32 s15, s15, exec_lo
	s_or_saveexec_b32 s14, s14
	v_mov_b32_e32 v163, s35
	s_xor_b32 exec_lo, exec_lo, s14
	s_cbranch_execz .LBB2_3426
.LBB2_3802:                             ;   in Loop: Header=BB2_3220 Depth=3
	v_cmp_ne_u16_e64 vcc_lo, 0, v162
	v_mov_b32_e32 v163, 0
	s_and_not1_b32 s15, s15, exec_lo
	s_delay_alu instid0(VALU_DEP_2) | instskip(NEXT) | instid1(SALU_CYCLE_1)
	s_and_b32 vcc_lo, vcc_lo, exec_lo
	s_or_b32 s15, s15, vcc_lo
	s_or_b32 exec_lo, exec_lo, s14
	s_and_saveexec_b32 s14, s15
	s_cbranch_execnz .LBB2_3427
	s_branch .LBB2_3428
.LBB2_3803:                             ;   in Loop: Header=BB2_3220 Depth=3
	s_mov_b32 s14, -1
	s_mov_b32 s36, exec_lo
                                        ; implicit-def: $sgpr15
	v_cmpx_eq_u16_e64 0x80, v161
; %bb.3804:                             ;   in Loop: Header=BB2_3220 Depth=3
	s_mov_b32 s15, 0x7f800001
	s_xor_b32 s14, exec_lo, -1
; %bb.3805:                             ;   in Loop: Header=BB2_3220 Depth=3
	s_or_b32 exec_lo, exec_lo, s36
	s_delay_alu instid0(SALU_CYCLE_1)
	s_and_b32 s14, s14, exec_lo
	s_or_saveexec_b32 s35, s35
	v_mov_b32_e32 v164, s15
	s_xor_b32 exec_lo, exec_lo, s35
	s_cbranch_execz .LBB2_3430
.LBB2_3806:                             ;   in Loop: Header=BB2_3220 Depth=3
	v_cmp_ne_u16_e64 vcc_lo, 0, v161
	v_mov_b32_e32 v164, 0
	s_and_not1_b32 s14, s14, exec_lo
	s_delay_alu instid0(VALU_DEP_2) | instskip(NEXT) | instid1(SALU_CYCLE_1)
	s_and_b32 s15, vcc_lo, exec_lo
	s_or_b32 s14, s14, s15
	s_or_b32 exec_lo, exec_lo, s35
	s_and_saveexec_b32 s15, s14
	s_cbranch_execnz .LBB2_3431
	s_branch .LBB2_3432
.LBB2_3807:                             ;   in Loop: Header=BB2_3220 Depth=3
	s_mov_b32 s14, -1
	s_mov_b32 s36, exec_lo
                                        ; implicit-def: $sgpr15
	v_cmpx_eq_u16_e64 0x80, v162
; %bb.3808:                             ;   in Loop: Header=BB2_3220 Depth=3
	s_mov_b32 s15, 0x7f800001
	s_xor_b32 s14, exec_lo, -1
; %bb.3809:                             ;   in Loop: Header=BB2_3220 Depth=3
	s_or_b32 exec_lo, exec_lo, s36
	s_delay_alu instid0(SALU_CYCLE_1)
	s_and_b32 s14, s14, exec_lo
	s_or_saveexec_b32 s35, s35
	v_mov_b32_e32 v163, s15
	s_xor_b32 exec_lo, exec_lo, s35
	s_cbranch_execz .LBB2_3437
.LBB2_3810:                             ;   in Loop: Header=BB2_3220 Depth=3
	v_cmp_ne_u16_e64 vcc_lo, 0, v162
	v_mov_b32_e32 v163, 0
	s_and_not1_b32 s14, s14, exec_lo
	s_delay_alu instid0(VALU_DEP_2) | instskip(NEXT) | instid1(SALU_CYCLE_1)
	s_and_b32 s15, vcc_lo, exec_lo
	s_or_b32 s14, s14, s15
	s_or_b32 exec_lo, exec_lo, s35
	s_and_saveexec_b32 s15, s14
	s_cbranch_execnz .LBB2_3438
	s_branch .LBB2_3439
.LBB2_3811:                             ;   in Loop: Header=BB2_3220 Depth=3
	s_mov_b32 s14, -1
	s_mov_b32 s36, exec_lo
                                        ; implicit-def: $sgpr15
	v_cmpx_eq_u16_e64 0x80, v161
; %bb.3812:                             ;   in Loop: Header=BB2_3220 Depth=3
	s_mov_b32 s15, 0x7f800001
	s_xor_b32 s14, exec_lo, -1
; %bb.3813:                             ;   in Loop: Header=BB2_3220 Depth=3
	s_or_b32 exec_lo, exec_lo, s36
	s_delay_alu instid0(SALU_CYCLE_1)
	s_and_b32 s14, s14, exec_lo
	s_or_saveexec_b32 s35, s35
	v_mov_b32_e32 v13, s15
	s_xor_b32 exec_lo, exec_lo, s35
	s_cbranch_execz .LBB2_3441
.LBB2_3814:                             ;   in Loop: Header=BB2_3220 Depth=3
	v_cmp_ne_u16_e64 vcc_lo, 0, v161
	v_mov_b32_e32 v13, 0
	s_and_not1_b32 s14, s14, exec_lo
	s_delay_alu instid0(VALU_DEP_2) | instskip(NEXT) | instid1(SALU_CYCLE_1)
	s_and_b32 s15, vcc_lo, exec_lo
	s_or_b32 s14, s14, s15
	s_or_b32 exec_lo, exec_lo, s35
	s_and_saveexec_b32 s15, s14
	s_cbranch_execnz .LBB2_3442
	s_branch .LBB2_3443
.LBB2_3815:                             ;   in Loop: Header=BB2_3220 Depth=3
	s_mov_b32 s15, -1
	s_mov_b32 s36, exec_lo
                                        ; implicit-def: $sgpr35
	v_cmpx_eq_u16_e32 0x80, v13
; %bb.3816:                             ;   in Loop: Header=BB2_3220 Depth=3
	s_mov_b32 s35, 0x7f800001
	s_xor_b32 s15, exec_lo, -1
; %bb.3817:                             ;   in Loop: Header=BB2_3220 Depth=3
	s_or_b32 exec_lo, exec_lo, s36
	s_delay_alu instid0(SALU_CYCLE_1)
	s_and_b32 s15, s15, exec_lo
	s_or_saveexec_b32 s14, s14
	v_mov_b32_e32 v161, s35
	s_xor_b32 exec_lo, exec_lo, s14
	s_cbranch_execz .LBB2_3455
.LBB2_3818:                             ;   in Loop: Header=BB2_3220 Depth=3
	v_cmp_ne_u16_e32 vcc_lo, 0, v13
	v_mov_b32_e32 v161, 0
	s_and_not1_b32 s15, s15, exec_lo
	s_and_b32 vcc_lo, vcc_lo, exec_lo
	s_delay_alu instid0(SALU_CYCLE_1)
	s_or_b32 s15, s15, vcc_lo
	s_or_b32 exec_lo, exec_lo, s14
	s_and_saveexec_b32 s14, s15
	s_cbranch_execnz .LBB2_3456
	s_branch .LBB2_3457
.LBB2_3819:                             ;   in Loop: Header=BB2_3220 Depth=3
	s_mov_b32 s14, -1
	s_mov_b32 s36, exec_lo
                                        ; implicit-def: $sgpr15
	v_cmpx_eq_u16_e64 0x80, v163
; %bb.3820:                             ;   in Loop: Header=BB2_3220 Depth=3
	s_mov_b32 s15, 0x7f800001
	s_xor_b32 s14, exec_lo, -1
; %bb.3821:                             ;   in Loop: Header=BB2_3220 Depth=3
	s_or_b32 exec_lo, exec_lo, s36
	s_delay_alu instid0(SALU_CYCLE_1)
	s_and_b32 s14, s14, exec_lo
                                        ; implicit-def: $vgpr163
	s_or_saveexec_b32 s35, s35
	v_mov_b32_e32 v162, s15
	s_xor_b32 exec_lo, exec_lo, s35
	s_cbranch_execz .LBB2_3459
.LBB2_3822:                             ;   in Loop: Header=BB2_3220 Depth=3
	v_cmp_ne_u16_e64 vcc_lo, 0, v163
	v_mov_b32_e32 v162, 0
	s_and_not1_b32 s14, s14, exec_lo
	s_delay_alu instid0(VALU_DEP_2) | instskip(NEXT) | instid1(SALU_CYCLE_1)
	s_and_b32 s15, vcc_lo, exec_lo
	s_or_b32 s14, s14, s15
	s_or_b32 exec_lo, exec_lo, s35
	s_and_saveexec_b32 s15, s14
	s_cbranch_execnz .LBB2_3460
	s_branch .LBB2_3461
.LBB2_3823:                             ;   in Loop: Header=BB2_3220 Depth=3
	s_mov_b32 s14, -1
	s_mov_b32 s36, exec_lo
                                        ; implicit-def: $sgpr15
	v_cmpx_eq_u16_e32 0x80, v13
; %bb.3824:                             ;   in Loop: Header=BB2_3220 Depth=3
	s_mov_b32 s15, 0x7f800001
	s_xor_b32 s14, exec_lo, -1
; %bb.3825:                             ;   in Loop: Header=BB2_3220 Depth=3
	s_or_b32 exec_lo, exec_lo, s36
	s_delay_alu instid0(SALU_CYCLE_1)
	s_and_b32 s14, s14, exec_lo
                                        ; implicit-def: $vgpr13
	s_or_saveexec_b32 s35, s35
	v_mov_b32_e32 v161, s15
	s_xor_b32 exec_lo, exec_lo, s35
	s_cbranch_execz .LBB2_3466
.LBB2_3826:                             ;   in Loop: Header=BB2_3220 Depth=3
	v_cmp_ne_u16_e32 vcc_lo, 0, v13
	v_mov_b32_e32 v161, 0
	s_and_not1_b32 s14, s14, exec_lo
	s_and_b32 s15, vcc_lo, exec_lo
	s_delay_alu instid0(SALU_CYCLE_1)
	s_or_b32 s14, s14, s15
	s_or_b32 exec_lo, exec_lo, s35
	s_and_saveexec_b32 s15, s14
	s_cbranch_execnz .LBB2_3467
	s_branch .LBB2_3468
.LBB2_3827:                             ;   in Loop: Header=BB2_3220 Depth=3
	s_mov_b32 s14, -1
	s_mov_b32 s36, exec_lo
                                        ; implicit-def: $sgpr15
	v_cmpx_eq_u16_e64 0x80, v162
; %bb.3828:                             ;   in Loop: Header=BB2_3220 Depth=3
	s_mov_b32 s15, 0x7f800001
	s_xor_b32 s14, exec_lo, -1
; %bb.3829:                             ;   in Loop: Header=BB2_3220 Depth=3
	s_or_b32 exec_lo, exec_lo, s36
	s_delay_alu instid0(SALU_CYCLE_1)
	s_and_b32 s14, s14, exec_lo
                                        ; implicit-def: $vgpr162
	s_or_saveexec_b32 s35, s35
	v_mov_b32_e32 v13, s15
	s_xor_b32 exec_lo, exec_lo, s35
	s_cbranch_execz .LBB2_3470
.LBB2_3830:                             ;   in Loop: Header=BB2_3220 Depth=3
	v_cmp_ne_u16_e64 vcc_lo, 0, v162
	v_mov_b32_e32 v13, 0
	s_and_not1_b32 s14, s14, exec_lo
	s_delay_alu instid0(VALU_DEP_2) | instskip(NEXT) | instid1(SALU_CYCLE_1)
	s_and_b32 s15, vcc_lo, exec_lo
	s_or_b32 s14, s14, s15
	s_or_b32 exec_lo, exec_lo, s35
	s_and_saveexec_b32 s15, s14
	s_cbranch_execnz .LBB2_3471
	s_branch .LBB2_3472
.LBB2_3831:                             ;   in Loop: Header=BB2_3220 Depth=3
	s_mov_b32 s15, -1
	s_mov_b32 s36, exec_lo
                                        ; implicit-def: $sgpr35
	v_cmpx_eq_u16_e64 0x80, v162
; %bb.3832:                             ;   in Loop: Header=BB2_3220 Depth=3
	s_mov_b32 s35, 0x7f800001
	s_xor_b32 s15, exec_lo, -1
; %bb.3833:                             ;   in Loop: Header=BB2_3220 Depth=3
	s_or_b32 exec_lo, exec_lo, s36
	s_delay_alu instid0(SALU_CYCLE_1)
	s_and_b32 s15, s15, exec_lo
	s_or_saveexec_b32 s14, s14
	v_mov_b32_e32 v163, s35
	s_xor_b32 exec_lo, exec_lo, s14
	s_cbranch_execz .LBB2_3484
.LBB2_3834:                             ;   in Loop: Header=BB2_3220 Depth=3
	v_cmp_ne_u16_e64 vcc_lo, 0, v162
	v_mov_b32_e32 v163, 0
	s_and_not1_b32 s15, s15, exec_lo
	s_delay_alu instid0(VALU_DEP_2) | instskip(NEXT) | instid1(SALU_CYCLE_1)
	s_and_b32 vcc_lo, vcc_lo, exec_lo
	s_or_b32 s15, s15, vcc_lo
	s_or_b32 exec_lo, exec_lo, s14
	s_and_saveexec_b32 s14, s15
	s_cbranch_execnz .LBB2_3485
	s_branch .LBB2_3486
.LBB2_3835:                             ;   in Loop: Header=BB2_3220 Depth=3
	s_mov_b32 s14, -1
	s_mov_b32 s36, exec_lo
                                        ; implicit-def: $sgpr15
	v_cmpx_eq_u16_e64 0x80, v161
; %bb.3836:                             ;   in Loop: Header=BB2_3220 Depth=3
	s_mov_b32 s15, 0x7f800001
	s_xor_b32 s14, exec_lo, -1
; %bb.3837:                             ;   in Loop: Header=BB2_3220 Depth=3
	s_or_b32 exec_lo, exec_lo, s36
	s_delay_alu instid0(SALU_CYCLE_1)
	s_and_b32 s14, s14, exec_lo
	s_or_saveexec_b32 s35, s35
	v_mov_b32_e32 v164, s15
	s_xor_b32 exec_lo, exec_lo, s35
	s_cbranch_execz .LBB2_3488
.LBB2_3838:                             ;   in Loop: Header=BB2_3220 Depth=3
	v_cmp_ne_u16_e64 vcc_lo, 0, v161
	v_mov_b32_e32 v164, 0
	s_and_not1_b32 s14, s14, exec_lo
	s_delay_alu instid0(VALU_DEP_2) | instskip(NEXT) | instid1(SALU_CYCLE_1)
	s_and_b32 s15, vcc_lo, exec_lo
	s_or_b32 s14, s14, s15
	s_or_b32 exec_lo, exec_lo, s35
	s_and_saveexec_b32 s15, s14
	s_cbranch_execnz .LBB2_3489
	s_branch .LBB2_3490
.LBB2_3839:                             ;   in Loop: Header=BB2_3220 Depth=3
	s_mov_b32 s14, -1
	s_mov_b32 s36, exec_lo
                                        ; implicit-def: $sgpr15
	v_cmpx_eq_u16_e64 0x80, v162
; %bb.3840:                             ;   in Loop: Header=BB2_3220 Depth=3
	s_mov_b32 s15, 0x7f800001
	s_xor_b32 s14, exec_lo, -1
; %bb.3841:                             ;   in Loop: Header=BB2_3220 Depth=3
	s_or_b32 exec_lo, exec_lo, s36
	s_delay_alu instid0(SALU_CYCLE_1)
	s_and_b32 s14, s14, exec_lo
	s_or_saveexec_b32 s35, s35
	v_mov_b32_e32 v163, s15
	s_xor_b32 exec_lo, exec_lo, s35
	s_cbranch_execz .LBB2_3495
.LBB2_3842:                             ;   in Loop: Header=BB2_3220 Depth=3
	v_cmp_ne_u16_e64 vcc_lo, 0, v162
	v_mov_b32_e32 v163, 0
	s_and_not1_b32 s14, s14, exec_lo
	s_delay_alu instid0(VALU_DEP_2) | instskip(NEXT) | instid1(SALU_CYCLE_1)
	s_and_b32 s15, vcc_lo, exec_lo
	s_or_b32 s14, s14, s15
	s_or_b32 exec_lo, exec_lo, s35
	s_and_saveexec_b32 s15, s14
	s_cbranch_execnz .LBB2_3496
	s_branch .LBB2_3497
.LBB2_3843:                             ;   in Loop: Header=BB2_3220 Depth=3
	s_mov_b32 s14, -1
	s_mov_b32 s36, exec_lo
                                        ; implicit-def: $sgpr15
	v_cmpx_eq_u16_e64 0x80, v161
; %bb.3844:                             ;   in Loop: Header=BB2_3220 Depth=3
	s_mov_b32 s15, 0x7f800001
	s_xor_b32 s14, exec_lo, -1
; %bb.3845:                             ;   in Loop: Header=BB2_3220 Depth=3
	s_or_b32 exec_lo, exec_lo, s36
	s_delay_alu instid0(SALU_CYCLE_1)
	s_and_b32 s14, s14, exec_lo
	s_or_saveexec_b32 s35, s35
	v_mov_b32_e32 v162, s15
	s_xor_b32 exec_lo, exec_lo, s35
	s_cbranch_execz .LBB2_3499
.LBB2_3846:                             ;   in Loop: Header=BB2_3220 Depth=3
	v_cmp_ne_u16_e64 vcc_lo, 0, v161
	v_mov_b32_e32 v162, 0
	s_and_not1_b32 s14, s14, exec_lo
	s_delay_alu instid0(VALU_DEP_2) | instskip(NEXT) | instid1(SALU_CYCLE_1)
	s_and_b32 s15, vcc_lo, exec_lo
	s_or_b32 s14, s14, s15
	s_or_b32 exec_lo, exec_lo, s35
	s_and_saveexec_b32 s15, s14
	s_cbranch_execnz .LBB2_3500
	s_branch .LBB2_3501
.LBB2_3847:                             ;   in Loop: Header=BB2_3220 Depth=3
	s_mov_b32 s15, -1
	s_mov_b32 s36, exec_lo
                                        ; implicit-def: $sgpr35
	v_cmpx_eq_u16_e64 0x80, v164
; %bb.3848:                             ;   in Loop: Header=BB2_3220 Depth=3
	s_mov_b32 s35, 0x7f800001
	s_xor_b32 s15, exec_lo, -1
; %bb.3849:                             ;   in Loop: Header=BB2_3220 Depth=3
	s_or_b32 exec_lo, exec_lo, s36
	s_delay_alu instid0(SALU_CYCLE_1)
	s_and_b32 s15, s15, exec_lo
	s_or_saveexec_b32 s14, s14
	v_mov_b32_e32 v165, s35
	s_xor_b32 exec_lo, exec_lo, s14
	s_cbranch_execz .LBB2_3513
.LBB2_3850:                             ;   in Loop: Header=BB2_3220 Depth=3
	v_cmp_ne_u16_e64 vcc_lo, 0, v164
	v_mov_b32_e32 v165, 0
	s_and_not1_b32 s15, s15, exec_lo
	s_delay_alu instid0(VALU_DEP_2) | instskip(NEXT) | instid1(SALU_CYCLE_1)
	s_and_b32 vcc_lo, vcc_lo, exec_lo
	s_or_b32 s15, s15, vcc_lo
	s_or_b32 exec_lo, exec_lo, s14
	s_and_saveexec_b32 s14, s15
	s_cbranch_execnz .LBB2_3514
	s_branch .LBB2_3515
.LBB2_3851:                             ;   in Loop: Header=BB2_3220 Depth=3
	s_mov_b32 s14, -1
	s_mov_b32 s36, exec_lo
                                        ; implicit-def: $sgpr15
	v_cmpx_eq_u16_e64 0x80, v167
; %bb.3852:                             ;   in Loop: Header=BB2_3220 Depth=3
	s_mov_b32 s15, 0x7f800001
	s_xor_b32 s14, exec_lo, -1
; %bb.3853:                             ;   in Loop: Header=BB2_3220 Depth=3
	s_or_b32 exec_lo, exec_lo, s36
	s_delay_alu instid0(SALU_CYCLE_1)
	s_and_b32 s14, s14, exec_lo
                                        ; implicit-def: $vgpr167
	s_or_saveexec_b32 s35, s35
	v_mov_b32_e32 v166, s15
	s_xor_b32 exec_lo, exec_lo, s35
	s_cbranch_execz .LBB2_3517
.LBB2_3854:                             ;   in Loop: Header=BB2_3220 Depth=3
	v_cmp_ne_u16_e64 vcc_lo, 0, v167
	v_mov_b32_e32 v166, 0
	s_and_not1_b32 s14, s14, exec_lo
	s_delay_alu instid0(VALU_DEP_2) | instskip(NEXT) | instid1(SALU_CYCLE_1)
	s_and_b32 s15, vcc_lo, exec_lo
	s_or_b32 s14, s14, s15
	s_or_b32 exec_lo, exec_lo, s35
	s_and_saveexec_b32 s15, s14
	s_cbranch_execnz .LBB2_3518
	s_branch .LBB2_3519
.LBB2_3855:                             ;   in Loop: Header=BB2_3220 Depth=3
	s_mov_b32 s14, -1
	s_mov_b32 s36, exec_lo
                                        ; implicit-def: $sgpr15
	v_cmpx_eq_u16_e64 0x80, v164
; %bb.3856:                             ;   in Loop: Header=BB2_3220 Depth=3
	s_mov_b32 s15, 0x7f800001
	s_xor_b32 s14, exec_lo, -1
; %bb.3857:                             ;   in Loop: Header=BB2_3220 Depth=3
	s_or_b32 exec_lo, exec_lo, s36
	s_delay_alu instid0(SALU_CYCLE_1)
	s_and_b32 s14, s14, exec_lo
                                        ; implicit-def: $vgpr164
	s_or_saveexec_b32 s35, s35
	v_mov_b32_e32 v165, s15
	s_xor_b32 exec_lo, exec_lo, s35
	s_cbranch_execz .LBB2_3524
.LBB2_3858:                             ;   in Loop: Header=BB2_3220 Depth=3
	v_cmp_ne_u16_e64 vcc_lo, 0, v164
	v_mov_b32_e32 v165, 0
	s_and_not1_b32 s14, s14, exec_lo
	s_delay_alu instid0(VALU_DEP_2) | instskip(NEXT) | instid1(SALU_CYCLE_1)
	s_and_b32 s15, vcc_lo, exec_lo
	s_or_b32 s14, s14, s15
	s_or_b32 exec_lo, exec_lo, s35
	s_and_saveexec_b32 s15, s14
	s_cbranch_execnz .LBB2_3525
	s_branch .LBB2_3526
.LBB2_3859:                             ;   in Loop: Header=BB2_3220 Depth=3
	s_mov_b32 s14, -1
	s_mov_b32 s36, exec_lo
                                        ; implicit-def: $sgpr15
	v_cmpx_eq_u16_e64 0x80, v164
; %bb.3860:                             ;   in Loop: Header=BB2_3220 Depth=3
	s_mov_b32 s15, 0x7f800001
	s_xor_b32 s14, exec_lo, -1
; %bb.3861:                             ;   in Loop: Header=BB2_3220 Depth=3
	s_or_b32 exec_lo, exec_lo, s36
	s_delay_alu instid0(SALU_CYCLE_1)
	s_and_b32 s14, s14, exec_lo
                                        ; implicit-def: $vgpr164
	s_or_saveexec_b32 s35, s35
	v_mov_b32_e32 v163, s15
	s_xor_b32 exec_lo, exec_lo, s35
	s_cbranch_execz .LBB2_3528
.LBB2_3862:                             ;   in Loop: Header=BB2_3220 Depth=3
	v_cmp_ne_u16_e64 vcc_lo, 0, v164
	v_mov_b32_e32 v163, 0
	s_and_not1_b32 s14, s14, exec_lo
	s_delay_alu instid0(VALU_DEP_2) | instskip(NEXT) | instid1(SALU_CYCLE_1)
	s_and_b32 s15, vcc_lo, exec_lo
	s_or_b32 s14, s14, s15
	s_or_b32 exec_lo, exec_lo, s35
	s_and_saveexec_b32 s15, s14
	s_cbranch_execnz .LBB2_3529
	s_branch .LBB2_3530
.LBB2_3863:                             ;   in Loop: Header=BB2_3220 Depth=3
	s_mov_b32 s15, -1
	s_mov_b32 s36, exec_lo
                                        ; implicit-def: $sgpr35
	v_cmpx_eq_u16_e64 0x80, v164
; %bb.3864:                             ;   in Loop: Header=BB2_3220 Depth=3
	s_mov_b32 s35, 0x7f800001
	s_xor_b32 s15, exec_lo, -1
; %bb.3865:                             ;   in Loop: Header=BB2_3220 Depth=3
	s_or_b32 exec_lo, exec_lo, s36
	s_delay_alu instid0(SALU_CYCLE_1)
	s_and_b32 s15, s15, exec_lo
	s_or_saveexec_b32 s14, s14
	v_mov_b32_e32 v165, s35
	s_xor_b32 exec_lo, exec_lo, s14
	s_cbranch_execz .LBB2_3542
.LBB2_3866:                             ;   in Loop: Header=BB2_3220 Depth=3
	v_cmp_ne_u16_e64 vcc_lo, 0, v164
	v_mov_b32_e32 v165, 0
	s_and_not1_b32 s15, s15, exec_lo
	s_delay_alu instid0(VALU_DEP_2) | instskip(NEXT) | instid1(SALU_CYCLE_1)
	s_and_b32 vcc_lo, vcc_lo, exec_lo
	s_or_b32 s15, s15, vcc_lo
	s_or_b32 exec_lo, exec_lo, s14
	s_and_saveexec_b32 s14, s15
	s_cbranch_execnz .LBB2_3543
	s_branch .LBB2_3544
.LBB2_3867:                             ;   in Loop: Header=BB2_3220 Depth=3
	s_mov_b32 s14, -1
	s_mov_b32 s36, exec_lo
                                        ; implicit-def: $sgpr15
	v_cmpx_eq_u16_e64 0x80, v163
; %bb.3868:                             ;   in Loop: Header=BB2_3220 Depth=3
	s_mov_b32 s15, 0x7f800001
	s_xor_b32 s14, exec_lo, -1
; %bb.3869:                             ;   in Loop: Header=BB2_3220 Depth=3
	s_or_b32 exec_lo, exec_lo, s36
	s_delay_alu instid0(SALU_CYCLE_1)
	s_and_b32 s14, s14, exec_lo
	s_or_saveexec_b32 s35, s35
	v_mov_b32_e32 v166, s15
	s_xor_b32 exec_lo, exec_lo, s35
	s_cbranch_execz .LBB2_3546
.LBB2_3870:                             ;   in Loop: Header=BB2_3220 Depth=3
	v_cmp_ne_u16_e64 vcc_lo, 0, v163
	v_mov_b32_e32 v166, 0
	s_and_not1_b32 s14, s14, exec_lo
	s_delay_alu instid0(VALU_DEP_2) | instskip(NEXT) | instid1(SALU_CYCLE_1)
	s_and_b32 s15, vcc_lo, exec_lo
	s_or_b32 s14, s14, s15
	s_or_b32 exec_lo, exec_lo, s35
	s_and_saveexec_b32 s15, s14
	s_cbranch_execnz .LBB2_3547
	s_branch .LBB2_3548
.LBB2_3871:                             ;   in Loop: Header=BB2_3220 Depth=3
	s_mov_b32 s14, -1
	s_mov_b32 s36, exec_lo
                                        ; implicit-def: $sgpr15
	v_cmpx_eq_u16_e64 0x80, v164
; %bb.3872:                             ;   in Loop: Header=BB2_3220 Depth=3
	s_mov_b32 s15, 0x7f800001
	s_xor_b32 s14, exec_lo, -1
; %bb.3873:                             ;   in Loop: Header=BB2_3220 Depth=3
	s_or_b32 exec_lo, exec_lo, s36
	s_delay_alu instid0(SALU_CYCLE_1)
	s_and_b32 s14, s14, exec_lo
	s_or_saveexec_b32 s35, s35
	v_mov_b32_e32 v165, s15
	s_xor_b32 exec_lo, exec_lo, s35
	s_cbranch_execz .LBB2_3553
.LBB2_3874:                             ;   in Loop: Header=BB2_3220 Depth=3
	v_cmp_ne_u16_e64 vcc_lo, 0, v164
	v_mov_b32_e32 v165, 0
	s_and_not1_b32 s14, s14, exec_lo
	s_delay_alu instid0(VALU_DEP_2) | instskip(NEXT) | instid1(SALU_CYCLE_1)
	s_and_b32 s15, vcc_lo, exec_lo
	s_or_b32 s14, s14, s15
	s_or_b32 exec_lo, exec_lo, s35
	s_and_saveexec_b32 s15, s14
	s_cbranch_execnz .LBB2_3554
	s_branch .LBB2_3555
.LBB2_3875:                             ;   in Loop: Header=BB2_3220 Depth=3
	s_mov_b32 s14, -1
	s_mov_b32 s36, exec_lo
                                        ; implicit-def: $sgpr15
	v_cmpx_eq_u16_e64 0x80, v163
; %bb.3876:                             ;   in Loop: Header=BB2_3220 Depth=3
	s_mov_b32 s15, 0x7f800001
	s_xor_b32 s14, exec_lo, -1
; %bb.3877:                             ;   in Loop: Header=BB2_3220 Depth=3
	s_or_b32 exec_lo, exec_lo, s36
	s_delay_alu instid0(SALU_CYCLE_1)
	s_and_b32 s14, s14, exec_lo
	s_or_saveexec_b32 s35, s35
	v_mov_b32_e32 v14, s15
	s_xor_b32 exec_lo, exec_lo, s35
	s_cbranch_execz .LBB2_3557
.LBB2_3878:                             ;   in Loop: Header=BB2_3220 Depth=3
	v_cmp_ne_u16_e64 vcc_lo, 0, v163
	v_mov_b32_e32 v14, 0
	s_and_not1_b32 s14, s14, exec_lo
	s_delay_alu instid0(VALU_DEP_2) | instskip(NEXT) | instid1(SALU_CYCLE_1)
	s_and_b32 s15, vcc_lo, exec_lo
	s_or_b32 s14, s14, s15
	s_or_b32 exec_lo, exec_lo, s35
	s_and_saveexec_b32 s15, s14
	s_cbranch_execnz .LBB2_3558
	s_branch .LBB2_3559
.LBB2_3879:                             ;   in Loop: Header=BB2_3220 Depth=3
	s_mov_b32 s15, -1
	s_mov_b32 s36, exec_lo
                                        ; implicit-def: $sgpr35
	v_cmpx_eq_u16_e32 0x80, v14
; %bb.3880:                             ;   in Loop: Header=BB2_3220 Depth=3
	s_mov_b32 s35, 0x7f800001
	s_xor_b32 s15, exec_lo, -1
; %bb.3881:                             ;   in Loop: Header=BB2_3220 Depth=3
	s_or_b32 exec_lo, exec_lo, s36
	s_delay_alu instid0(SALU_CYCLE_1)
	s_and_b32 s15, s15, exec_lo
	s_or_saveexec_b32 s14, s14
	v_mov_b32_e32 v163, s35
	s_xor_b32 exec_lo, exec_lo, s14
	s_cbranch_execz .LBB2_3571
.LBB2_3882:                             ;   in Loop: Header=BB2_3220 Depth=3
	v_cmp_ne_u16_e32 vcc_lo, 0, v14
	v_mov_b32_e32 v163, 0
	s_and_not1_b32 s15, s15, exec_lo
	s_and_b32 vcc_lo, vcc_lo, exec_lo
	s_delay_alu instid0(SALU_CYCLE_1)
	s_or_b32 s15, s15, vcc_lo
	s_or_b32 exec_lo, exec_lo, s14
	s_and_saveexec_b32 s14, s15
	s_cbranch_execnz .LBB2_3572
	s_branch .LBB2_3573
.LBB2_3883:                             ;   in Loop: Header=BB2_3220 Depth=3
	s_mov_b32 s14, -1
	s_mov_b32 s36, exec_lo
                                        ; implicit-def: $sgpr15
	v_cmpx_eq_u16_e64 0x80, v165
; %bb.3884:                             ;   in Loop: Header=BB2_3220 Depth=3
	s_mov_b32 s15, 0x7f800001
	s_xor_b32 s14, exec_lo, -1
; %bb.3885:                             ;   in Loop: Header=BB2_3220 Depth=3
	s_or_b32 exec_lo, exec_lo, s36
	s_delay_alu instid0(SALU_CYCLE_1)
	s_and_b32 s14, s14, exec_lo
                                        ; implicit-def: $vgpr165
	s_or_saveexec_b32 s35, s35
	v_mov_b32_e32 v164, s15
	s_xor_b32 exec_lo, exec_lo, s35
	s_cbranch_execz .LBB2_3575
.LBB2_3886:                             ;   in Loop: Header=BB2_3220 Depth=3
	v_cmp_ne_u16_e64 vcc_lo, 0, v165
	v_mov_b32_e32 v164, 0
	s_and_not1_b32 s14, s14, exec_lo
	s_delay_alu instid0(VALU_DEP_2) | instskip(NEXT) | instid1(SALU_CYCLE_1)
	s_and_b32 s15, vcc_lo, exec_lo
	s_or_b32 s14, s14, s15
	s_or_b32 exec_lo, exec_lo, s35
	s_and_saveexec_b32 s15, s14
	s_cbranch_execnz .LBB2_3576
	s_branch .LBB2_3577
.LBB2_3887:                             ;   in Loop: Header=BB2_3220 Depth=3
	s_mov_b32 s14, -1
	s_mov_b32 s36, exec_lo
                                        ; implicit-def: $sgpr15
	v_cmpx_eq_u16_e32 0x80, v14
; %bb.3888:                             ;   in Loop: Header=BB2_3220 Depth=3
	s_mov_b32 s15, 0x7f800001
	s_xor_b32 s14, exec_lo, -1
; %bb.3889:                             ;   in Loop: Header=BB2_3220 Depth=3
	s_or_b32 exec_lo, exec_lo, s36
	s_delay_alu instid0(SALU_CYCLE_1)
	s_and_b32 s14, s14, exec_lo
                                        ; implicit-def: $vgpr14
	s_or_saveexec_b32 s35, s35
	v_mov_b32_e32 v163, s15
	s_xor_b32 exec_lo, exec_lo, s35
	s_cbranch_execz .LBB2_3582
.LBB2_3890:                             ;   in Loop: Header=BB2_3220 Depth=3
	v_cmp_ne_u16_e32 vcc_lo, 0, v14
	v_mov_b32_e32 v163, 0
	s_and_not1_b32 s14, s14, exec_lo
	s_and_b32 s15, vcc_lo, exec_lo
	s_delay_alu instid0(SALU_CYCLE_1)
	s_or_b32 s14, s14, s15
	s_or_b32 exec_lo, exec_lo, s35
	s_and_saveexec_b32 s15, s14
	s_cbranch_execnz .LBB2_3583
	s_branch .LBB2_3584
.LBB2_3891:                             ;   in Loop: Header=BB2_3220 Depth=3
	s_mov_b32 s14, -1
	s_mov_b32 s36, exec_lo
                                        ; implicit-def: $sgpr15
	v_cmpx_eq_u16_e64 0x80, v164
; %bb.3892:                             ;   in Loop: Header=BB2_3220 Depth=3
	s_mov_b32 s15, 0x7f800001
	s_xor_b32 s14, exec_lo, -1
; %bb.3893:                             ;   in Loop: Header=BB2_3220 Depth=3
	s_or_b32 exec_lo, exec_lo, s36
	s_delay_alu instid0(SALU_CYCLE_1)
	s_and_b32 s14, s14, exec_lo
                                        ; implicit-def: $vgpr164
	s_or_saveexec_b32 s35, s35
	v_mov_b32_e32 v14, s15
	s_xor_b32 exec_lo, exec_lo, s35
	s_cbranch_execz .LBB2_3586
.LBB2_3894:                             ;   in Loop: Header=BB2_3220 Depth=3
	v_cmp_ne_u16_e64 vcc_lo, 0, v164
	v_mov_b32_e32 v14, 0
	s_and_not1_b32 s14, s14, exec_lo
	s_delay_alu instid0(VALU_DEP_2) | instskip(NEXT) | instid1(SALU_CYCLE_1)
	s_and_b32 s15, vcc_lo, exec_lo
	s_or_b32 s14, s14, s15
	s_or_b32 exec_lo, exec_lo, s35
	s_and_saveexec_b32 s15, s14
	s_cbranch_execnz .LBB2_3587
	s_branch .LBB2_3588
.LBB2_3895:                             ;   in Loop: Header=BB2_3220 Depth=3
	s_mov_b32 s15, -1
	s_mov_b32 s36, exec_lo
                                        ; implicit-def: $sgpr35
	v_cmpx_eq_u16_e64 0x80, v164
; %bb.3896:                             ;   in Loop: Header=BB2_3220 Depth=3
	s_mov_b32 s35, 0x7f800001
	s_xor_b32 s15, exec_lo, -1
; %bb.3897:                             ;   in Loop: Header=BB2_3220 Depth=3
	s_or_b32 exec_lo, exec_lo, s36
	s_delay_alu instid0(SALU_CYCLE_1)
	s_and_b32 s15, s15, exec_lo
	s_or_saveexec_b32 s14, s14
	v_mov_b32_e32 v165, s35
	s_xor_b32 exec_lo, exec_lo, s14
	s_cbranch_execz .LBB2_3600
.LBB2_3898:                             ;   in Loop: Header=BB2_3220 Depth=3
	v_cmp_ne_u16_e64 vcc_lo, 0, v164
	v_mov_b32_e32 v165, 0
	s_and_not1_b32 s15, s15, exec_lo
	s_delay_alu instid0(VALU_DEP_2) | instskip(NEXT) | instid1(SALU_CYCLE_1)
	s_and_b32 vcc_lo, vcc_lo, exec_lo
	s_or_b32 s15, s15, vcc_lo
	s_or_b32 exec_lo, exec_lo, s14
	s_and_saveexec_b32 s14, s15
	s_cbranch_execnz .LBB2_3601
	s_branch .LBB2_3602
.LBB2_3899:                             ;   in Loop: Header=BB2_3220 Depth=3
	s_mov_b32 s14, -1
	s_mov_b32 s36, exec_lo
                                        ; implicit-def: $sgpr15
	v_cmpx_eq_u16_e64 0x80, v163
; %bb.3900:                             ;   in Loop: Header=BB2_3220 Depth=3
	s_mov_b32 s15, 0x7f800001
	s_xor_b32 s14, exec_lo, -1
; %bb.3901:                             ;   in Loop: Header=BB2_3220 Depth=3
	s_or_b32 exec_lo, exec_lo, s36
	s_delay_alu instid0(SALU_CYCLE_1)
	s_and_b32 s14, s14, exec_lo
	s_or_saveexec_b32 s35, s35
	v_mov_b32_e32 v166, s15
	s_xor_b32 exec_lo, exec_lo, s35
	s_cbranch_execz .LBB2_3604
.LBB2_3902:                             ;   in Loop: Header=BB2_3220 Depth=3
	v_cmp_ne_u16_e64 vcc_lo, 0, v163
	v_mov_b32_e32 v166, 0
	s_and_not1_b32 s14, s14, exec_lo
	s_delay_alu instid0(VALU_DEP_2) | instskip(NEXT) | instid1(SALU_CYCLE_1)
	s_and_b32 s15, vcc_lo, exec_lo
	s_or_b32 s14, s14, s15
	s_or_b32 exec_lo, exec_lo, s35
	s_and_saveexec_b32 s15, s14
	s_cbranch_execnz .LBB2_3605
	s_branch .LBB2_3606
.LBB2_3903:                             ;   in Loop: Header=BB2_3220 Depth=3
	s_mov_b32 s14, -1
	s_mov_b32 s36, exec_lo
                                        ; implicit-def: $sgpr15
	v_cmpx_eq_u16_e64 0x80, v164
; %bb.3904:                             ;   in Loop: Header=BB2_3220 Depth=3
	s_mov_b32 s15, 0x7f800001
	s_xor_b32 s14, exec_lo, -1
; %bb.3905:                             ;   in Loop: Header=BB2_3220 Depth=3
	s_or_b32 exec_lo, exec_lo, s36
	s_delay_alu instid0(SALU_CYCLE_1)
	s_and_b32 s14, s14, exec_lo
	s_or_saveexec_b32 s35, s35
	v_mov_b32_e32 v165, s15
	s_xor_b32 exec_lo, exec_lo, s35
	s_cbranch_execz .LBB2_3611
.LBB2_3906:                             ;   in Loop: Header=BB2_3220 Depth=3
	v_cmp_ne_u16_e64 vcc_lo, 0, v164
	v_mov_b32_e32 v165, 0
	s_and_not1_b32 s14, s14, exec_lo
	s_delay_alu instid0(VALU_DEP_2) | instskip(NEXT) | instid1(SALU_CYCLE_1)
	s_and_b32 s15, vcc_lo, exec_lo
	s_or_b32 s14, s14, s15
	s_or_b32 exec_lo, exec_lo, s35
	s_and_saveexec_b32 s15, s14
	s_cbranch_execnz .LBB2_3612
	s_branch .LBB2_3613
.LBB2_3907:                             ;   in Loop: Header=BB2_3220 Depth=3
	s_mov_b32 s14, -1
	s_mov_b32 s36, exec_lo
                                        ; implicit-def: $sgpr15
	v_cmpx_eq_u16_e64 0x80, v163
; %bb.3908:                             ;   in Loop: Header=BB2_3220 Depth=3
	s_mov_b32 s15, 0x7f800001
	s_xor_b32 s14, exec_lo, -1
; %bb.3909:                             ;   in Loop: Header=BB2_3220 Depth=3
	s_or_b32 exec_lo, exec_lo, s36
	s_delay_alu instid0(SALU_CYCLE_1)
	s_and_b32 s14, s14, exec_lo
	s_or_saveexec_b32 s35, s35
	v_mov_b32_e32 v164, s15
	s_xor_b32 exec_lo, exec_lo, s35
	s_cbranch_execz .LBB2_3615
.LBB2_3910:                             ;   in Loop: Header=BB2_3220 Depth=3
	v_cmp_ne_u16_e64 vcc_lo, 0, v163
	v_mov_b32_e32 v164, 0
	s_and_not1_b32 s14, s14, exec_lo
	s_delay_alu instid0(VALU_DEP_2) | instskip(NEXT) | instid1(SALU_CYCLE_1)
	s_and_b32 s15, vcc_lo, exec_lo
	s_or_b32 s14, s14, s15
	s_or_b32 exec_lo, exec_lo, s35
	s_and_saveexec_b32 s15, s14
	s_cbranch_execnz .LBB2_3616
	s_branch .LBB2_3617
.LBB2_3911:                             ;   in Loop: Header=BB2_3220 Depth=3
	s_mov_b32 s15, -1
	s_mov_b32 s36, exec_lo
                                        ; implicit-def: $sgpr35
	v_cmpx_eq_u16_e64 0x80, v166
; %bb.3912:                             ;   in Loop: Header=BB2_3220 Depth=3
	s_mov_b32 s35, 0x7f800001
	s_xor_b32 s15, exec_lo, -1
; %bb.3913:                             ;   in Loop: Header=BB2_3220 Depth=3
	s_or_b32 exec_lo, exec_lo, s36
	s_delay_alu instid0(SALU_CYCLE_1)
	s_and_b32 s15, s15, exec_lo
	s_or_saveexec_b32 s14, s14
	v_mov_b32_e32 v167, s35
	s_xor_b32 exec_lo, exec_lo, s14
	s_cbranch_execz .LBB2_3629
.LBB2_3914:                             ;   in Loop: Header=BB2_3220 Depth=3
	v_cmp_ne_u16_e64 vcc_lo, 0, v166
	v_mov_b32_e32 v167, 0
	s_and_not1_b32 s15, s15, exec_lo
	s_delay_alu instid0(VALU_DEP_2) | instskip(NEXT) | instid1(SALU_CYCLE_1)
	s_and_b32 vcc_lo, vcc_lo, exec_lo
	s_or_b32 s15, s15, vcc_lo
	s_or_b32 exec_lo, exec_lo, s14
	s_and_saveexec_b32 s14, s15
	s_cbranch_execnz .LBB2_3630
	s_branch .LBB2_3631
.LBB2_3915:                             ;   in Loop: Header=BB2_3220 Depth=3
	s_mov_b32 s14, -1
	s_mov_b32 s36, exec_lo
                                        ; implicit-def: $sgpr15
	v_cmpx_eq_u16_e64 0x80, v177
; %bb.3916:                             ;   in Loop: Header=BB2_3220 Depth=3
	s_mov_b32 s15, 0x7f800001
	s_xor_b32 s14, exec_lo, -1
; %bb.3917:                             ;   in Loop: Header=BB2_3220 Depth=3
	s_or_b32 exec_lo, exec_lo, s36
	s_delay_alu instid0(SALU_CYCLE_1)
	s_and_b32 s14, s14, exec_lo
                                        ; implicit-def: $vgpr177
	s_or_saveexec_b32 s35, s35
	v_mov_b32_e32 v176, s15
	s_xor_b32 exec_lo, exec_lo, s35
	s_cbranch_execz .LBB2_3633
.LBB2_3918:                             ;   in Loop: Header=BB2_3220 Depth=3
	v_cmp_ne_u16_e64 vcc_lo, 0, v177
	v_mov_b32_e32 v176, 0
	s_and_not1_b32 s14, s14, exec_lo
	s_delay_alu instid0(VALU_DEP_2) | instskip(NEXT) | instid1(SALU_CYCLE_1)
	s_and_b32 s15, vcc_lo, exec_lo
	s_or_b32 s14, s14, s15
	s_or_b32 exec_lo, exec_lo, s35
	s_and_saveexec_b32 s15, s14
	s_cbranch_execnz .LBB2_3634
	s_branch .LBB2_3635
.LBB2_3919:                             ;   in Loop: Header=BB2_3220 Depth=3
	s_mov_b32 s14, -1
	s_mov_b32 s36, exec_lo
                                        ; implicit-def: $sgpr15
	v_cmpx_eq_u16_e64 0x80, v166
; %bb.3920:                             ;   in Loop: Header=BB2_3220 Depth=3
	s_mov_b32 s15, 0x7f800001
	s_xor_b32 s14, exec_lo, -1
; %bb.3921:                             ;   in Loop: Header=BB2_3220 Depth=3
	s_or_b32 exec_lo, exec_lo, s36
	s_delay_alu instid0(SALU_CYCLE_1)
	s_and_b32 s14, s14, exec_lo
                                        ; implicit-def: $vgpr166
	s_or_saveexec_b32 s35, s35
	v_mov_b32_e32 v167, s15
	s_xor_b32 exec_lo, exec_lo, s35
	s_cbranch_execz .LBB2_3640
.LBB2_3922:                             ;   in Loop: Header=BB2_3220 Depth=3
	v_cmp_ne_u16_e64 vcc_lo, 0, v166
	v_mov_b32_e32 v167, 0
	s_and_not1_b32 s14, s14, exec_lo
	s_delay_alu instid0(VALU_DEP_2) | instskip(NEXT) | instid1(SALU_CYCLE_1)
	s_and_b32 s15, vcc_lo, exec_lo
	s_or_b32 s14, s14, s15
	s_or_b32 exec_lo, exec_lo, s35
	s_and_saveexec_b32 s15, s14
	s_cbranch_execnz .LBB2_3641
	s_branch .LBB2_3642
.LBB2_3923:                             ;   in Loop: Header=BB2_3220 Depth=3
	s_mov_b32 s14, -1
	s_mov_b32 s36, exec_lo
                                        ; implicit-def: $sgpr15
	v_cmpx_eq_u16_e64 0x80, v166
; %bb.3924:                             ;   in Loop: Header=BB2_3220 Depth=3
	s_mov_b32 s15, 0x7f800001
	s_xor_b32 s14, exec_lo, -1
; %bb.3925:                             ;   in Loop: Header=BB2_3220 Depth=3
	s_or_b32 exec_lo, exec_lo, s36
	s_delay_alu instid0(SALU_CYCLE_1)
	s_and_b32 s14, s14, exec_lo
                                        ; implicit-def: $vgpr166
	s_or_saveexec_b32 s35, s35
	v_mov_b32_e32 v165, s15
	s_xor_b32 exec_lo, exec_lo, s35
	s_cbranch_execz .LBB2_3644
.LBB2_3926:                             ;   in Loop: Header=BB2_3220 Depth=3
	v_cmp_ne_u16_e64 vcc_lo, 0, v166
	v_mov_b32_e32 v165, 0
	s_and_not1_b32 s14, s14, exec_lo
	s_delay_alu instid0(VALU_DEP_2) | instskip(NEXT) | instid1(SALU_CYCLE_1)
	s_and_b32 s15, vcc_lo, exec_lo
	s_or_b32 s14, s14, s15
	s_or_b32 exec_lo, exec_lo, s35
	s_and_saveexec_b32 s15, s14
	s_cbranch_execnz .LBB2_3645
	s_branch .LBB2_3646
.LBB2_3927:                             ;   in Loop: Header=BB2_3220 Depth=3
	s_mov_b32 s15, -1
	s_mov_b32 s36, exec_lo
                                        ; implicit-def: $sgpr35
	v_cmpx_eq_u16_e64 0x80, v166
; %bb.3928:                             ;   in Loop: Header=BB2_3220 Depth=3
	s_mov_b32 s35, 0x7f800001
	s_xor_b32 s15, exec_lo, -1
; %bb.3929:                             ;   in Loop: Header=BB2_3220 Depth=3
	s_or_b32 exec_lo, exec_lo, s36
	s_delay_alu instid0(SALU_CYCLE_1)
	s_and_b32 s15, s15, exec_lo
	s_or_saveexec_b32 s14, s14
	v_mov_b32_e32 v167, s35
	s_xor_b32 exec_lo, exec_lo, s14
	s_cbranch_execz .LBB2_3658
.LBB2_3930:                             ;   in Loop: Header=BB2_3220 Depth=3
	v_cmp_ne_u16_e64 vcc_lo, 0, v166
	v_mov_b32_e32 v167, 0
	s_and_not1_b32 s15, s15, exec_lo
	s_delay_alu instid0(VALU_DEP_2) | instskip(NEXT) | instid1(SALU_CYCLE_1)
	s_and_b32 vcc_lo, vcc_lo, exec_lo
	s_or_b32 s15, s15, vcc_lo
	s_or_b32 exec_lo, exec_lo, s14
	s_and_saveexec_b32 s14, s15
	s_cbranch_execnz .LBB2_3659
	s_branch .LBB2_3660
.LBB2_3931:                             ;   in Loop: Header=BB2_3220 Depth=3
	s_mov_b32 s14, -1
	s_mov_b32 s36, exec_lo
                                        ; implicit-def: $sgpr15
	v_cmpx_eq_u16_e64 0x80, v165
; %bb.3932:                             ;   in Loop: Header=BB2_3220 Depth=3
	s_mov_b32 s15, 0x7f800001
	s_xor_b32 s14, exec_lo, -1
; %bb.3933:                             ;   in Loop: Header=BB2_3220 Depth=3
	s_or_b32 exec_lo, exec_lo, s36
	s_delay_alu instid0(SALU_CYCLE_1)
	s_and_b32 s14, s14, exec_lo
	s_or_saveexec_b32 s35, s35
	v_mov_b32_e32 v176, s15
	s_xor_b32 exec_lo, exec_lo, s35
	s_cbranch_execz .LBB2_3662
.LBB2_3934:                             ;   in Loop: Header=BB2_3220 Depth=3
	v_cmp_ne_u16_e64 vcc_lo, 0, v165
	v_mov_b32_e32 v176, 0
	s_and_not1_b32 s14, s14, exec_lo
	s_delay_alu instid0(VALU_DEP_2) | instskip(NEXT) | instid1(SALU_CYCLE_1)
	s_and_b32 s15, vcc_lo, exec_lo
	s_or_b32 s14, s14, s15
	s_or_b32 exec_lo, exec_lo, s35
	s_and_saveexec_b32 s15, s14
	s_cbranch_execnz .LBB2_3663
	s_branch .LBB2_3664
.LBB2_3935:                             ;   in Loop: Header=BB2_3220 Depth=3
	s_mov_b32 s14, -1
	s_mov_b32 s36, exec_lo
                                        ; implicit-def: $sgpr15
	v_cmpx_eq_u16_e64 0x80, v166
; %bb.3936:                             ;   in Loop: Header=BB2_3220 Depth=3
	s_mov_b32 s15, 0x7f800001
	s_xor_b32 s14, exec_lo, -1
; %bb.3937:                             ;   in Loop: Header=BB2_3220 Depth=3
	s_or_b32 exec_lo, exec_lo, s36
	s_delay_alu instid0(SALU_CYCLE_1)
	s_and_b32 s14, s14, exec_lo
	s_or_saveexec_b32 s35, s35
	v_mov_b32_e32 v167, s15
	s_xor_b32 exec_lo, exec_lo, s35
	s_cbranch_execz .LBB2_3669
.LBB2_3938:                             ;   in Loop: Header=BB2_3220 Depth=3
	v_cmp_ne_u16_e64 vcc_lo, 0, v166
	v_mov_b32_e32 v167, 0
	s_and_not1_b32 s14, s14, exec_lo
	s_delay_alu instid0(VALU_DEP_2) | instskip(NEXT) | instid1(SALU_CYCLE_1)
	s_and_b32 s15, vcc_lo, exec_lo
	s_or_b32 s14, s14, s15
	s_or_b32 exec_lo, exec_lo, s35
	s_and_saveexec_b32 s15, s14
	s_cbranch_execnz .LBB2_3670
	s_branch .LBB2_3671
.LBB2_3939:                             ;   in Loop: Header=BB2_3220 Depth=3
	s_mov_b32 s14, -1
	s_mov_b32 s36, exec_lo
                                        ; implicit-def: $sgpr15
	v_cmpx_eq_u16_e64 0x80, v165
; %bb.3940:                             ;   in Loop: Header=BB2_3220 Depth=3
	s_mov_b32 s15, 0x7f800001
	s_xor_b32 s14, exec_lo, -1
; %bb.3941:                             ;   in Loop: Header=BB2_3220 Depth=3
	s_or_b32 exec_lo, exec_lo, s36
	s_delay_alu instid0(SALU_CYCLE_1)
	s_and_b32 s14, s14, exec_lo
	s_or_saveexec_b32 s35, s35
	v_mov_b32_e32 v15, s15
	s_xor_b32 exec_lo, exec_lo, s35
	s_cbranch_execz .LBB2_3673
.LBB2_3942:                             ;   in Loop: Header=BB2_3220 Depth=3
	v_cmp_ne_u16_e64 vcc_lo, 0, v165
	v_mov_b32_e32 v15, 0
	s_and_not1_b32 s14, s14, exec_lo
	s_delay_alu instid0(VALU_DEP_2) | instskip(NEXT) | instid1(SALU_CYCLE_1)
	s_and_b32 s15, vcc_lo, exec_lo
	s_or_b32 s14, s14, s15
	s_or_b32 exec_lo, exec_lo, s35
	s_and_saveexec_b32 s15, s14
	s_cbranch_execnz .LBB2_3674
	s_branch .LBB2_3675
.LBB2_3943:                             ;   in Loop: Header=BB2_2404 Depth=2
	s_or_b32 exec_lo, exec_lo, s31
.LBB2_3944:                             ;   in Loop: Header=BB2_2404 Depth=2
	s_delay_alu instid0(SALU_CYCLE_1) | instskip(SKIP_3) | instid1(VALU_DEP_1)
	s_or_b32 exec_lo, exec_lo, s17
	v_dual_mov_b32 v64, 0 :: v_dual_and_b32 v9, 15, v134
	s_mov_b32 s14, 0
	s_mov_b32 s15, exec_lo
                                        ; implicit-def: $vgpr66
                                        ; implicit-def: $vgpr8
	v_cndmask_b32_e64 v65, v135, v9, s13
	s_delay_alu instid0(VALU_DEP_1)
	v_cmpx_ne_u32_e32 0, v65
	s_cbranch_execz .LBB2_3946
; %bb.3945:                             ;   in Loop: Header=BB2_2404 Depth=2
	v_cmp_lt_i32_e32 vcc_lo, 0, v146
	v_sub_nc_u32_e32 v9, v135, v9
	s_mov_b32 s14, exec_lo
	v_cndmask_b32_e32 v8, 0, v83, vcc_lo
	s_delay_alu instid0(VALU_DEP_2) | instskip(NEXT) | instid1(VALU_DEP_2)
	v_cndmask_b32_e64 v9, 0, v9, s13
	v_sub_nc_u32_e32 v8, v8, v146
	s_delay_alu instid0(VALU_DEP_2) | instskip(NEXT) | instid1(VALU_DEP_2)
	v_add3_u32 v64, v144, v2, v9
	v_lshl_add_u32 v66, v8, 5, v145
	s_delay_alu instid0(VALU_DEP_1) | instskip(NEXT) | instid1(VALU_DEP_1)
	v_ashrrev_i32_e32 v8, 31, v66
	v_lshrrev_b32_e32 v8, 27, v8
	s_delay_alu instid0(VALU_DEP_1) | instskip(NEXT) | instid1(VALU_DEP_1)
	v_add_nc_u32_e32 v8, v66, v8
	v_ashrrev_i32_e32 v8, 5, v8
.LBB2_3946:                             ;   in Loop: Header=BB2_2404 Depth=2
	s_or_b32 exec_lo, exec_lo, s15
	s_delay_alu instid0(SALU_CYCLE_1)
	s_and_b32 s14, s14, exec_lo
.LBB2_3947:                             ;   in Loop: Header=BB2_2404 Depth=2
	s_or_b32 exec_lo, exec_lo, s16
.LBB2_3948:                             ;   in Loop: Header=BB2_2404 Depth=2
	s_and_saveexec_b32 s15, s14
	s_cbranch_execz .LBB2_4367
; %bb.3949:                             ;   in Loop: Header=BB2_2404 Depth=2
	v_ashrrev_i32_e32 v2, 31, v65
	s_mov_b32 s14, exec_lo
	s_delay_alu instid0(VALU_DEP_1) | instskip(NEXT) | instid1(VALU_DEP_1)
	v_lshrrev_b32_e32 v2, 24, v2
	v_add_nc_u32_e32 v2, v65, v2
	s_delay_alu instid0(VALU_DEP_1) | instskip(NEXT) | instid1(VALU_DEP_1)
	v_ashrrev_i32_e32 v67, 8, v2
	v_sub_nc_u32_e32 v2, v67, v8
	s_delay_alu instid0(VALU_DEP_1)
	v_cmpx_lt_i32_e32 0, v2
	s_cbranch_execz .LBB2_4314
; %bb.3950:                             ;   in Loop: Header=BB2_2404 Depth=2
	s_cbranch_execnz .LBB2_7286
; %bb.3951:                             ;   in Loop: Header=BB2_2404 Depth=2
	v_ashrrev_i32_e32 v9, 31, v66
	v_lshlrev_b32_e32 v8, 8, v8
	s_bitcmp1_b32 s30, 0
	s_mov_b32 s16, 0
	s_cselect_b32 s17, -1, 0
	v_lshrrev_b32_e32 v9, 27, v9
	s_delay_alu instid0(VALU_DEP_1) | instskip(SKIP_2) | instid1(VALU_DEP_1)
	v_add_nc_u32_e32 v13, v66, v9
	ds_load_b128 v[9:12], v0
	v_and_b32_e32 v13, 0xffffffe0, v13
	v_sub_nc_u32_e32 v13, v66, v13
	s_delay_alu instid0(VALU_DEP_1) | instskip(NEXT) | instid1(VALU_DEP_1)
	v_add3_u32 v13, v64, v13, v8
	v_ashrrev_i32_e32 v14, 31, v13
	s_waitcnt lgkmcnt(0)
	v_add_co_u32 v8, vcc_lo, v9, v13
	s_delay_alu instid0(VALU_DEP_2) | instskip(SKIP_2) | instid1(VALU_DEP_3)
	v_add_co_ci_u32_e32 v9, vcc_lo, v10, v14, vcc_lo
	v_add_co_u32 v10, vcc_lo, v11, v13
	v_add_co_ci_u32_e32 v11, vcc_lo, v12, v14, vcc_lo
	v_dual_mov_b32 v13, v9 :: v_dual_mov_b32 v12, v8
	s_delay_alu instid0(VALU_DEP_2)
	v_dual_mov_b32 v15, v11 :: v_dual_mov_b32 v14, v10
	s_branch .LBB2_3955
.LBB2_3952:                             ;   in Loop: Header=BB2_3955 Depth=3
	s_or_b32 exec_lo, exec_lo, s13
	s_delay_alu instid0(VALU_DEP_1) | instskip(NEXT) | instid1(VALU_DEP_2)
	v_lshrrev_b32_e32 v69, 20, v69
	v_cmp_gt_i32_e32 vcc_lo, 16, v68
	v_lshrrev_b32_e32 v134, 24, v134
	v_min_i32_e32 v145, 15, v68
	s_delay_alu instid0(VALU_DEP_2) | instskip(NEXT) | instid1(VALU_DEP_2)
	v_dual_cndmask_b32 v69, 7, v69 :: v_dual_and_b32 v134, 0x80, v134
	v_lshlrev_b32_e32 v145, 3, v145
	s_delay_alu instid0(VALU_DEP_2) | instskip(SKIP_1) | instid1(VALU_DEP_2)
	v_and_b32_e32 v148, 7, v69
	v_or_b32_e32 v68, v68, v69
	v_or3_b32 v69, v145, v134, v148
	s_delay_alu instid0(VALU_DEP_2) | instskip(NEXT) | instid1(VALU_DEP_2)
	v_cmp_ne_u32_e32 vcc_lo, 0, v68
	v_cndmask_b32_e32 v68, 0, v69, vcc_lo
.LBB2_3953:                             ;   in Loop: Header=BB2_3955 Depth=3
	s_or_b32 exec_lo, exec_lo, s34
.LBB2_3954:                             ;   in Loop: Header=BB2_3955 Depth=3
	s_delay_alu instid0(SALU_CYCLE_1)
	s_or_b32 exec_lo, exec_lo, s31
	v_add_co_u32 v8, vcc_lo, v8, v103
	v_add_co_ci_u32_e32 v9, vcc_lo, v9, v112, vcc_lo
	v_add_co_u32 v10, vcc_lo, v10, v103
	v_sub_nc_u32_e32 v2, v2, v83
	v_add_co_ci_u32_e32 v11, vcc_lo, v11, v112, vcc_lo
	s_clause 0x7
	flat_store_b8 v[12:13], v70 glc slc dlc
	flat_store_b8 v[12:13], v135 offset:32 glc slc dlc
	flat_store_b8 v[12:13], v146 offset:64 glc slc dlc
	;; [unrolled: 1-line block ×7, first 2 shown]
	s_clause 0x7
	flat_store_b8 v[14:15], v70 glc slc dlc
	flat_store_b8 v[14:15], v135 offset:32 glc slc dlc
	flat_store_b8 v[14:15], v146 offset:64 glc slc dlc
	;; [unrolled: 1-line block ×7, first 2 shown]
	v_add_co_u32 v12, vcc_lo, v12, v103
	v_add_co_ci_u32_e32 v13, vcc_lo, v13, v112, vcc_lo
	v_cmp_gt_i32_e32 vcc_lo, 1, v2
	v_add_co_u32 v14, s13, v14, v103
	s_delay_alu instid0(VALU_DEP_1) | instskip(SKIP_1) | instid1(SALU_CYCLE_1)
	v_add_co_ci_u32_e64 v15, s13, v15, v112, s13
	s_or_b32 s16, vcc_lo, s16
	s_and_not1_b32 exec_lo, exec_lo, s16
	s_cbranch_execz .LBB2_4313
.LBB2_3955:                             ;   Parent Loop BB2_51 Depth=1
                                        ;     Parent Loop BB2_2404 Depth=2
                                        ; =>    This Inner Loop Header: Depth=3
	s_clause 0x7
	flat_load_u8 v161, v[8:9] slc dlc
	flat_load_u8 v160, v[8:9] offset:32 slc dlc
	flat_load_u8 v151, v[8:9] offset:64 slc dlc
	;; [unrolled: 1-line block ×7, first 2 shown]
	s_clause 0x7
	flat_load_u8 v70, v[10:11] slc dlc
	flat_load_u8 v135, v[10:11] offset:32 slc dlc
	flat_load_u8 v146, v[10:11] offset:64 slc dlc
	;; [unrolled: 1-line block ×7, first 2 shown]
	s_and_b32 vcc_lo, exec_lo, s17
	s_cbranch_vccz .LBB2_3965
; %bb.3956:                             ;   in Loop: Header=BB2_3955 Depth=3
	s_waitcnt vmcnt(15) lgkmcnt(15)
	v_and_b32_e32 v163, 0xff, v161
	s_mov_b32 s13, 0
	s_mov_b32 s34, exec_lo
                                        ; implicit-def: $sgpr31
	s_delay_alu instid0(VALU_DEP_1)
	v_cmpx_lt_i16_e64 0x7f, v163
	s_xor_b32 s34, exec_lo, s34
	s_cbranch_execnz .LBB2_4185
; %bb.3957:                             ;   in Loop: Header=BB2_3955 Depth=3
	s_or_saveexec_b32 s34, s34
	v_mov_b32_e32 v162, s31
	s_xor_b32 exec_lo, exec_lo, s34
	s_cbranch_execnz .LBB2_4188
.LBB2_3958:                             ;   in Loop: Header=BB2_3955 Depth=3
	s_or_b32 exec_lo, exec_lo, s34
	s_and_saveexec_b32 s31, s13
	s_cbranch_execz .LBB2_3960
.LBB2_3959:                             ;   in Loop: Header=BB2_3955 Depth=3
	v_lshrrev_b16 v165, 3, v161
	v_lshlrev_b32_e32 v166, 24, v161
	s_delay_alu instid0(VALU_DEP_2) | instskip(NEXT) | instid1(VALU_DEP_1)
	v_and_b32_e32 v165, 15, v165
	v_cmp_eq_u32_e32 vcc_lo, 0, v165
	v_and_b32_e32 v162, 7, v161
	s_delay_alu instid0(VALU_DEP_1) | instskip(NEXT) | instid1(VALU_DEP_1)
	v_clz_i32_u32_e32 v163, v162
	v_min_u32_e32 v163, 32, v163
	s_delay_alu instid0(VALU_DEP_1) | instskip(SKIP_1) | instid1(VALU_DEP_1)
	v_subrev_nc_u32_e32 v164, 28, v163
	v_sub_nc_u32_e32 v163, 29, v163
	v_dual_cndmask_b32 v163, v165, v163 :: v_dual_lshlrev_b32 v164, v164, v161
	s_delay_alu instid0(VALU_DEP_1) | instskip(NEXT) | instid1(VALU_DEP_2)
	v_and_b32_e32 v164, 7, v164
	v_lshl_add_u32 v163, v163, 23, 0x3b800000
	s_delay_alu instid0(VALU_DEP_2) | instskip(SKIP_1) | instid1(VALU_DEP_2)
	v_cndmask_b32_e32 v162, v162, v164, vcc_lo
	v_and_b32_e32 v164, 0x80000000, v166
	v_lshlrev_b32_e32 v162, 20, v162
	s_delay_alu instid0(VALU_DEP_1)
	v_or3_b32 v162, v164, v163, v162
.LBB2_3960:                             ;   in Loop: Header=BB2_3955 Depth=3
	s_or_b32 exec_lo, exec_lo, s31
	s_waitcnt vmcnt(7) lgkmcnt(7)
	v_and_b32_e32 v164, 0xff, v70
	s_mov_b32 s13, 0
	s_mov_b32 s34, exec_lo
                                        ; implicit-def: $sgpr31
	s_delay_alu instid0(VALU_DEP_1)
	v_cmpx_lt_i16_e64 0x7f, v164
	s_xor_b32 s34, exec_lo, s34
	s_cbranch_execnz .LBB2_4189
; %bb.3961:                             ;   in Loop: Header=BB2_3955 Depth=3
	s_or_saveexec_b32 s34, s34
	v_mov_b32_e32 v163, s31
	s_xor_b32 exec_lo, exec_lo, s34
	s_cbranch_execnz .LBB2_4192
.LBB2_3962:                             ;   in Loop: Header=BB2_3955 Depth=3
	s_or_b32 exec_lo, exec_lo, s34
	s_and_saveexec_b32 s31, s13
	s_cbranch_execz .LBB2_3964
.LBB2_3963:                             ;   in Loop: Header=BB2_3955 Depth=3
	v_lshrrev_b16 v166, 3, v70
	v_lshlrev_b32_e32 v167, 24, v70
	s_delay_alu instid0(VALU_DEP_2) | instskip(NEXT) | instid1(VALU_DEP_1)
	v_and_b32_e32 v166, 15, v166
	v_cmp_eq_u32_e32 vcc_lo, 0, v166
	v_and_b32_e32 v163, 7, v70
	s_delay_alu instid0(VALU_DEP_1) | instskip(NEXT) | instid1(VALU_DEP_1)
	v_clz_i32_u32_e32 v164, v163
	v_min_u32_e32 v164, 32, v164
	s_delay_alu instid0(VALU_DEP_1) | instskip(SKIP_1) | instid1(VALU_DEP_1)
	v_subrev_nc_u32_e32 v165, 28, v164
	v_sub_nc_u32_e32 v164, 29, v164
	v_dual_cndmask_b32 v164, v166, v164 :: v_dual_lshlrev_b32 v165, v165, v70
	s_delay_alu instid0(VALU_DEP_1) | instskip(NEXT) | instid1(VALU_DEP_2)
	v_and_b32_e32 v165, 7, v165
	v_lshl_add_u32 v164, v164, 23, 0x3b800000
	s_delay_alu instid0(VALU_DEP_2) | instskip(SKIP_1) | instid1(VALU_DEP_2)
	v_cndmask_b32_e32 v163, v163, v165, vcc_lo
	v_and_b32_e32 v165, 0x80000000, v167
	v_lshlrev_b32_e32 v163, 20, v163
	s_delay_alu instid0(VALU_DEP_1)
	v_or3_b32 v163, v165, v164, v163
.LBB2_3964:                             ;   in Loop: Header=BB2_3955 Depth=3
	s_or_b32 exec_lo, exec_lo, s31
	s_delay_alu instid0(VALU_DEP_1) | instskip(SKIP_1) | instid1(VALU_DEP_1)
	v_dual_max_f32 v163, v163, v163 :: v_dual_max_f32 v162, v162, v162
	s_mov_b32 s13, 0
	v_max_f32_e32 v162, v162, v163
	s_branch .LBB2_3966
.LBB2_3965:                             ;   in Loop: Header=BB2_3955 Depth=3
	s_mov_b32 s13, -1
                                        ; implicit-def: $vgpr162
.LBB2_3966:                             ;   in Loop: Header=BB2_3955 Depth=3
	s_delay_alu instid0(SALU_CYCLE_1)
	s_and_b32 vcc_lo, exec_lo, s13
	s_cbranch_vccz .LBB2_3976
; %bb.3967:                             ;   in Loop: Header=BB2_3955 Depth=3
	s_waitcnt vmcnt(15) lgkmcnt(15)
	v_and_b32_e32 v163, 0xff, v161
	s_mov_b32 s13, 0
	s_mov_b32 s34, exec_lo
                                        ; implicit-def: $sgpr31
	s_delay_alu instid0(VALU_DEP_1)
	v_cmpx_lt_i16_e64 0x7f, v163
	s_xor_b32 s34, exec_lo, s34
	s_cbranch_execnz .LBB2_4193
; %bb.3968:                             ;   in Loop: Header=BB2_3955 Depth=3
	s_or_saveexec_b32 s34, s34
	v_mov_b32_e32 v162, s31
	s_xor_b32 exec_lo, exec_lo, s34
	s_cbranch_execnz .LBB2_4196
.LBB2_3969:                             ;   in Loop: Header=BB2_3955 Depth=3
	s_or_b32 exec_lo, exec_lo, s34
	s_and_saveexec_b32 s31, s13
	s_cbranch_execz .LBB2_3971
.LBB2_3970:                             ;   in Loop: Header=BB2_3955 Depth=3
	v_lshrrev_b16 v165, 3, v161
	s_delay_alu instid0(VALU_DEP_1) | instskip(NEXT) | instid1(VALU_DEP_1)
	v_and_b32_e32 v165, 15, v165
	v_cmp_eq_u32_e32 vcc_lo, 0, v165
	v_and_b32_e32 v162, 7, v161
	s_delay_alu instid0(VALU_DEP_1) | instskip(NEXT) | instid1(VALU_DEP_1)
	v_clz_i32_u32_e32 v163, v162
	v_min_u32_e32 v163, 32, v163
	s_delay_alu instid0(VALU_DEP_1) | instskip(SKIP_1) | instid1(VALU_DEP_1)
	v_subrev_nc_u32_e32 v164, 28, v163
	v_sub_nc_u32_e32 v163, 29, v163
	v_dual_cndmask_b32 v163, v165, v163 :: v_dual_lshlrev_b32 v164, v164, v161
	v_lshlrev_b32_e32 v161, 24, v161
	s_delay_alu instid0(VALU_DEP_2) | instskip(NEXT) | instid1(VALU_DEP_3)
	v_and_b32_e32 v164, 7, v164
	v_lshl_add_u32 v163, v163, 23, 0x3b800000
	s_delay_alu instid0(VALU_DEP_2) | instskip(NEXT) | instid1(VALU_DEP_1)
	v_dual_cndmask_b32 v162, v162, v164 :: v_dual_and_b32 v161, 0x80000000, v161
	v_lshlrev_b32_e32 v162, 20, v162
	s_delay_alu instid0(VALU_DEP_1)
	v_or3_b32 v162, v161, v163, v162
.LBB2_3971:                             ;   in Loop: Header=BB2_3955 Depth=3
	s_or_b32 exec_lo, exec_lo, s31
	s_waitcnt vmcnt(7) lgkmcnt(7)
	v_and_b32_e32 v163, 0xff, v70
	s_mov_b32 s13, 0
	s_mov_b32 s34, exec_lo
                                        ; implicit-def: $sgpr31
	s_delay_alu instid0(VALU_DEP_1)
	v_cmpx_lt_i16_e64 0x7f, v163
	s_xor_b32 s34, exec_lo, s34
	s_cbranch_execnz .LBB2_4197
; %bb.3972:                             ;   in Loop: Header=BB2_3955 Depth=3
	s_or_saveexec_b32 s34, s34
	v_mov_b32_e32 v161, s31
	s_xor_b32 exec_lo, exec_lo, s34
	s_cbranch_execnz .LBB2_4200
.LBB2_3973:                             ;   in Loop: Header=BB2_3955 Depth=3
	s_or_b32 exec_lo, exec_lo, s34
	s_and_saveexec_b32 s31, s13
	s_cbranch_execz .LBB2_3975
.LBB2_3974:                             ;   in Loop: Header=BB2_3955 Depth=3
	v_and_b32_e32 v161, 7, v70
	v_lshrrev_b16 v165, 3, v70
	s_delay_alu instid0(VALU_DEP_2) | instskip(NEXT) | instid1(VALU_DEP_2)
	v_clz_i32_u32_e32 v163, v161
	v_and_b32_e32 v165, 15, v165
	s_delay_alu instid0(VALU_DEP_2) | instskip(NEXT) | instid1(VALU_DEP_2)
	v_min_u32_e32 v163, 32, v163
	v_cmp_eq_u32_e32 vcc_lo, 0, v165
	s_delay_alu instid0(VALU_DEP_2) | instskip(SKIP_1) | instid1(VALU_DEP_1)
	v_subrev_nc_u32_e32 v164, 28, v163
	v_sub_nc_u32_e32 v163, 29, v163
	v_dual_cndmask_b32 v163, v165, v163 :: v_dual_lshlrev_b32 v164, v164, v70
	s_delay_alu instid0(VALU_DEP_1) | instskip(SKIP_1) | instid1(VALU_DEP_3)
	v_and_b32_e32 v164, 7, v164
	v_lshlrev_b32_e32 v70, 24, v70
	v_lshl_add_u32 v163, v163, 23, 0x3b800000
	s_delay_alu instid0(VALU_DEP_2) | instskip(NEXT) | instid1(VALU_DEP_1)
	v_dual_cndmask_b32 v161, v161, v164 :: v_dual_and_b32 v70, 0x80000000, v70
	v_lshlrev_b32_e32 v161, 20, v161
	s_delay_alu instid0(VALU_DEP_1)
	v_or3_b32 v161, v70, v163, v161
.LBB2_3975:                             ;   in Loop: Header=BB2_3955 Depth=3
	s_or_b32 exec_lo, exec_lo, s31
	s_delay_alu instid0(VALU_DEP_1) | instskip(NEXT) | instid1(VALU_DEP_1)
	v_dual_max_f32 v70, v161, v161 :: v_dual_max_f32 v161, v162, v162
	v_min_f32_e32 v162, v161, v70
.LBB2_3976:                             ;   in Loop: Header=BB2_3955 Depth=3
	s_waitcnt vmcnt(7) lgkmcnt(7)
	s_delay_alu instid0(VALU_DEP_1) | instskip(NEXT) | instid1(VALU_DEP_1)
	v_and_b32_e32 v70, 0x7f800000, v162
	v_cmp_ne_u32_e32 vcc_lo, 0x7f800000, v70
	v_mov_b32_e32 v70, 0x80
	s_and_saveexec_b32 s31, vcc_lo
	s_cbranch_execz .LBB2_3984
; %bb.3977:                             ;   in Loop: Header=BB2_3955 Depth=3
	v_mov_b32_e32 v70, 0
	s_mov_b32 s34, exec_lo
	v_cmpx_ne_u32_e32 0, v162
	s_cbranch_execz .LBB2_3983
; %bb.3978:                             ;   in Loop: Header=BB2_3955 Depth=3
	v_bfe_u32 v70, v162, 23, 8
	v_and_b32_e32 v161, 0x7fffff, v162
	s_delay_alu instid0(VALU_DEP_2) | instskip(SKIP_1) | instid1(VALU_DEP_3)
	v_sub_nc_u32_e32 v163, 0x78, v70
	v_cmp_gt_u32_e32 vcc_lo, 0x79, v70
	v_or_b32_e32 v164, 0x800000, v161
	s_delay_alu instid0(VALU_DEP_3) | instskip(SKIP_2) | instid1(VALU_DEP_3)
	v_cndmask_b32_e32 v163, 0, v163, vcc_lo
	v_cmp_eq_u32_e32 vcc_lo, 0, v70
	v_add_nc_u32_e32 v70, 0xffffff89, v70
	v_cndmask_b32_e64 v163, v163, 0x77, vcc_lo
	v_cndmask_b32_e32 v161, v164, v161, vcc_lo
	s_delay_alu instid0(VALU_DEP_3) | instskip(NEXT) | instid1(VALU_DEP_3)
	v_cndmask_b32_e64 v70, v70, 0xffffff8a, vcc_lo
	v_lshl_add_u32 v164, 0x100000, v163, -1
	s_delay_alu instid0(VALU_DEP_3) | instskip(SKIP_1) | instid1(VALU_DEP_4)
	v_lshrrev_b32_e32 v165, v163, v161
	v_lshlrev_b32_e64 v167, v163, 0x80000
	v_add_nc_u32_e32 v163, v163, v70
	s_delay_alu instid0(VALU_DEP_4) | instskip(NEXT) | instid1(VALU_DEP_4)
	v_and_b32_e32 v161, v164, v161
	v_bfe_u32 v166, v165, 20, 1
	s_delay_alu instid0(VALU_DEP_2) | instskip(NEXT) | instid1(VALU_DEP_2)
	v_cmp_eq_u32_e64 s13, v161, v167
	v_add_nc_u32_e32 v164, -1, v166
	s_delay_alu instid0(VALU_DEP_1) | instskip(SKIP_2) | instid1(VALU_DEP_2)
	v_cndmask_b32_e64 v161, 0, v164, s13
	v_lshrrev_b32_e32 v164, 23, v165
	s_mov_b32 s13, exec_lo
	v_add_nc_u32_e32 v161, v161, v165
	s_delay_alu instid0(VALU_DEP_2) | instskip(NEXT) | instid1(VALU_DEP_2)
	v_xor_b32_e32 v164, 1, v164
	v_and_b32_e32 v70, 0xfffff, v161
	s_delay_alu instid0(VALU_DEP_1) | instskip(NEXT) | instid1(VALU_DEP_3)
	v_add_nc_u32_e32 v161, v70, v165
                                        ; implicit-def: $vgpr70
	v_cmpx_ne_u32_e64 v163, v164
	s_xor_b32 s13, exec_lo, s13
; %bb.3979:                             ;   in Loop: Header=BB2_3955 Depth=3
	s_delay_alu instid0(VALU_DEP_2) | instskip(SKIP_2) | instid1(VALU_DEP_2)
	v_cmp_lt_u32_e32 vcc_lo, 0xffffff, v161
	v_sub_nc_u32_e32 v70, v163, v164
	v_cndmask_b32_e64 v163, 0, 1, vcc_lo
	v_add_co_ci_u32_e32 v70, vcc_lo, 0, v70, vcc_lo
	s_delay_alu instid0(VALU_DEP_2)
	v_lshrrev_b32_e32 v161, v163, v161
; %bb.3980:                             ;   in Loop: Header=BB2_3955 Depth=3
	s_and_not1_saveexec_b32 s13, s13
; %bb.3981:                             ;   in Loop: Header=BB2_3955 Depth=3
	s_delay_alu instid0(VALU_DEP_1)
	v_bfe_u32 v70, v161, 23, 1
; %bb.3982:                             ;   in Loop: Header=BB2_3955 Depth=3
	s_or_b32 exec_lo, exec_lo, s13
	v_lshrrev_b32_e32 v161, 20, v161
	s_delay_alu instid0(VALU_DEP_2) | instskip(SKIP_2) | instid1(VALU_DEP_2)
	v_cmp_gt_i32_e32 vcc_lo, 16, v70
	v_lshrrev_b32_e32 v162, 24, v162
	v_min_i32_e32 v163, 15, v70
	v_dual_cndmask_b32 v161, 7, v161 :: v_dual_and_b32 v162, 0x80, v162
	s_delay_alu instid0(VALU_DEP_1) | instskip(SKIP_1) | instid1(VALU_DEP_2)
	v_or_b32_e32 v70, v70, v161
	v_and_b32_e32 v164, 7, v161
	v_cmp_ne_u32_e32 vcc_lo, 0, v70
	v_lshlrev_b32_e32 v163, 3, v163
	s_delay_alu instid0(VALU_DEP_1) | instskip(NEXT) | instid1(VALU_DEP_1)
	v_or3_b32 v161, v163, v162, v164
	v_cndmask_b32_e32 v70, 0, v161, vcc_lo
.LBB2_3983:                             ;   in Loop: Header=BB2_3955 Depth=3
	s_or_b32 exec_lo, exec_lo, s34
.LBB2_3984:                             ;   in Loop: Header=BB2_3955 Depth=3
	s_delay_alu instid0(SALU_CYCLE_1) | instskip(NEXT) | instid1(SALU_CYCLE_1)
	s_or_b32 exec_lo, exec_lo, s31
	s_and_not1_b32 vcc_lo, exec_lo, s17
	s_cbranch_vccnz .LBB2_3994
; %bb.3985:                             ;   in Loop: Header=BB2_3955 Depth=3
	v_and_b32_e32 v162, 0xff, v160
	s_mov_b32 s13, 0
	s_mov_b32 s34, exec_lo
                                        ; implicit-def: $sgpr31
	s_delay_alu instid0(VALU_DEP_1)
	v_cmpx_lt_i16_e64 0x7f, v162
	s_xor_b32 s34, exec_lo, s34
	s_cbranch_execnz .LBB2_4201
; %bb.3986:                             ;   in Loop: Header=BB2_3955 Depth=3
	s_or_saveexec_b32 s34, s34
	v_mov_b32_e32 v161, s31
	s_xor_b32 exec_lo, exec_lo, s34
	s_cbranch_execnz .LBB2_4204
.LBB2_3987:                             ;   in Loop: Header=BB2_3955 Depth=3
	s_or_b32 exec_lo, exec_lo, s34
	s_and_saveexec_b32 s31, s13
	s_cbranch_execz .LBB2_3989
.LBB2_3988:                             ;   in Loop: Header=BB2_3955 Depth=3
	v_lshrrev_b16 v164, 3, v160
	v_lshlrev_b32_e32 v165, 24, v160
	s_delay_alu instid0(VALU_DEP_2) | instskip(NEXT) | instid1(VALU_DEP_1)
	v_and_b32_e32 v164, 15, v164
	v_cmp_eq_u32_e32 vcc_lo, 0, v164
	v_and_b32_e32 v161, 7, v160
	s_delay_alu instid0(VALU_DEP_1) | instskip(NEXT) | instid1(VALU_DEP_1)
	v_clz_i32_u32_e32 v162, v161
	v_min_u32_e32 v162, 32, v162
	s_delay_alu instid0(VALU_DEP_1) | instskip(SKIP_1) | instid1(VALU_DEP_1)
	v_subrev_nc_u32_e32 v163, 28, v162
	v_sub_nc_u32_e32 v162, 29, v162
	v_dual_cndmask_b32 v162, v164, v162 :: v_dual_lshlrev_b32 v163, v163, v160
	s_delay_alu instid0(VALU_DEP_1) | instskip(NEXT) | instid1(VALU_DEP_2)
	v_and_b32_e32 v163, 7, v163
	v_lshl_add_u32 v162, v162, 23, 0x3b800000
	s_delay_alu instid0(VALU_DEP_2) | instskip(SKIP_1) | instid1(VALU_DEP_2)
	v_cndmask_b32_e32 v161, v161, v163, vcc_lo
	v_and_b32_e32 v163, 0x80000000, v165
	v_lshlrev_b32_e32 v161, 20, v161
	s_delay_alu instid0(VALU_DEP_1)
	v_or3_b32 v161, v163, v162, v161
.LBB2_3989:                             ;   in Loop: Header=BB2_3955 Depth=3
	s_or_b32 exec_lo, exec_lo, s31
	s_waitcnt vmcnt(6) lgkmcnt(6)
	v_and_b32_e32 v163, 0xff, v135
	s_mov_b32 s13, 0
	s_mov_b32 s34, exec_lo
                                        ; implicit-def: $sgpr31
	s_delay_alu instid0(VALU_DEP_1)
	v_cmpx_lt_i16_e64 0x7f, v163
	s_xor_b32 s34, exec_lo, s34
	s_cbranch_execnz .LBB2_4205
; %bb.3990:                             ;   in Loop: Header=BB2_3955 Depth=3
	s_or_saveexec_b32 s34, s34
	v_mov_b32_e32 v162, s31
	s_xor_b32 exec_lo, exec_lo, s34
	s_cbranch_execnz .LBB2_4208
.LBB2_3991:                             ;   in Loop: Header=BB2_3955 Depth=3
	s_or_b32 exec_lo, exec_lo, s34
	s_and_saveexec_b32 s31, s13
	s_cbranch_execz .LBB2_3993
.LBB2_3992:                             ;   in Loop: Header=BB2_3955 Depth=3
	v_and_b32_e32 v162, 7, v135
	v_lshrrev_b16 v165, 3, v135
	v_lshlrev_b32_e32 v166, 24, v135
	s_delay_alu instid0(VALU_DEP_3) | instskip(NEXT) | instid1(VALU_DEP_1)
	v_clz_i32_u32_e32 v163, v162
	v_min_u32_e32 v163, 32, v163
	s_delay_alu instid0(VALU_DEP_1) | instskip(SKIP_1) | instid1(VALU_DEP_2)
	v_subrev_nc_u32_e32 v164, 28, v163
	v_sub_nc_u32_e32 v163, 29, v163
	v_lshlrev_b32_e32 v164, v164, v135
	s_delay_alu instid0(VALU_DEP_1) | instskip(SKIP_1) | instid1(VALU_DEP_1)
	v_and_b32_e32 v164, 7, v164
	v_and_b32_e32 v165, 15, v165
	v_cmp_eq_u32_e32 vcc_lo, 0, v165
	s_delay_alu instid0(VALU_DEP_3) | instskip(SKIP_1) | instid1(VALU_DEP_2)
	v_dual_cndmask_b32 v162, v162, v164 :: v_dual_cndmask_b32 v163, v165, v163
	v_and_b32_e32 v164, 0x80000000, v166
	v_lshlrev_b32_e32 v162, 20, v162
	s_delay_alu instid0(VALU_DEP_3) | instskip(NEXT) | instid1(VALU_DEP_1)
	v_lshl_add_u32 v163, v163, 23, 0x3b800000
	v_or3_b32 v162, v164, v163, v162
.LBB2_3993:                             ;   in Loop: Header=BB2_3955 Depth=3
	s_or_b32 exec_lo, exec_lo, s31
	s_delay_alu instid0(VALU_DEP_1) | instskip(SKIP_1) | instid1(VALU_DEP_1)
	v_dual_max_f32 v162, v162, v162 :: v_dual_max_f32 v161, v161, v161
	s_mov_b32 s13, 0
	v_max_f32_e32 v161, v161, v162
	s_branch .LBB2_3995
.LBB2_3994:                             ;   in Loop: Header=BB2_3955 Depth=3
	s_mov_b32 s13, -1
                                        ; implicit-def: $vgpr161
.LBB2_3995:                             ;   in Loop: Header=BB2_3955 Depth=3
	s_delay_alu instid0(SALU_CYCLE_1)
	s_and_b32 vcc_lo, exec_lo, s13
	s_cbranch_vccz .LBB2_4005
; %bb.3996:                             ;   in Loop: Header=BB2_3955 Depth=3
	v_and_b32_e32 v162, 0xff, v160
	s_mov_b32 s13, 0
	s_mov_b32 s34, exec_lo
                                        ; implicit-def: $sgpr31
	s_delay_alu instid0(VALU_DEP_1)
	v_cmpx_lt_i16_e64 0x7f, v162
	s_xor_b32 s34, exec_lo, s34
	s_cbranch_execnz .LBB2_4209
; %bb.3997:                             ;   in Loop: Header=BB2_3955 Depth=3
	s_or_saveexec_b32 s34, s34
	v_mov_b32_e32 v161, s31
	s_xor_b32 exec_lo, exec_lo, s34
	s_cbranch_execnz .LBB2_4212
.LBB2_3998:                             ;   in Loop: Header=BB2_3955 Depth=3
	s_or_b32 exec_lo, exec_lo, s34
	s_and_saveexec_b32 s31, s13
	s_cbranch_execz .LBB2_4000
.LBB2_3999:                             ;   in Loop: Header=BB2_3955 Depth=3
	v_lshrrev_b16 v164, 3, v160
	s_delay_alu instid0(VALU_DEP_1) | instskip(NEXT) | instid1(VALU_DEP_1)
	v_and_b32_e32 v164, 15, v164
	v_cmp_eq_u32_e32 vcc_lo, 0, v164
	v_and_b32_e32 v161, 7, v160
	s_delay_alu instid0(VALU_DEP_1) | instskip(NEXT) | instid1(VALU_DEP_1)
	v_clz_i32_u32_e32 v162, v161
	v_min_u32_e32 v162, 32, v162
	s_delay_alu instid0(VALU_DEP_1) | instskip(SKIP_1) | instid1(VALU_DEP_1)
	v_subrev_nc_u32_e32 v163, 28, v162
	v_sub_nc_u32_e32 v162, 29, v162
	v_dual_cndmask_b32 v162, v164, v162 :: v_dual_lshlrev_b32 v163, v163, v160
	v_lshlrev_b32_e32 v160, 24, v160
	s_delay_alu instid0(VALU_DEP_2) | instskip(NEXT) | instid1(VALU_DEP_3)
	v_and_b32_e32 v163, 7, v163
	v_lshl_add_u32 v162, v162, 23, 0x3b800000
	s_delay_alu instid0(VALU_DEP_2) | instskip(NEXT) | instid1(VALU_DEP_1)
	v_dual_cndmask_b32 v161, v161, v163 :: v_dual_and_b32 v160, 0x80000000, v160
	v_lshlrev_b32_e32 v161, 20, v161
	s_delay_alu instid0(VALU_DEP_1)
	v_or3_b32 v161, v160, v162, v161
.LBB2_4000:                             ;   in Loop: Header=BB2_3955 Depth=3
	s_or_b32 exec_lo, exec_lo, s31
	s_waitcnt vmcnt(6) lgkmcnt(6)
	v_and_b32_e32 v162, 0xff, v135
	s_mov_b32 s13, 0
	s_mov_b32 s34, exec_lo
                                        ; implicit-def: $sgpr31
	s_delay_alu instid0(VALU_DEP_1)
	v_cmpx_lt_i16_e64 0x7f, v162
	s_xor_b32 s34, exec_lo, s34
	s_cbranch_execnz .LBB2_4213
; %bb.4001:                             ;   in Loop: Header=BB2_3955 Depth=3
	s_or_saveexec_b32 s34, s34
	v_mov_b32_e32 v160, s31
	s_xor_b32 exec_lo, exec_lo, s34
	s_cbranch_execnz .LBB2_4216
.LBB2_4002:                             ;   in Loop: Header=BB2_3955 Depth=3
	s_or_b32 exec_lo, exec_lo, s34
	s_and_saveexec_b32 s31, s13
	s_cbranch_execz .LBB2_4004
.LBB2_4003:                             ;   in Loop: Header=BB2_3955 Depth=3
	v_and_b32_e32 v160, 7, v135
	v_lshrrev_b16 v164, 3, v135
	s_delay_alu instid0(VALU_DEP_2) | instskip(NEXT) | instid1(VALU_DEP_2)
	v_clz_i32_u32_e32 v162, v160
	v_and_b32_e32 v164, 15, v164
	s_delay_alu instid0(VALU_DEP_2) | instskip(NEXT) | instid1(VALU_DEP_2)
	v_min_u32_e32 v162, 32, v162
	v_cmp_eq_u32_e32 vcc_lo, 0, v164
	s_delay_alu instid0(VALU_DEP_2) | instskip(SKIP_1) | instid1(VALU_DEP_1)
	v_subrev_nc_u32_e32 v163, 28, v162
	v_sub_nc_u32_e32 v162, 29, v162
	v_dual_cndmask_b32 v162, v164, v162 :: v_dual_lshlrev_b32 v163, v163, v135
	v_lshlrev_b32_e32 v135, 24, v135
	s_delay_alu instid0(VALU_DEP_2) | instskip(NEXT) | instid1(VALU_DEP_3)
	v_and_b32_e32 v163, 7, v163
	v_lshl_add_u32 v162, v162, 23, 0x3b800000
	s_delay_alu instid0(VALU_DEP_3) | instskip(NEXT) | instid1(VALU_DEP_3)
	v_and_b32_e32 v135, 0x80000000, v135
	v_cndmask_b32_e32 v160, v160, v163, vcc_lo
	s_delay_alu instid0(VALU_DEP_1) | instskip(NEXT) | instid1(VALU_DEP_1)
	v_lshlrev_b32_e32 v160, 20, v160
	v_or3_b32 v160, v135, v162, v160
.LBB2_4004:                             ;   in Loop: Header=BB2_3955 Depth=3
	s_or_b32 exec_lo, exec_lo, s31
	s_delay_alu instid0(VALU_DEP_1) | instskip(NEXT) | instid1(VALU_DEP_1)
	v_dual_max_f32 v135, v160, v160 :: v_dual_max_f32 v160, v161, v161
	v_min_f32_e32 v161, v160, v135
.LBB2_4005:                             ;   in Loop: Header=BB2_3955 Depth=3
	s_waitcnt vmcnt(6) lgkmcnt(6)
	s_delay_alu instid0(VALU_DEP_1) | instskip(NEXT) | instid1(VALU_DEP_1)
	v_and_b32_e32 v135, 0x7f800000, v161
	v_cmp_ne_u32_e32 vcc_lo, 0x7f800000, v135
	v_mov_b32_e32 v135, 0x80
	s_and_saveexec_b32 s31, vcc_lo
	s_cbranch_execz .LBB2_4013
; %bb.4006:                             ;   in Loop: Header=BB2_3955 Depth=3
	v_mov_b32_e32 v135, 0
	s_mov_b32 s34, exec_lo
	v_cmpx_ne_u32_e32 0, v161
	s_cbranch_execz .LBB2_4012
; %bb.4007:                             ;   in Loop: Header=BB2_3955 Depth=3
	v_bfe_u32 v135, v161, 23, 8
	v_and_b32_e32 v160, 0x7fffff, v161
	s_delay_alu instid0(VALU_DEP_2) | instskip(SKIP_1) | instid1(VALU_DEP_3)
	v_sub_nc_u32_e32 v162, 0x78, v135
	v_cmp_gt_u32_e32 vcc_lo, 0x79, v135
	v_or_b32_e32 v163, 0x800000, v160
	s_delay_alu instid0(VALU_DEP_3) | instskip(SKIP_2) | instid1(VALU_DEP_3)
	v_cndmask_b32_e32 v162, 0, v162, vcc_lo
	v_cmp_eq_u32_e32 vcc_lo, 0, v135
	v_add_nc_u32_e32 v135, 0xffffff89, v135
	v_cndmask_b32_e64 v162, v162, 0x77, vcc_lo
	v_cndmask_b32_e32 v160, v163, v160, vcc_lo
	s_delay_alu instid0(VALU_DEP_3) | instskip(NEXT) | instid1(VALU_DEP_3)
	v_cndmask_b32_e64 v135, v135, 0xffffff8a, vcc_lo
	v_lshl_add_u32 v163, 0x100000, v162, -1
	s_delay_alu instid0(VALU_DEP_3) | instskip(SKIP_1) | instid1(VALU_DEP_4)
	v_lshrrev_b32_e32 v164, v162, v160
	v_lshlrev_b32_e64 v166, v162, 0x80000
	v_add_nc_u32_e32 v162, v162, v135
	s_delay_alu instid0(VALU_DEP_4) | instskip(NEXT) | instid1(VALU_DEP_4)
	v_and_b32_e32 v160, v163, v160
	v_bfe_u32 v165, v164, 20, 1
	s_delay_alu instid0(VALU_DEP_2) | instskip(NEXT) | instid1(VALU_DEP_2)
	v_cmp_eq_u32_e64 s13, v160, v166
	v_add_nc_u32_e32 v163, -1, v165
	s_delay_alu instid0(VALU_DEP_1) | instskip(SKIP_2) | instid1(VALU_DEP_2)
	v_cndmask_b32_e64 v160, 0, v163, s13
	v_lshrrev_b32_e32 v163, 23, v164
	s_mov_b32 s13, exec_lo
	v_add_nc_u32_e32 v160, v160, v164
	s_delay_alu instid0(VALU_DEP_2) | instskip(NEXT) | instid1(VALU_DEP_2)
	v_xor_b32_e32 v163, 1, v163
	v_and_b32_e32 v135, 0xfffff, v160
	s_delay_alu instid0(VALU_DEP_1) | instskip(NEXT) | instid1(VALU_DEP_3)
	v_add_nc_u32_e32 v160, v135, v164
                                        ; implicit-def: $vgpr135
	v_cmpx_ne_u32_e64 v162, v163
	s_xor_b32 s13, exec_lo, s13
; %bb.4008:                             ;   in Loop: Header=BB2_3955 Depth=3
	s_delay_alu instid0(VALU_DEP_2) | instskip(SKIP_2) | instid1(VALU_DEP_2)
	v_cmp_lt_u32_e32 vcc_lo, 0xffffff, v160
	v_sub_nc_u32_e32 v135, v162, v163
	v_cndmask_b32_e64 v162, 0, 1, vcc_lo
	v_add_co_ci_u32_e32 v135, vcc_lo, 0, v135, vcc_lo
	s_delay_alu instid0(VALU_DEP_2)
	v_lshrrev_b32_e32 v160, v162, v160
; %bb.4009:                             ;   in Loop: Header=BB2_3955 Depth=3
	s_and_not1_saveexec_b32 s13, s13
; %bb.4010:                             ;   in Loop: Header=BB2_3955 Depth=3
	s_delay_alu instid0(VALU_DEP_1)
	v_bfe_u32 v135, v160, 23, 1
; %bb.4011:                             ;   in Loop: Header=BB2_3955 Depth=3
	s_or_b32 exec_lo, exec_lo, s13
	v_lshrrev_b32_e32 v160, 20, v160
	s_delay_alu instid0(VALU_DEP_2) | instskip(SKIP_2) | instid1(VALU_DEP_2)
	v_cmp_gt_i32_e32 vcc_lo, 16, v135
	v_lshrrev_b32_e32 v161, 24, v161
	v_min_i32_e32 v162, 15, v135
	v_dual_cndmask_b32 v160, 7, v160 :: v_dual_and_b32 v161, 0x80, v161
	s_delay_alu instid0(VALU_DEP_1) | instskip(SKIP_1) | instid1(VALU_DEP_2)
	v_or_b32_e32 v135, v135, v160
	v_and_b32_e32 v163, 7, v160
	v_cmp_ne_u32_e32 vcc_lo, 0, v135
	v_lshlrev_b32_e32 v162, 3, v162
	s_delay_alu instid0(VALU_DEP_1) | instskip(NEXT) | instid1(VALU_DEP_1)
	v_or3_b32 v160, v162, v161, v163
	v_cndmask_b32_e32 v135, 0, v160, vcc_lo
.LBB2_4012:                             ;   in Loop: Header=BB2_3955 Depth=3
	s_or_b32 exec_lo, exec_lo, s34
.LBB2_4013:                             ;   in Loop: Header=BB2_3955 Depth=3
	s_delay_alu instid0(SALU_CYCLE_1) | instskip(NEXT) | instid1(SALU_CYCLE_1)
	s_or_b32 exec_lo, exec_lo, s31
	s_and_not1_b32 vcc_lo, exec_lo, s17
	s_cbranch_vccnz .LBB2_4023
; %bb.4014:                             ;   in Loop: Header=BB2_3955 Depth=3
	v_and_b32_e32 v161, 0xff, v151
	s_mov_b32 s13, 0
	s_mov_b32 s34, exec_lo
                                        ; implicit-def: $sgpr31
	s_delay_alu instid0(VALU_DEP_1)
	v_cmpx_lt_i16_e64 0x7f, v161
	s_xor_b32 s34, exec_lo, s34
	s_cbranch_execnz .LBB2_4217
; %bb.4015:                             ;   in Loop: Header=BB2_3955 Depth=3
	s_or_saveexec_b32 s34, s34
	v_mov_b32_e32 v160, s31
	s_xor_b32 exec_lo, exec_lo, s34
	s_cbranch_execnz .LBB2_4220
.LBB2_4016:                             ;   in Loop: Header=BB2_3955 Depth=3
	s_or_b32 exec_lo, exec_lo, s34
	s_and_saveexec_b32 s31, s13
	s_cbranch_execz .LBB2_4018
.LBB2_4017:                             ;   in Loop: Header=BB2_3955 Depth=3
	v_lshrrev_b16 v163, 3, v151
	v_lshlrev_b32_e32 v164, 24, v151
	s_delay_alu instid0(VALU_DEP_2) | instskip(NEXT) | instid1(VALU_DEP_1)
	v_and_b32_e32 v163, 15, v163
	v_cmp_eq_u32_e32 vcc_lo, 0, v163
	v_and_b32_e32 v160, 7, v151
	s_delay_alu instid0(VALU_DEP_1) | instskip(NEXT) | instid1(VALU_DEP_1)
	v_clz_i32_u32_e32 v161, v160
	v_min_u32_e32 v161, 32, v161
	s_delay_alu instid0(VALU_DEP_1) | instskip(SKIP_1) | instid1(VALU_DEP_1)
	v_subrev_nc_u32_e32 v162, 28, v161
	v_sub_nc_u32_e32 v161, 29, v161
	v_dual_cndmask_b32 v161, v163, v161 :: v_dual_lshlrev_b32 v162, v162, v151
	s_delay_alu instid0(VALU_DEP_1) | instskip(NEXT) | instid1(VALU_DEP_2)
	v_and_b32_e32 v162, 7, v162
	v_lshl_add_u32 v161, v161, 23, 0x3b800000
	s_delay_alu instid0(VALU_DEP_2) | instskip(SKIP_1) | instid1(VALU_DEP_2)
	v_cndmask_b32_e32 v160, v160, v162, vcc_lo
	v_and_b32_e32 v162, 0x80000000, v164
	v_lshlrev_b32_e32 v160, 20, v160
	s_delay_alu instid0(VALU_DEP_1)
	v_or3_b32 v160, v162, v161, v160
.LBB2_4018:                             ;   in Loop: Header=BB2_3955 Depth=3
	s_or_b32 exec_lo, exec_lo, s31
	s_waitcnt vmcnt(5) lgkmcnt(5)
	v_and_b32_e32 v162, 0xff, v146
	s_mov_b32 s13, 0
	s_mov_b32 s34, exec_lo
                                        ; implicit-def: $sgpr31
	s_delay_alu instid0(VALU_DEP_1)
	v_cmpx_lt_i16_e64 0x7f, v162
	s_xor_b32 s34, exec_lo, s34
	s_cbranch_execnz .LBB2_4221
; %bb.4019:                             ;   in Loop: Header=BB2_3955 Depth=3
	s_or_saveexec_b32 s34, s34
	v_mov_b32_e32 v161, s31
	s_xor_b32 exec_lo, exec_lo, s34
	s_cbranch_execnz .LBB2_4224
.LBB2_4020:                             ;   in Loop: Header=BB2_3955 Depth=3
	s_or_b32 exec_lo, exec_lo, s34
	s_and_saveexec_b32 s31, s13
	s_cbranch_execz .LBB2_4022
.LBB2_4021:                             ;   in Loop: Header=BB2_3955 Depth=3
	v_and_b32_e32 v161, 7, v146
	v_lshrrev_b16 v164, 3, v146
	v_lshlrev_b32_e32 v165, 24, v146
	s_delay_alu instid0(VALU_DEP_3) | instskip(NEXT) | instid1(VALU_DEP_1)
	v_clz_i32_u32_e32 v162, v161
	v_min_u32_e32 v162, 32, v162
	s_delay_alu instid0(VALU_DEP_1) | instskip(SKIP_1) | instid1(VALU_DEP_2)
	v_subrev_nc_u32_e32 v163, 28, v162
	v_sub_nc_u32_e32 v162, 29, v162
	v_lshlrev_b32_e32 v163, v163, v146
	s_delay_alu instid0(VALU_DEP_1) | instskip(SKIP_1) | instid1(VALU_DEP_1)
	v_and_b32_e32 v163, 7, v163
	v_and_b32_e32 v164, 15, v164
	v_cmp_eq_u32_e32 vcc_lo, 0, v164
	s_delay_alu instid0(VALU_DEP_3) | instskip(SKIP_1) | instid1(VALU_DEP_2)
	v_dual_cndmask_b32 v161, v161, v163 :: v_dual_cndmask_b32 v162, v164, v162
	v_and_b32_e32 v163, 0x80000000, v165
	v_lshlrev_b32_e32 v161, 20, v161
	s_delay_alu instid0(VALU_DEP_3) | instskip(NEXT) | instid1(VALU_DEP_1)
	v_lshl_add_u32 v162, v162, 23, 0x3b800000
	v_or3_b32 v161, v163, v162, v161
.LBB2_4022:                             ;   in Loop: Header=BB2_3955 Depth=3
	s_or_b32 exec_lo, exec_lo, s31
	s_delay_alu instid0(VALU_DEP_1) | instskip(SKIP_1) | instid1(VALU_DEP_1)
	v_dual_max_f32 v161, v161, v161 :: v_dual_max_f32 v160, v160, v160
	s_mov_b32 s13, 0
	v_max_f32_e32 v160, v160, v161
	s_branch .LBB2_4024
.LBB2_4023:                             ;   in Loop: Header=BB2_3955 Depth=3
	s_mov_b32 s13, -1
                                        ; implicit-def: $vgpr160
.LBB2_4024:                             ;   in Loop: Header=BB2_3955 Depth=3
	s_delay_alu instid0(SALU_CYCLE_1)
	s_and_b32 vcc_lo, exec_lo, s13
	s_cbranch_vccz .LBB2_4034
; %bb.4025:                             ;   in Loop: Header=BB2_3955 Depth=3
	v_and_b32_e32 v161, 0xff, v151
	s_mov_b32 s13, 0
	s_mov_b32 s34, exec_lo
                                        ; implicit-def: $sgpr31
	s_delay_alu instid0(VALU_DEP_1)
	v_cmpx_lt_i16_e64 0x7f, v161
	s_xor_b32 s34, exec_lo, s34
	s_cbranch_execnz .LBB2_4225
; %bb.4026:                             ;   in Loop: Header=BB2_3955 Depth=3
	s_or_saveexec_b32 s34, s34
	v_mov_b32_e32 v160, s31
	s_xor_b32 exec_lo, exec_lo, s34
	s_cbranch_execnz .LBB2_4228
.LBB2_4027:                             ;   in Loop: Header=BB2_3955 Depth=3
	s_or_b32 exec_lo, exec_lo, s34
	s_and_saveexec_b32 s31, s13
	s_cbranch_execz .LBB2_4029
.LBB2_4028:                             ;   in Loop: Header=BB2_3955 Depth=3
	v_lshrrev_b16 v163, 3, v151
	s_delay_alu instid0(VALU_DEP_1) | instskip(NEXT) | instid1(VALU_DEP_1)
	v_and_b32_e32 v163, 15, v163
	v_cmp_eq_u32_e32 vcc_lo, 0, v163
	v_and_b32_e32 v160, 7, v151
	s_delay_alu instid0(VALU_DEP_1) | instskip(NEXT) | instid1(VALU_DEP_1)
	v_clz_i32_u32_e32 v161, v160
	v_min_u32_e32 v161, 32, v161
	s_delay_alu instid0(VALU_DEP_1) | instskip(SKIP_1) | instid1(VALU_DEP_1)
	v_subrev_nc_u32_e32 v162, 28, v161
	v_sub_nc_u32_e32 v161, 29, v161
	v_dual_cndmask_b32 v161, v163, v161 :: v_dual_lshlrev_b32 v162, v162, v151
	v_lshlrev_b32_e32 v151, 24, v151
	s_delay_alu instid0(VALU_DEP_2) | instskip(NEXT) | instid1(VALU_DEP_3)
	v_and_b32_e32 v162, 7, v162
	v_lshl_add_u32 v161, v161, 23, 0x3b800000
	s_delay_alu instid0(VALU_DEP_2) | instskip(NEXT) | instid1(VALU_DEP_1)
	v_dual_cndmask_b32 v160, v160, v162 :: v_dual_and_b32 v151, 0x80000000, v151
	v_lshlrev_b32_e32 v160, 20, v160
	s_delay_alu instid0(VALU_DEP_1)
	v_or3_b32 v160, v151, v161, v160
.LBB2_4029:                             ;   in Loop: Header=BB2_3955 Depth=3
	s_or_b32 exec_lo, exec_lo, s31
	s_waitcnt vmcnt(5) lgkmcnt(5)
	v_and_b32_e32 v161, 0xff, v146
	s_mov_b32 s13, 0
	s_mov_b32 s34, exec_lo
                                        ; implicit-def: $sgpr31
	s_delay_alu instid0(VALU_DEP_1)
	v_cmpx_lt_i16_e64 0x7f, v161
	s_xor_b32 s34, exec_lo, s34
	s_cbranch_execnz .LBB2_4229
; %bb.4030:                             ;   in Loop: Header=BB2_3955 Depth=3
	s_or_saveexec_b32 s34, s34
	v_mov_b32_e32 v151, s31
	s_xor_b32 exec_lo, exec_lo, s34
	s_cbranch_execnz .LBB2_4232
.LBB2_4031:                             ;   in Loop: Header=BB2_3955 Depth=3
	s_or_b32 exec_lo, exec_lo, s34
	s_and_saveexec_b32 s31, s13
	s_cbranch_execz .LBB2_4033
.LBB2_4032:                             ;   in Loop: Header=BB2_3955 Depth=3
	v_and_b32_e32 v151, 7, v146
	v_lshrrev_b16 v163, 3, v146
	s_delay_alu instid0(VALU_DEP_2) | instskip(NEXT) | instid1(VALU_DEP_2)
	v_clz_i32_u32_e32 v161, v151
	v_and_b32_e32 v163, 15, v163
	s_delay_alu instid0(VALU_DEP_2) | instskip(NEXT) | instid1(VALU_DEP_2)
	v_min_u32_e32 v161, 32, v161
	v_cmp_eq_u32_e32 vcc_lo, 0, v163
	s_delay_alu instid0(VALU_DEP_2) | instskip(SKIP_1) | instid1(VALU_DEP_1)
	v_subrev_nc_u32_e32 v162, 28, v161
	v_sub_nc_u32_e32 v161, 29, v161
	v_dual_cndmask_b32 v161, v163, v161 :: v_dual_lshlrev_b32 v162, v162, v146
	v_lshlrev_b32_e32 v146, 24, v146
	s_delay_alu instid0(VALU_DEP_2) | instskip(NEXT) | instid1(VALU_DEP_3)
	v_and_b32_e32 v162, 7, v162
	v_lshl_add_u32 v161, v161, 23, 0x3b800000
	s_delay_alu instid0(VALU_DEP_3) | instskip(NEXT) | instid1(VALU_DEP_3)
	v_and_b32_e32 v146, 0x80000000, v146
	v_cndmask_b32_e32 v151, v151, v162, vcc_lo
	s_delay_alu instid0(VALU_DEP_1) | instskip(NEXT) | instid1(VALU_DEP_1)
	v_lshlrev_b32_e32 v151, 20, v151
	v_or3_b32 v151, v146, v161, v151
.LBB2_4033:                             ;   in Loop: Header=BB2_3955 Depth=3
	s_or_b32 exec_lo, exec_lo, s31
	s_delay_alu instid0(VALU_DEP_1) | instskip(NEXT) | instid1(VALU_DEP_1)
	v_dual_max_f32 v146, v151, v151 :: v_dual_max_f32 v151, v160, v160
	v_min_f32_e32 v160, v151, v146
.LBB2_4034:                             ;   in Loop: Header=BB2_3955 Depth=3
	s_waitcnt vmcnt(5) lgkmcnt(5)
	s_delay_alu instid0(VALU_DEP_1) | instskip(NEXT) | instid1(VALU_DEP_1)
	v_and_b32_e32 v146, 0x7f800000, v160
	v_cmp_ne_u32_e32 vcc_lo, 0x7f800000, v146
	v_mov_b32_e32 v146, 0x80
	s_and_saveexec_b32 s31, vcc_lo
	s_cbranch_execz .LBB2_4042
; %bb.4035:                             ;   in Loop: Header=BB2_3955 Depth=3
	v_mov_b32_e32 v146, 0
	s_mov_b32 s34, exec_lo
	v_cmpx_ne_u32_e32 0, v160
	s_cbranch_execz .LBB2_4041
; %bb.4036:                             ;   in Loop: Header=BB2_3955 Depth=3
	v_bfe_u32 v146, v160, 23, 8
	v_and_b32_e32 v151, 0x7fffff, v160
	s_delay_alu instid0(VALU_DEP_2) | instskip(SKIP_1) | instid1(VALU_DEP_3)
	v_sub_nc_u32_e32 v161, 0x78, v146
	v_cmp_gt_u32_e32 vcc_lo, 0x79, v146
	v_or_b32_e32 v162, 0x800000, v151
	s_delay_alu instid0(VALU_DEP_3) | instskip(SKIP_2) | instid1(VALU_DEP_3)
	v_cndmask_b32_e32 v161, 0, v161, vcc_lo
	v_cmp_eq_u32_e32 vcc_lo, 0, v146
	v_add_nc_u32_e32 v146, 0xffffff89, v146
	v_cndmask_b32_e64 v161, v161, 0x77, vcc_lo
	v_cndmask_b32_e32 v151, v162, v151, vcc_lo
	s_delay_alu instid0(VALU_DEP_3) | instskip(NEXT) | instid1(VALU_DEP_3)
	v_cndmask_b32_e64 v146, v146, 0xffffff8a, vcc_lo
	v_lshl_add_u32 v162, 0x100000, v161, -1
	s_delay_alu instid0(VALU_DEP_3) | instskip(SKIP_1) | instid1(VALU_DEP_4)
	v_lshrrev_b32_e32 v163, v161, v151
	v_lshlrev_b32_e64 v165, v161, 0x80000
	v_add_nc_u32_e32 v161, v161, v146
	s_delay_alu instid0(VALU_DEP_4) | instskip(NEXT) | instid1(VALU_DEP_4)
	v_and_b32_e32 v151, v162, v151
	v_bfe_u32 v164, v163, 20, 1
	s_delay_alu instid0(VALU_DEP_2) | instskip(NEXT) | instid1(VALU_DEP_2)
	v_cmp_eq_u32_e64 s13, v151, v165
	v_add_nc_u32_e32 v162, -1, v164
	s_delay_alu instid0(VALU_DEP_1) | instskip(SKIP_2) | instid1(VALU_DEP_2)
	v_cndmask_b32_e64 v151, 0, v162, s13
	v_lshrrev_b32_e32 v162, 23, v163
	s_mov_b32 s13, exec_lo
	v_add_nc_u32_e32 v151, v151, v163
	s_delay_alu instid0(VALU_DEP_2) | instskip(NEXT) | instid1(VALU_DEP_2)
	v_xor_b32_e32 v162, 1, v162
	v_and_b32_e32 v146, 0xfffff, v151
	s_delay_alu instid0(VALU_DEP_1) | instskip(NEXT) | instid1(VALU_DEP_3)
	v_add_nc_u32_e32 v151, v146, v163
                                        ; implicit-def: $vgpr146
	v_cmpx_ne_u32_e64 v161, v162
	s_xor_b32 s13, exec_lo, s13
; %bb.4037:                             ;   in Loop: Header=BB2_3955 Depth=3
	s_delay_alu instid0(VALU_DEP_2) | instskip(SKIP_2) | instid1(VALU_DEP_2)
	v_cmp_lt_u32_e32 vcc_lo, 0xffffff, v151
	v_sub_nc_u32_e32 v146, v161, v162
	v_cndmask_b32_e64 v161, 0, 1, vcc_lo
	v_add_co_ci_u32_e32 v146, vcc_lo, 0, v146, vcc_lo
	s_delay_alu instid0(VALU_DEP_2)
	v_lshrrev_b32_e32 v151, v161, v151
; %bb.4038:                             ;   in Loop: Header=BB2_3955 Depth=3
	s_and_not1_saveexec_b32 s13, s13
; %bb.4039:                             ;   in Loop: Header=BB2_3955 Depth=3
	s_delay_alu instid0(VALU_DEP_1)
	v_bfe_u32 v146, v151, 23, 1
; %bb.4040:                             ;   in Loop: Header=BB2_3955 Depth=3
	s_or_b32 exec_lo, exec_lo, s13
	v_lshrrev_b32_e32 v151, 20, v151
	s_delay_alu instid0(VALU_DEP_2) | instskip(SKIP_2) | instid1(VALU_DEP_2)
	v_cmp_gt_i32_e32 vcc_lo, 16, v146
	v_lshrrev_b32_e32 v160, 24, v160
	v_min_i32_e32 v161, 15, v146
	v_dual_cndmask_b32 v151, 7, v151 :: v_dual_and_b32 v160, 0x80, v160
	s_delay_alu instid0(VALU_DEP_1) | instskip(SKIP_1) | instid1(VALU_DEP_2)
	v_or_b32_e32 v146, v146, v151
	v_and_b32_e32 v162, 7, v151
	v_cmp_ne_u32_e32 vcc_lo, 0, v146
	v_lshlrev_b32_e32 v161, 3, v161
	s_delay_alu instid0(VALU_DEP_1) | instskip(NEXT) | instid1(VALU_DEP_1)
	v_or3_b32 v151, v161, v160, v162
	v_cndmask_b32_e32 v146, 0, v151, vcc_lo
.LBB2_4041:                             ;   in Loop: Header=BB2_3955 Depth=3
	s_or_b32 exec_lo, exec_lo, s34
.LBB2_4042:                             ;   in Loop: Header=BB2_3955 Depth=3
	s_delay_alu instid0(SALU_CYCLE_1) | instskip(NEXT) | instid1(SALU_CYCLE_1)
	s_or_b32 exec_lo, exec_lo, s31
	s_and_not1_b32 vcc_lo, exec_lo, s17
	s_cbranch_vccnz .LBB2_4052
; %bb.4043:                             ;   in Loop: Header=BB2_3955 Depth=3
	v_and_b32_e32 v160, 0xff, v150
	s_mov_b32 s13, 0
	s_mov_b32 s34, exec_lo
                                        ; implicit-def: $sgpr31
	s_delay_alu instid0(VALU_DEP_1)
	v_cmpx_lt_i16_e64 0x7f, v160
	s_xor_b32 s34, exec_lo, s34
	s_cbranch_execnz .LBB2_4233
; %bb.4044:                             ;   in Loop: Header=BB2_3955 Depth=3
	s_or_saveexec_b32 s34, s34
	v_mov_b32_e32 v151, s31
	s_xor_b32 exec_lo, exec_lo, s34
	s_cbranch_execnz .LBB2_4236
.LBB2_4045:                             ;   in Loop: Header=BB2_3955 Depth=3
	s_or_b32 exec_lo, exec_lo, s34
	s_and_saveexec_b32 s31, s13
	s_cbranch_execz .LBB2_4047
.LBB2_4046:                             ;   in Loop: Header=BB2_3955 Depth=3
	v_lshrrev_b16 v162, 3, v150
	v_lshlrev_b32_e32 v163, 24, v150
	s_delay_alu instid0(VALU_DEP_2) | instskip(NEXT) | instid1(VALU_DEP_1)
	v_and_b32_e32 v162, 15, v162
	v_cmp_eq_u32_e32 vcc_lo, 0, v162
	v_and_b32_e32 v151, 7, v150
	s_delay_alu instid0(VALU_DEP_1) | instskip(NEXT) | instid1(VALU_DEP_1)
	v_clz_i32_u32_e32 v160, v151
	v_min_u32_e32 v160, 32, v160
	s_delay_alu instid0(VALU_DEP_1) | instskip(SKIP_1) | instid1(VALU_DEP_1)
	v_subrev_nc_u32_e32 v161, 28, v160
	v_sub_nc_u32_e32 v160, 29, v160
	v_dual_cndmask_b32 v160, v162, v160 :: v_dual_lshlrev_b32 v161, v161, v150
	s_delay_alu instid0(VALU_DEP_1) | instskip(NEXT) | instid1(VALU_DEP_2)
	v_and_b32_e32 v161, 7, v161
	v_lshl_add_u32 v160, v160, 23, 0x3b800000
	s_delay_alu instid0(VALU_DEP_2) | instskip(SKIP_1) | instid1(VALU_DEP_2)
	v_cndmask_b32_e32 v151, v151, v161, vcc_lo
	v_and_b32_e32 v161, 0x80000000, v163
	v_lshlrev_b32_e32 v151, 20, v151
	s_delay_alu instid0(VALU_DEP_1)
	v_or3_b32 v151, v161, v160, v151
.LBB2_4047:                             ;   in Loop: Header=BB2_3955 Depth=3
	s_or_b32 exec_lo, exec_lo, s31
	s_waitcnt vmcnt(4) lgkmcnt(4)
	v_and_b32_e32 v161, 0xff, v149
	s_mov_b32 s13, 0
	s_mov_b32 s34, exec_lo
                                        ; implicit-def: $sgpr31
	s_delay_alu instid0(VALU_DEP_1)
	v_cmpx_lt_i16_e64 0x7f, v161
	s_xor_b32 s34, exec_lo, s34
	s_cbranch_execnz .LBB2_4237
; %bb.4048:                             ;   in Loop: Header=BB2_3955 Depth=3
	s_or_saveexec_b32 s34, s34
	v_mov_b32_e32 v160, s31
	s_xor_b32 exec_lo, exec_lo, s34
	s_cbranch_execnz .LBB2_4240
.LBB2_4049:                             ;   in Loop: Header=BB2_3955 Depth=3
	s_or_b32 exec_lo, exec_lo, s34
	s_and_saveexec_b32 s31, s13
	s_cbranch_execz .LBB2_4051
.LBB2_4050:                             ;   in Loop: Header=BB2_3955 Depth=3
	v_and_b32_e32 v160, 7, v149
	v_lshrrev_b16 v163, 3, v149
	v_lshlrev_b32_e32 v164, 24, v149
	s_delay_alu instid0(VALU_DEP_3) | instskip(NEXT) | instid1(VALU_DEP_1)
	v_clz_i32_u32_e32 v161, v160
	v_min_u32_e32 v161, 32, v161
	s_delay_alu instid0(VALU_DEP_1) | instskip(SKIP_1) | instid1(VALU_DEP_2)
	v_subrev_nc_u32_e32 v162, 28, v161
	v_sub_nc_u32_e32 v161, 29, v161
	v_lshlrev_b32_e32 v162, v162, v149
	s_delay_alu instid0(VALU_DEP_1) | instskip(SKIP_1) | instid1(VALU_DEP_1)
	v_and_b32_e32 v162, 7, v162
	v_and_b32_e32 v163, 15, v163
	v_cmp_eq_u32_e32 vcc_lo, 0, v163
	s_delay_alu instid0(VALU_DEP_3) | instskip(SKIP_1) | instid1(VALU_DEP_2)
	v_dual_cndmask_b32 v160, v160, v162 :: v_dual_cndmask_b32 v161, v163, v161
	v_and_b32_e32 v162, 0x80000000, v164
	v_lshlrev_b32_e32 v160, 20, v160
	s_delay_alu instid0(VALU_DEP_3) | instskip(NEXT) | instid1(VALU_DEP_1)
	v_lshl_add_u32 v161, v161, 23, 0x3b800000
	v_or3_b32 v160, v162, v161, v160
.LBB2_4051:                             ;   in Loop: Header=BB2_3955 Depth=3
	s_or_b32 exec_lo, exec_lo, s31
	s_delay_alu instid0(VALU_DEP_1) | instskip(SKIP_1) | instid1(VALU_DEP_1)
	v_dual_max_f32 v160, v160, v160 :: v_dual_max_f32 v151, v151, v151
	s_mov_b32 s13, 0
	v_max_f32_e32 v151, v151, v160
	s_branch .LBB2_4053
.LBB2_4052:                             ;   in Loop: Header=BB2_3955 Depth=3
	s_mov_b32 s13, -1
                                        ; implicit-def: $vgpr151
.LBB2_4053:                             ;   in Loop: Header=BB2_3955 Depth=3
	s_delay_alu instid0(SALU_CYCLE_1)
	s_and_b32 vcc_lo, exec_lo, s13
	s_cbranch_vccz .LBB2_4063
; %bb.4054:                             ;   in Loop: Header=BB2_3955 Depth=3
	v_and_b32_e32 v160, 0xff, v150
	s_mov_b32 s13, 0
	s_mov_b32 s34, exec_lo
                                        ; implicit-def: $sgpr31
	s_delay_alu instid0(VALU_DEP_1)
	v_cmpx_lt_i16_e64 0x7f, v160
	s_xor_b32 s34, exec_lo, s34
	s_cbranch_execnz .LBB2_4241
; %bb.4055:                             ;   in Loop: Header=BB2_3955 Depth=3
	s_or_saveexec_b32 s34, s34
	v_mov_b32_e32 v151, s31
	s_xor_b32 exec_lo, exec_lo, s34
	s_cbranch_execnz .LBB2_4244
.LBB2_4056:                             ;   in Loop: Header=BB2_3955 Depth=3
	s_or_b32 exec_lo, exec_lo, s34
	s_and_saveexec_b32 s31, s13
	s_cbranch_execz .LBB2_4058
.LBB2_4057:                             ;   in Loop: Header=BB2_3955 Depth=3
	v_lshrrev_b16 v162, 3, v150
	s_delay_alu instid0(VALU_DEP_1) | instskip(NEXT) | instid1(VALU_DEP_1)
	v_and_b32_e32 v162, 15, v162
	v_cmp_eq_u32_e32 vcc_lo, 0, v162
	v_and_b32_e32 v151, 7, v150
	s_delay_alu instid0(VALU_DEP_1) | instskip(NEXT) | instid1(VALU_DEP_1)
	v_clz_i32_u32_e32 v160, v151
	v_min_u32_e32 v160, 32, v160
	s_delay_alu instid0(VALU_DEP_1) | instskip(SKIP_1) | instid1(VALU_DEP_1)
	v_subrev_nc_u32_e32 v161, 28, v160
	v_sub_nc_u32_e32 v160, 29, v160
	v_dual_cndmask_b32 v160, v162, v160 :: v_dual_lshlrev_b32 v161, v161, v150
	v_lshlrev_b32_e32 v150, 24, v150
	s_delay_alu instid0(VALU_DEP_2) | instskip(NEXT) | instid1(VALU_DEP_3)
	v_and_b32_e32 v161, 7, v161
	v_lshl_add_u32 v160, v160, 23, 0x3b800000
	s_delay_alu instid0(VALU_DEP_2) | instskip(NEXT) | instid1(VALU_DEP_1)
	v_dual_cndmask_b32 v151, v151, v161 :: v_dual_and_b32 v150, 0x80000000, v150
	v_lshlrev_b32_e32 v151, 20, v151
	s_delay_alu instid0(VALU_DEP_1)
	v_or3_b32 v151, v150, v160, v151
.LBB2_4058:                             ;   in Loop: Header=BB2_3955 Depth=3
	s_or_b32 exec_lo, exec_lo, s31
	s_waitcnt vmcnt(4) lgkmcnt(4)
	v_and_b32_e32 v160, 0xff, v149
	s_mov_b32 s13, 0
	s_mov_b32 s34, exec_lo
                                        ; implicit-def: $sgpr31
	s_delay_alu instid0(VALU_DEP_1)
	v_cmpx_lt_i16_e64 0x7f, v160
	s_xor_b32 s34, exec_lo, s34
	s_cbranch_execnz .LBB2_4245
; %bb.4059:                             ;   in Loop: Header=BB2_3955 Depth=3
	s_or_saveexec_b32 s34, s34
	v_mov_b32_e32 v150, s31
	s_xor_b32 exec_lo, exec_lo, s34
	s_cbranch_execnz .LBB2_4248
.LBB2_4060:                             ;   in Loop: Header=BB2_3955 Depth=3
	s_or_b32 exec_lo, exec_lo, s34
	s_and_saveexec_b32 s31, s13
	s_cbranch_execz .LBB2_4062
.LBB2_4061:                             ;   in Loop: Header=BB2_3955 Depth=3
	v_and_b32_e32 v150, 7, v149
	v_lshrrev_b16 v162, 3, v149
	s_delay_alu instid0(VALU_DEP_2) | instskip(NEXT) | instid1(VALU_DEP_2)
	v_clz_i32_u32_e32 v160, v150
	v_and_b32_e32 v162, 15, v162
	s_delay_alu instid0(VALU_DEP_2) | instskip(NEXT) | instid1(VALU_DEP_2)
	v_min_u32_e32 v160, 32, v160
	v_cmp_eq_u32_e32 vcc_lo, 0, v162
	s_delay_alu instid0(VALU_DEP_2) | instskip(SKIP_1) | instid1(VALU_DEP_1)
	v_subrev_nc_u32_e32 v161, 28, v160
	v_sub_nc_u32_e32 v160, 29, v160
	v_dual_cndmask_b32 v160, v162, v160 :: v_dual_lshlrev_b32 v161, v161, v149
	v_lshlrev_b32_e32 v149, 24, v149
	s_delay_alu instid0(VALU_DEP_2) | instskip(NEXT) | instid1(VALU_DEP_3)
	v_and_b32_e32 v161, 7, v161
	v_lshl_add_u32 v160, v160, 23, 0x3b800000
	s_delay_alu instid0(VALU_DEP_3) | instskip(NEXT) | instid1(VALU_DEP_3)
	v_and_b32_e32 v149, 0x80000000, v149
	v_cndmask_b32_e32 v150, v150, v161, vcc_lo
	s_delay_alu instid0(VALU_DEP_1) | instskip(NEXT) | instid1(VALU_DEP_1)
	v_lshlrev_b32_e32 v150, 20, v150
	v_or3_b32 v150, v149, v160, v150
.LBB2_4062:                             ;   in Loop: Header=BB2_3955 Depth=3
	s_or_b32 exec_lo, exec_lo, s31
	s_delay_alu instid0(VALU_DEP_1) | instskip(NEXT) | instid1(VALU_DEP_1)
	v_dual_max_f32 v149, v150, v150 :: v_dual_max_f32 v150, v151, v151
	v_min_f32_e32 v151, v150, v149
.LBB2_4063:                             ;   in Loop: Header=BB2_3955 Depth=3
	s_waitcnt vmcnt(4) lgkmcnt(4)
	s_delay_alu instid0(VALU_DEP_1) | instskip(NEXT) | instid1(VALU_DEP_1)
	v_and_b32_e32 v149, 0x7f800000, v151
	v_cmp_ne_u32_e32 vcc_lo, 0x7f800000, v149
	v_mov_b32_e32 v149, 0x80
	s_and_saveexec_b32 s31, vcc_lo
	s_cbranch_execz .LBB2_4071
; %bb.4064:                             ;   in Loop: Header=BB2_3955 Depth=3
	v_mov_b32_e32 v149, 0
	s_mov_b32 s34, exec_lo
	v_cmpx_ne_u32_e32 0, v151
	s_cbranch_execz .LBB2_4070
; %bb.4065:                             ;   in Loop: Header=BB2_3955 Depth=3
	v_bfe_u32 v149, v151, 23, 8
	v_and_b32_e32 v150, 0x7fffff, v151
	s_delay_alu instid0(VALU_DEP_2) | instskip(SKIP_1) | instid1(VALU_DEP_3)
	v_sub_nc_u32_e32 v160, 0x78, v149
	v_cmp_gt_u32_e32 vcc_lo, 0x79, v149
	v_or_b32_e32 v161, 0x800000, v150
	s_delay_alu instid0(VALU_DEP_3) | instskip(SKIP_2) | instid1(VALU_DEP_3)
	v_cndmask_b32_e32 v160, 0, v160, vcc_lo
	v_cmp_eq_u32_e32 vcc_lo, 0, v149
	v_add_nc_u32_e32 v149, 0xffffff89, v149
	v_cndmask_b32_e64 v160, v160, 0x77, vcc_lo
	v_cndmask_b32_e32 v150, v161, v150, vcc_lo
	s_delay_alu instid0(VALU_DEP_3) | instskip(NEXT) | instid1(VALU_DEP_3)
	v_cndmask_b32_e64 v149, v149, 0xffffff8a, vcc_lo
	v_lshl_add_u32 v161, 0x100000, v160, -1
	s_delay_alu instid0(VALU_DEP_3) | instskip(SKIP_1) | instid1(VALU_DEP_4)
	v_lshrrev_b32_e32 v162, v160, v150
	v_lshlrev_b32_e64 v164, v160, 0x80000
	v_add_nc_u32_e32 v160, v160, v149
	s_delay_alu instid0(VALU_DEP_4) | instskip(NEXT) | instid1(VALU_DEP_4)
	v_and_b32_e32 v150, v161, v150
	v_bfe_u32 v163, v162, 20, 1
	s_delay_alu instid0(VALU_DEP_2) | instskip(NEXT) | instid1(VALU_DEP_2)
	v_cmp_eq_u32_e64 s13, v150, v164
	v_add_nc_u32_e32 v161, -1, v163
	s_delay_alu instid0(VALU_DEP_1) | instskip(SKIP_2) | instid1(VALU_DEP_2)
	v_cndmask_b32_e64 v150, 0, v161, s13
	v_lshrrev_b32_e32 v161, 23, v162
	s_mov_b32 s13, exec_lo
	v_add_nc_u32_e32 v150, v150, v162
	s_delay_alu instid0(VALU_DEP_2) | instskip(NEXT) | instid1(VALU_DEP_2)
	v_xor_b32_e32 v161, 1, v161
	v_and_b32_e32 v149, 0xfffff, v150
	s_delay_alu instid0(VALU_DEP_1) | instskip(NEXT) | instid1(VALU_DEP_3)
	v_add_nc_u32_e32 v150, v149, v162
                                        ; implicit-def: $vgpr149
	v_cmpx_ne_u32_e64 v160, v161
	s_xor_b32 s13, exec_lo, s13
; %bb.4066:                             ;   in Loop: Header=BB2_3955 Depth=3
	s_delay_alu instid0(VALU_DEP_2) | instskip(SKIP_2) | instid1(VALU_DEP_2)
	v_cmp_lt_u32_e32 vcc_lo, 0xffffff, v150
	v_sub_nc_u32_e32 v149, v160, v161
	v_cndmask_b32_e64 v160, 0, 1, vcc_lo
	v_add_co_ci_u32_e32 v149, vcc_lo, 0, v149, vcc_lo
	s_delay_alu instid0(VALU_DEP_2)
	v_lshrrev_b32_e32 v150, v160, v150
; %bb.4067:                             ;   in Loop: Header=BB2_3955 Depth=3
	s_and_not1_saveexec_b32 s13, s13
; %bb.4068:                             ;   in Loop: Header=BB2_3955 Depth=3
	s_delay_alu instid0(VALU_DEP_1)
	v_bfe_u32 v149, v150, 23, 1
; %bb.4069:                             ;   in Loop: Header=BB2_3955 Depth=3
	s_or_b32 exec_lo, exec_lo, s13
	v_lshrrev_b32_e32 v150, 20, v150
	s_delay_alu instid0(VALU_DEP_2) | instskip(SKIP_2) | instid1(VALU_DEP_2)
	v_cmp_gt_i32_e32 vcc_lo, 16, v149
	v_lshrrev_b32_e32 v151, 24, v151
	v_min_i32_e32 v160, 15, v149
	v_dual_cndmask_b32 v150, 7, v150 :: v_dual_and_b32 v151, 0x80, v151
	s_delay_alu instid0(VALU_DEP_1) | instskip(SKIP_1) | instid1(VALU_DEP_2)
	v_or_b32_e32 v149, v149, v150
	v_and_b32_e32 v161, 7, v150
	v_cmp_ne_u32_e32 vcc_lo, 0, v149
	v_lshlrev_b32_e32 v160, 3, v160
	s_delay_alu instid0(VALU_DEP_1) | instskip(NEXT) | instid1(VALU_DEP_1)
	v_or3_b32 v150, v160, v151, v161
	v_cndmask_b32_e32 v149, 0, v150, vcc_lo
.LBB2_4070:                             ;   in Loop: Header=BB2_3955 Depth=3
	s_or_b32 exec_lo, exec_lo, s34
.LBB2_4071:                             ;   in Loop: Header=BB2_3955 Depth=3
	s_delay_alu instid0(SALU_CYCLE_1) | instskip(NEXT) | instid1(SALU_CYCLE_1)
	s_or_b32 exec_lo, exec_lo, s31
	s_and_not1_b32 vcc_lo, exec_lo, s17
	s_cbranch_vccnz .LBB2_4081
; %bb.4072:                             ;   in Loop: Header=BB2_3955 Depth=3
	v_and_b32_e32 v151, 0xff, v148
	s_mov_b32 s13, 0
	s_mov_b32 s34, exec_lo
                                        ; implicit-def: $sgpr31
	s_delay_alu instid0(VALU_DEP_1)
	v_cmpx_lt_i16_e64 0x7f, v151
	s_xor_b32 s34, exec_lo, s34
	s_cbranch_execnz .LBB2_4249
; %bb.4073:                             ;   in Loop: Header=BB2_3955 Depth=3
	s_or_saveexec_b32 s34, s34
	v_mov_b32_e32 v150, s31
	s_xor_b32 exec_lo, exec_lo, s34
	s_cbranch_execnz .LBB2_4252
.LBB2_4074:                             ;   in Loop: Header=BB2_3955 Depth=3
	s_or_b32 exec_lo, exec_lo, s34
	s_and_saveexec_b32 s31, s13
	s_cbranch_execz .LBB2_4076
.LBB2_4075:                             ;   in Loop: Header=BB2_3955 Depth=3
	v_lshrrev_b16 v161, 3, v148
	v_lshlrev_b32_e32 v162, 24, v148
	s_delay_alu instid0(VALU_DEP_2) | instskip(NEXT) | instid1(VALU_DEP_1)
	v_and_b32_e32 v161, 15, v161
	v_cmp_eq_u32_e32 vcc_lo, 0, v161
	v_and_b32_e32 v150, 7, v148
	s_delay_alu instid0(VALU_DEP_1) | instskip(NEXT) | instid1(VALU_DEP_1)
	v_clz_i32_u32_e32 v151, v150
	v_min_u32_e32 v151, 32, v151
	s_delay_alu instid0(VALU_DEP_1) | instskip(SKIP_1) | instid1(VALU_DEP_1)
	v_subrev_nc_u32_e32 v160, 28, v151
	v_sub_nc_u32_e32 v151, 29, v151
	v_dual_cndmask_b32 v151, v161, v151 :: v_dual_lshlrev_b32 v160, v160, v148
	s_delay_alu instid0(VALU_DEP_1) | instskip(NEXT) | instid1(VALU_DEP_2)
	v_and_b32_e32 v160, 7, v160
	v_lshl_add_u32 v151, v151, 23, 0x3b800000
	s_delay_alu instid0(VALU_DEP_2) | instskip(SKIP_1) | instid1(VALU_DEP_2)
	v_cndmask_b32_e32 v150, v150, v160, vcc_lo
	v_and_b32_e32 v160, 0x80000000, v162
	v_lshlrev_b32_e32 v150, 20, v150
	s_delay_alu instid0(VALU_DEP_1)
	v_or3_b32 v150, v160, v151, v150
.LBB2_4076:                             ;   in Loop: Header=BB2_3955 Depth=3
	s_or_b32 exec_lo, exec_lo, s31
	s_waitcnt vmcnt(3) lgkmcnt(3)
	v_and_b32_e32 v160, 0xff, v147
	s_mov_b32 s13, 0
	s_mov_b32 s34, exec_lo
                                        ; implicit-def: $sgpr31
	s_delay_alu instid0(VALU_DEP_1)
	v_cmpx_lt_i16_e64 0x7f, v160
	s_xor_b32 s34, exec_lo, s34
	s_cbranch_execnz .LBB2_4253
; %bb.4077:                             ;   in Loop: Header=BB2_3955 Depth=3
	s_or_saveexec_b32 s34, s34
	v_mov_b32_e32 v151, s31
	s_xor_b32 exec_lo, exec_lo, s34
	s_cbranch_execnz .LBB2_4256
.LBB2_4078:                             ;   in Loop: Header=BB2_3955 Depth=3
	s_or_b32 exec_lo, exec_lo, s34
	s_and_saveexec_b32 s31, s13
	s_cbranch_execz .LBB2_4080
.LBB2_4079:                             ;   in Loop: Header=BB2_3955 Depth=3
	v_lshrrev_b16 v162, 3, v147
	v_lshlrev_b32_e32 v163, 24, v147
	s_delay_alu instid0(VALU_DEP_2) | instskip(NEXT) | instid1(VALU_DEP_1)
	v_and_b32_e32 v162, 15, v162
	v_cmp_eq_u32_e32 vcc_lo, 0, v162
	v_and_b32_e32 v151, 7, v147
	s_delay_alu instid0(VALU_DEP_1) | instskip(NEXT) | instid1(VALU_DEP_1)
	v_clz_i32_u32_e32 v160, v151
	v_min_u32_e32 v160, 32, v160
	s_delay_alu instid0(VALU_DEP_1) | instskip(SKIP_1) | instid1(VALU_DEP_1)
	v_subrev_nc_u32_e32 v161, 28, v160
	v_sub_nc_u32_e32 v160, 29, v160
	v_dual_cndmask_b32 v160, v162, v160 :: v_dual_lshlrev_b32 v161, v161, v147
	s_delay_alu instid0(VALU_DEP_1) | instskip(NEXT) | instid1(VALU_DEP_2)
	v_and_b32_e32 v161, 7, v161
	v_lshl_add_u32 v160, v160, 23, 0x3b800000
	s_delay_alu instid0(VALU_DEP_2) | instskip(SKIP_1) | instid1(VALU_DEP_2)
	v_cndmask_b32_e32 v151, v151, v161, vcc_lo
	v_and_b32_e32 v161, 0x80000000, v163
	v_lshlrev_b32_e32 v151, 20, v151
	s_delay_alu instid0(VALU_DEP_1)
	v_or3_b32 v151, v161, v160, v151
.LBB2_4080:                             ;   in Loop: Header=BB2_3955 Depth=3
	s_or_b32 exec_lo, exec_lo, s31
	s_delay_alu instid0(VALU_DEP_1) | instskip(SKIP_1) | instid1(VALU_DEP_1)
	v_dual_max_f32 v151, v151, v151 :: v_dual_max_f32 v150, v150, v150
	s_mov_b32 s13, 0
	v_max_f32_e32 v150, v150, v151
	s_branch .LBB2_4082
.LBB2_4081:                             ;   in Loop: Header=BB2_3955 Depth=3
	s_mov_b32 s13, -1
                                        ; implicit-def: $vgpr150
.LBB2_4082:                             ;   in Loop: Header=BB2_3955 Depth=3
	s_delay_alu instid0(SALU_CYCLE_1)
	s_and_b32 vcc_lo, exec_lo, s13
	s_cbranch_vccz .LBB2_4092
; %bb.4083:                             ;   in Loop: Header=BB2_3955 Depth=3
	v_and_b32_e32 v151, 0xff, v148
	s_mov_b32 s13, 0
	s_mov_b32 s34, exec_lo
                                        ; implicit-def: $sgpr31
	s_delay_alu instid0(VALU_DEP_1)
	v_cmpx_lt_i16_e64 0x7f, v151
	s_xor_b32 s34, exec_lo, s34
	s_cbranch_execnz .LBB2_4257
; %bb.4084:                             ;   in Loop: Header=BB2_3955 Depth=3
	s_or_saveexec_b32 s34, s34
	v_mov_b32_e32 v150, s31
	s_xor_b32 exec_lo, exec_lo, s34
	s_cbranch_execnz .LBB2_4260
.LBB2_4085:                             ;   in Loop: Header=BB2_3955 Depth=3
	s_or_b32 exec_lo, exec_lo, s34
	s_and_saveexec_b32 s31, s13
	s_cbranch_execz .LBB2_4087
.LBB2_4086:                             ;   in Loop: Header=BB2_3955 Depth=3
	v_lshrrev_b16 v161, 3, v148
	s_delay_alu instid0(VALU_DEP_1) | instskip(NEXT) | instid1(VALU_DEP_1)
	v_and_b32_e32 v161, 15, v161
	v_cmp_eq_u32_e32 vcc_lo, 0, v161
	v_and_b32_e32 v150, 7, v148
	s_delay_alu instid0(VALU_DEP_1) | instskip(NEXT) | instid1(VALU_DEP_1)
	v_clz_i32_u32_e32 v151, v150
	v_min_u32_e32 v151, 32, v151
	s_delay_alu instid0(VALU_DEP_1) | instskip(SKIP_1) | instid1(VALU_DEP_1)
	v_subrev_nc_u32_e32 v160, 28, v151
	v_sub_nc_u32_e32 v151, 29, v151
	v_dual_cndmask_b32 v151, v161, v151 :: v_dual_lshlrev_b32 v160, v160, v148
	v_lshlrev_b32_e32 v148, 24, v148
	s_delay_alu instid0(VALU_DEP_2) | instskip(NEXT) | instid1(VALU_DEP_3)
	v_and_b32_e32 v160, 7, v160
	v_lshl_add_u32 v151, v151, 23, 0x3b800000
	s_delay_alu instid0(VALU_DEP_3) | instskip(NEXT) | instid1(VALU_DEP_3)
	v_and_b32_e32 v148, 0x80000000, v148
	v_cndmask_b32_e32 v150, v150, v160, vcc_lo
	s_delay_alu instid0(VALU_DEP_1) | instskip(NEXT) | instid1(VALU_DEP_1)
	v_lshlrev_b32_e32 v150, 20, v150
	v_or3_b32 v150, v148, v151, v150
.LBB2_4087:                             ;   in Loop: Header=BB2_3955 Depth=3
	s_or_b32 exec_lo, exec_lo, s31
	s_waitcnt vmcnt(3) lgkmcnt(3)
	v_and_b32_e32 v151, 0xff, v147
	s_mov_b32 s13, 0
	s_mov_b32 s34, exec_lo
                                        ; implicit-def: $sgpr31
	s_delay_alu instid0(VALU_DEP_1)
	v_cmpx_lt_i16_e64 0x7f, v151
	s_xor_b32 s34, exec_lo, s34
	s_cbranch_execnz .LBB2_4261
; %bb.4088:                             ;   in Loop: Header=BB2_3955 Depth=3
	s_or_saveexec_b32 s34, s34
	v_mov_b32_e32 v148, s31
	s_xor_b32 exec_lo, exec_lo, s34
	s_cbranch_execnz .LBB2_4264
.LBB2_4089:                             ;   in Loop: Header=BB2_3955 Depth=3
	s_or_b32 exec_lo, exec_lo, s34
	s_and_saveexec_b32 s31, s13
	s_cbranch_execz .LBB2_4091
.LBB2_4090:                             ;   in Loop: Header=BB2_3955 Depth=3
	v_and_b32_e32 v148, 7, v147
	v_lshrrev_b16 v161, 3, v147
	s_delay_alu instid0(VALU_DEP_2) | instskip(NEXT) | instid1(VALU_DEP_1)
	v_clz_i32_u32_e32 v151, v148
	v_min_u32_e32 v151, 32, v151
	s_delay_alu instid0(VALU_DEP_1) | instskip(SKIP_1) | instid1(VALU_DEP_2)
	v_subrev_nc_u32_e32 v160, 28, v151
	v_sub_nc_u32_e32 v151, 29, v151
	v_lshlrev_b32_e32 v160, v160, v147
	v_lshlrev_b32_e32 v147, 24, v147
	s_delay_alu instid0(VALU_DEP_2) | instskip(SKIP_1) | instid1(VALU_DEP_3)
	v_and_b32_e32 v160, 7, v160
	v_and_b32_e32 v161, 15, v161
	;; [unrolled: 1-line block ×3, first 2 shown]
	s_delay_alu instid0(VALU_DEP_2) | instskip(NEXT) | instid1(VALU_DEP_4)
	v_cmp_eq_u32_e32 vcc_lo, 0, v161
	v_dual_cndmask_b32 v148, v148, v160 :: v_dual_cndmask_b32 v151, v161, v151
	s_delay_alu instid0(VALU_DEP_1) | instskip(NEXT) | instid1(VALU_DEP_2)
	v_lshlrev_b32_e32 v148, 20, v148
	v_lshl_add_u32 v151, v151, 23, 0x3b800000
	s_delay_alu instid0(VALU_DEP_1)
	v_or3_b32 v148, v147, v151, v148
.LBB2_4091:                             ;   in Loop: Header=BB2_3955 Depth=3
	s_or_b32 exec_lo, exec_lo, s31
	s_delay_alu instid0(VALU_DEP_1) | instskip(NEXT) | instid1(VALU_DEP_1)
	v_dual_max_f32 v147, v148, v148 :: v_dual_max_f32 v148, v150, v150
	v_min_f32_e32 v150, v148, v147
.LBB2_4092:                             ;   in Loop: Header=BB2_3955 Depth=3
	s_waitcnt vmcnt(3) lgkmcnt(3)
	s_delay_alu instid0(VALU_DEP_1) | instskip(NEXT) | instid1(VALU_DEP_1)
	v_and_b32_e32 v147, 0x7f800000, v150
	v_cmp_ne_u32_e32 vcc_lo, 0x7f800000, v147
	v_mov_b32_e32 v147, 0x80
	s_and_saveexec_b32 s31, vcc_lo
	s_cbranch_execz .LBB2_4100
; %bb.4093:                             ;   in Loop: Header=BB2_3955 Depth=3
	v_mov_b32_e32 v147, 0
	s_mov_b32 s34, exec_lo
	v_cmpx_ne_u32_e32 0, v150
	s_cbranch_execz .LBB2_4099
; %bb.4094:                             ;   in Loop: Header=BB2_3955 Depth=3
	v_bfe_u32 v147, v150, 23, 8
	s_delay_alu instid0(VALU_DEP_1) | instskip(SKIP_1) | instid1(VALU_DEP_2)
	v_sub_nc_u32_e32 v151, 0x78, v147
	v_cmp_gt_u32_e32 vcc_lo, 0x79, v147
	v_dual_cndmask_b32 v151, 0, v151 :: v_dual_and_b32 v148, 0x7fffff, v150
	s_delay_alu instid0(VALU_DEP_1) | instskip(SKIP_2) | instid1(VALU_DEP_4)
	v_or_b32_e32 v160, 0x800000, v148
	v_cmp_eq_u32_e32 vcc_lo, 0, v147
	v_add_nc_u32_e32 v147, 0xffffff89, v147
	v_cndmask_b32_e64 v151, v151, 0x77, vcc_lo
	s_delay_alu instid0(VALU_DEP_4) | instskip(NEXT) | instid1(VALU_DEP_3)
	v_cndmask_b32_e32 v148, v160, v148, vcc_lo
	v_cndmask_b32_e64 v147, v147, 0xffffff8a, vcc_lo
	s_delay_alu instid0(VALU_DEP_3) | instskip(NEXT) | instid1(VALU_DEP_3)
	v_lshl_add_u32 v160, 0x100000, v151, -1
	v_lshrrev_b32_e32 v161, v151, v148
	v_lshlrev_b32_e64 v163, v151, 0x80000
	s_delay_alu instid0(VALU_DEP_4) | instskip(NEXT) | instid1(VALU_DEP_4)
	v_add_nc_u32_e32 v151, v151, v147
	v_and_b32_e32 v148, v160, v148
	s_delay_alu instid0(VALU_DEP_4) | instskip(NEXT) | instid1(VALU_DEP_2)
	v_bfe_u32 v162, v161, 20, 1
	v_cmp_eq_u32_e64 s13, v148, v163
	s_delay_alu instid0(VALU_DEP_2) | instskip(NEXT) | instid1(VALU_DEP_1)
	v_add_nc_u32_e32 v160, -1, v162
	v_cndmask_b32_e64 v148, 0, v160, s13
	v_lshrrev_b32_e32 v160, 23, v161
	s_mov_b32 s13, exec_lo
	s_delay_alu instid0(VALU_DEP_2) | instskip(NEXT) | instid1(VALU_DEP_2)
	v_add_nc_u32_e32 v148, v148, v161
	v_xor_b32_e32 v160, 1, v160
	s_delay_alu instid0(VALU_DEP_2) | instskip(NEXT) | instid1(VALU_DEP_1)
	v_and_b32_e32 v147, 0xfffff, v148
	v_add_nc_u32_e32 v148, v147, v161
                                        ; implicit-def: $vgpr147
	s_delay_alu instid0(VALU_DEP_3)
	v_cmpx_ne_u32_e64 v151, v160
	s_xor_b32 s13, exec_lo, s13
; %bb.4095:                             ;   in Loop: Header=BB2_3955 Depth=3
	s_delay_alu instid0(VALU_DEP_2) | instskip(SKIP_2) | instid1(VALU_DEP_2)
	v_cmp_lt_u32_e32 vcc_lo, 0xffffff, v148
	v_sub_nc_u32_e32 v147, v151, v160
	v_cndmask_b32_e64 v151, 0, 1, vcc_lo
	v_add_co_ci_u32_e32 v147, vcc_lo, 0, v147, vcc_lo
	s_delay_alu instid0(VALU_DEP_2)
	v_lshrrev_b32_e32 v148, v151, v148
; %bb.4096:                             ;   in Loop: Header=BB2_3955 Depth=3
	s_and_not1_saveexec_b32 s13, s13
; %bb.4097:                             ;   in Loop: Header=BB2_3955 Depth=3
	s_delay_alu instid0(VALU_DEP_1)
	v_bfe_u32 v147, v148, 23, 1
; %bb.4098:                             ;   in Loop: Header=BB2_3955 Depth=3
	s_or_b32 exec_lo, exec_lo, s13
	v_lshrrev_b32_e32 v148, 20, v148
	s_delay_alu instid0(VALU_DEP_2) | instskip(SKIP_2) | instid1(VALU_DEP_2)
	v_cmp_gt_i32_e32 vcc_lo, 16, v147
	v_min_i32_e32 v151, 15, v147
	v_lshrrev_b32_e32 v150, 24, v150
	v_dual_cndmask_b32 v148, 7, v148 :: v_dual_lshlrev_b32 v151, 3, v151
	s_delay_alu instid0(VALU_DEP_1) | instskip(SKIP_1) | instid1(VALU_DEP_2)
	v_or_b32_e32 v147, v147, v148
	v_and_b32_e32 v160, 7, v148
	v_cmp_ne_u32_e32 vcc_lo, 0, v147
	v_and_b32_e32 v150, 0x80, v150
	s_delay_alu instid0(VALU_DEP_1) | instskip(NEXT) | instid1(VALU_DEP_1)
	v_or3_b32 v148, v151, v150, v160
	v_cndmask_b32_e32 v147, 0, v148, vcc_lo
.LBB2_4099:                             ;   in Loop: Header=BB2_3955 Depth=3
	s_or_b32 exec_lo, exec_lo, s34
.LBB2_4100:                             ;   in Loop: Header=BB2_3955 Depth=3
	s_delay_alu instid0(SALU_CYCLE_1) | instskip(NEXT) | instid1(SALU_CYCLE_1)
	s_or_b32 exec_lo, exec_lo, s31
	s_and_not1_b32 vcc_lo, exec_lo, s17
	s_cbranch_vccnz .LBB2_4110
; %bb.4101:                             ;   in Loop: Header=BB2_3955 Depth=3
	v_and_b32_e32 v150, 0xff, v145
	s_mov_b32 s13, 0
	s_mov_b32 s34, exec_lo
                                        ; implicit-def: $sgpr31
	s_delay_alu instid0(VALU_DEP_1)
	v_cmpx_lt_i16_e64 0x7f, v150
	s_xor_b32 s34, exec_lo, s34
	s_cbranch_execnz .LBB2_4265
; %bb.4102:                             ;   in Loop: Header=BB2_3955 Depth=3
	s_or_saveexec_b32 s34, s34
	v_mov_b32_e32 v148, s31
	s_xor_b32 exec_lo, exec_lo, s34
	s_cbranch_execnz .LBB2_4268
.LBB2_4103:                             ;   in Loop: Header=BB2_3955 Depth=3
	s_or_b32 exec_lo, exec_lo, s34
	s_and_saveexec_b32 s31, s13
	s_cbranch_execz .LBB2_4105
.LBB2_4104:                             ;   in Loop: Header=BB2_3955 Depth=3
	v_and_b32_e32 v148, 7, v145
	v_lshrrev_b16 v160, 3, v145
	s_delay_alu instid0(VALU_DEP_2) | instskip(NEXT) | instid1(VALU_DEP_2)
	v_clz_i32_u32_e32 v150, v148
	v_and_b32_e32 v160, 15, v160
	s_delay_alu instid0(VALU_DEP_2) | instskip(NEXT) | instid1(VALU_DEP_2)
	v_min_u32_e32 v150, 32, v150
	v_cmp_eq_u32_e32 vcc_lo, 0, v160
	s_delay_alu instid0(VALU_DEP_2) | instskip(SKIP_1) | instid1(VALU_DEP_1)
	v_subrev_nc_u32_e32 v151, 28, v150
	v_sub_nc_u32_e32 v150, 29, v150
	v_dual_cndmask_b32 v150, v160, v150 :: v_dual_lshlrev_b32 v151, v151, v145
	s_delay_alu instid0(VALU_DEP_1) | instskip(SKIP_1) | instid1(VALU_DEP_3)
	v_and_b32_e32 v151, 7, v151
	v_lshlrev_b32_e32 v161, 24, v145
	v_lshl_add_u32 v150, v150, 23, 0x3b800000
	s_delay_alu instid0(VALU_DEP_2) | instskip(NEXT) | instid1(VALU_DEP_1)
	v_dual_cndmask_b32 v148, v148, v151 :: v_dual_and_b32 v151, 0x80000000, v161
	v_lshlrev_b32_e32 v148, 20, v148
	s_delay_alu instid0(VALU_DEP_1)
	v_or3_b32 v148, v151, v150, v148
.LBB2_4105:                             ;   in Loop: Header=BB2_3955 Depth=3
	s_or_b32 exec_lo, exec_lo, s31
	s_waitcnt vmcnt(2) lgkmcnt(2)
	v_and_b32_e32 v151, 0xff, v144
	s_mov_b32 s13, 0
	s_mov_b32 s34, exec_lo
                                        ; implicit-def: $sgpr31
	s_delay_alu instid0(VALU_DEP_1)
	v_cmpx_lt_i16_e64 0x7f, v151
	s_xor_b32 s34, exec_lo, s34
	s_cbranch_execnz .LBB2_4269
; %bb.4106:                             ;   in Loop: Header=BB2_3955 Depth=3
	s_or_saveexec_b32 s34, s34
	v_mov_b32_e32 v150, s31
	s_xor_b32 exec_lo, exec_lo, s34
	s_cbranch_execnz .LBB2_4272
.LBB2_4107:                             ;   in Loop: Header=BB2_3955 Depth=3
	s_or_b32 exec_lo, exec_lo, s34
	s_and_saveexec_b32 s31, s13
	s_cbranch_execz .LBB2_4109
.LBB2_4108:                             ;   in Loop: Header=BB2_3955 Depth=3
	v_lshrrev_b16 v161, 3, v144
	v_lshlrev_b32_e32 v162, 24, v144
	s_delay_alu instid0(VALU_DEP_2) | instskip(NEXT) | instid1(VALU_DEP_1)
	v_and_b32_e32 v161, 15, v161
	v_cmp_eq_u32_e32 vcc_lo, 0, v161
	v_and_b32_e32 v150, 7, v144
	s_delay_alu instid0(VALU_DEP_1) | instskip(NEXT) | instid1(VALU_DEP_1)
	v_clz_i32_u32_e32 v151, v150
	v_min_u32_e32 v151, 32, v151
	s_delay_alu instid0(VALU_DEP_1) | instskip(SKIP_1) | instid1(VALU_DEP_1)
	v_subrev_nc_u32_e32 v160, 28, v151
	v_sub_nc_u32_e32 v151, 29, v151
	v_dual_cndmask_b32 v151, v161, v151 :: v_dual_lshlrev_b32 v160, v160, v144
	s_delay_alu instid0(VALU_DEP_1) | instskip(NEXT) | instid1(VALU_DEP_2)
	v_and_b32_e32 v160, 7, v160
	v_lshl_add_u32 v151, v151, 23, 0x3b800000
	s_delay_alu instid0(VALU_DEP_2) | instskip(SKIP_1) | instid1(VALU_DEP_2)
	v_cndmask_b32_e32 v150, v150, v160, vcc_lo
	v_and_b32_e32 v160, 0x80000000, v162
	v_lshlrev_b32_e32 v150, 20, v150
	s_delay_alu instid0(VALU_DEP_1)
	v_or3_b32 v150, v160, v151, v150
.LBB2_4109:                             ;   in Loop: Header=BB2_3955 Depth=3
	s_or_b32 exec_lo, exec_lo, s31
	s_delay_alu instid0(VALU_DEP_1) | instskip(SKIP_2) | instid1(VALU_DEP_1)
	v_max_f32_e32 v150, v150, v150
	v_max_f32_e32 v148, v148, v148
	s_mov_b32 s13, 0
	v_max_f32_e32 v148, v148, v150
	s_branch .LBB2_4111
.LBB2_4110:                             ;   in Loop: Header=BB2_3955 Depth=3
	s_mov_b32 s13, -1
                                        ; implicit-def: $vgpr148
.LBB2_4111:                             ;   in Loop: Header=BB2_3955 Depth=3
	s_delay_alu instid0(SALU_CYCLE_1)
	s_and_b32 vcc_lo, exec_lo, s13
	s_cbranch_vccz .LBB2_4121
; %bb.4112:                             ;   in Loop: Header=BB2_3955 Depth=3
	v_and_b32_e32 v150, 0xff, v145
	s_mov_b32 s13, 0
	s_mov_b32 s34, exec_lo
                                        ; implicit-def: $sgpr31
	s_delay_alu instid0(VALU_DEP_1)
	v_cmpx_lt_i16_e64 0x7f, v150
	s_xor_b32 s34, exec_lo, s34
	s_cbranch_execnz .LBB2_4273
; %bb.4113:                             ;   in Loop: Header=BB2_3955 Depth=3
	s_or_saveexec_b32 s34, s34
	v_mov_b32_e32 v148, s31
	s_xor_b32 exec_lo, exec_lo, s34
	s_cbranch_execnz .LBB2_4276
.LBB2_4114:                             ;   in Loop: Header=BB2_3955 Depth=3
	s_or_b32 exec_lo, exec_lo, s34
	s_and_saveexec_b32 s31, s13
	s_cbranch_execz .LBB2_4116
.LBB2_4115:                             ;   in Loop: Header=BB2_3955 Depth=3
	v_and_b32_e32 v148, 7, v145
	v_lshrrev_b16 v160, 3, v145
	s_delay_alu instid0(VALU_DEP_2) | instskip(NEXT) | instid1(VALU_DEP_2)
	v_clz_i32_u32_e32 v150, v148
	v_and_b32_e32 v160, 15, v160
	s_delay_alu instid0(VALU_DEP_2) | instskip(NEXT) | instid1(VALU_DEP_2)
	v_min_u32_e32 v150, 32, v150
	v_cmp_eq_u32_e32 vcc_lo, 0, v160
	s_delay_alu instid0(VALU_DEP_2) | instskip(SKIP_1) | instid1(VALU_DEP_1)
	v_subrev_nc_u32_e32 v151, 28, v150
	v_sub_nc_u32_e32 v150, 29, v150
	v_dual_cndmask_b32 v150, v160, v150 :: v_dual_lshlrev_b32 v151, v151, v145
	s_delay_alu instid0(VALU_DEP_1) | instskip(SKIP_1) | instid1(VALU_DEP_3)
	v_and_b32_e32 v151, 7, v151
	v_lshlrev_b32_e32 v145, 24, v145
	v_lshl_add_u32 v150, v150, 23, 0x3b800000
	s_delay_alu instid0(VALU_DEP_2) | instskip(NEXT) | instid1(VALU_DEP_1)
	v_dual_cndmask_b32 v148, v148, v151 :: v_dual_and_b32 v145, 0x80000000, v145
	v_lshlrev_b32_e32 v148, 20, v148
	s_delay_alu instid0(VALU_DEP_1)
	v_or3_b32 v148, v145, v150, v148
.LBB2_4116:                             ;   in Loop: Header=BB2_3955 Depth=3
	s_or_b32 exec_lo, exec_lo, s31
	s_waitcnt vmcnt(2) lgkmcnt(2)
	v_and_b32_e32 v150, 0xff, v144
	s_mov_b32 s13, 0
	s_mov_b32 s34, exec_lo
                                        ; implicit-def: $sgpr31
	s_delay_alu instid0(VALU_DEP_1)
	v_cmpx_lt_i16_e64 0x7f, v150
	s_xor_b32 s34, exec_lo, s34
	s_cbranch_execnz .LBB2_4277
; %bb.4117:                             ;   in Loop: Header=BB2_3955 Depth=3
	s_or_saveexec_b32 s34, s34
	v_mov_b32_e32 v145, s31
	s_xor_b32 exec_lo, exec_lo, s34
	s_cbranch_execnz .LBB2_4280
.LBB2_4118:                             ;   in Loop: Header=BB2_3955 Depth=3
	s_or_b32 exec_lo, exec_lo, s34
	s_and_saveexec_b32 s31, s13
	s_cbranch_execz .LBB2_4120
.LBB2_4119:                             ;   in Loop: Header=BB2_3955 Depth=3
	v_lshrrev_b16 v160, 3, v144
	s_delay_alu instid0(VALU_DEP_1) | instskip(NEXT) | instid1(VALU_DEP_1)
	v_and_b32_e32 v160, 15, v160
	v_cmp_eq_u32_e32 vcc_lo, 0, v160
	v_and_b32_e32 v145, 7, v144
	s_delay_alu instid0(VALU_DEP_1) | instskip(NEXT) | instid1(VALU_DEP_1)
	v_clz_i32_u32_e32 v150, v145
	v_min_u32_e32 v150, 32, v150
	s_delay_alu instid0(VALU_DEP_1) | instskip(SKIP_1) | instid1(VALU_DEP_1)
	v_subrev_nc_u32_e32 v151, 28, v150
	v_sub_nc_u32_e32 v150, 29, v150
	v_dual_cndmask_b32 v150, v160, v150 :: v_dual_lshlrev_b32 v151, v151, v144
	v_lshlrev_b32_e32 v144, 24, v144
	s_delay_alu instid0(VALU_DEP_2) | instskip(NEXT) | instid1(VALU_DEP_3)
	v_and_b32_e32 v151, 7, v151
	v_lshl_add_u32 v150, v150, 23, 0x3b800000
	s_delay_alu instid0(VALU_DEP_2) | instskip(NEXT) | instid1(VALU_DEP_1)
	v_dual_cndmask_b32 v145, v145, v151 :: v_dual_and_b32 v144, 0x80000000, v144
	v_lshlrev_b32_e32 v145, 20, v145
	s_delay_alu instid0(VALU_DEP_1)
	v_or3_b32 v145, v144, v150, v145
.LBB2_4120:                             ;   in Loop: Header=BB2_3955 Depth=3
	s_or_b32 exec_lo, exec_lo, s31
	s_delay_alu instid0(VALU_DEP_1) | instskip(NEXT) | instid1(VALU_DEP_1)
	v_dual_max_f32 v144, v145, v145 :: v_dual_max_f32 v145, v148, v148
	v_min_f32_e32 v148, v145, v144
.LBB2_4121:                             ;   in Loop: Header=BB2_3955 Depth=3
	s_waitcnt vmcnt(2) lgkmcnt(2)
	s_delay_alu instid0(VALU_DEP_1) | instskip(NEXT) | instid1(VALU_DEP_1)
	v_and_b32_e32 v144, 0x7f800000, v148
	v_cmp_ne_u32_e32 vcc_lo, 0x7f800000, v144
	v_mov_b32_e32 v144, 0x80
	s_and_saveexec_b32 s31, vcc_lo
	s_cbranch_execz .LBB2_4129
; %bb.4122:                             ;   in Loop: Header=BB2_3955 Depth=3
	v_mov_b32_e32 v144, 0
	s_mov_b32 s34, exec_lo
	v_cmpx_ne_u32_e32 0, v148
	s_cbranch_execz .LBB2_4128
; %bb.4123:                             ;   in Loop: Header=BB2_3955 Depth=3
	v_bfe_u32 v144, v148, 23, 8
	s_delay_alu instid0(VALU_DEP_1) | instskip(SKIP_1) | instid1(VALU_DEP_2)
	v_sub_nc_u32_e32 v150, 0x78, v144
	v_cmp_gt_u32_e32 vcc_lo, 0x79, v144
	v_dual_cndmask_b32 v150, 0, v150 :: v_dual_and_b32 v145, 0x7fffff, v148
	s_delay_alu instid0(VALU_DEP_1) | instskip(SKIP_2) | instid1(VALU_DEP_4)
	v_or_b32_e32 v151, 0x800000, v145
	v_cmp_eq_u32_e32 vcc_lo, 0, v144
	v_add_nc_u32_e32 v144, 0xffffff89, v144
	v_cndmask_b32_e64 v150, v150, 0x77, vcc_lo
	s_delay_alu instid0(VALU_DEP_4) | instskip(NEXT) | instid1(VALU_DEP_3)
	v_cndmask_b32_e32 v145, v151, v145, vcc_lo
	v_cndmask_b32_e64 v144, v144, 0xffffff8a, vcc_lo
	s_delay_alu instid0(VALU_DEP_3) | instskip(NEXT) | instid1(VALU_DEP_3)
	v_lshl_add_u32 v151, 0x100000, v150, -1
	v_lshrrev_b32_e32 v160, v150, v145
	v_lshlrev_b32_e64 v162, v150, 0x80000
	s_delay_alu instid0(VALU_DEP_4) | instskip(NEXT) | instid1(VALU_DEP_4)
	v_add_nc_u32_e32 v150, v150, v144
	v_and_b32_e32 v145, v151, v145
	s_delay_alu instid0(VALU_DEP_4) | instskip(NEXT) | instid1(VALU_DEP_2)
	v_bfe_u32 v161, v160, 20, 1
	v_cmp_eq_u32_e64 s13, v145, v162
	s_delay_alu instid0(VALU_DEP_2) | instskip(NEXT) | instid1(VALU_DEP_1)
	v_add_nc_u32_e32 v151, -1, v161
	v_cndmask_b32_e64 v145, 0, v151, s13
	v_lshrrev_b32_e32 v151, 23, v160
	s_mov_b32 s13, exec_lo
	s_delay_alu instid0(VALU_DEP_2) | instskip(NEXT) | instid1(VALU_DEP_2)
	v_add_nc_u32_e32 v145, v145, v160
	v_xor_b32_e32 v151, 1, v151
	s_delay_alu instid0(VALU_DEP_2) | instskip(NEXT) | instid1(VALU_DEP_1)
	v_and_b32_e32 v144, 0xfffff, v145
	v_add_nc_u32_e32 v145, v144, v160
                                        ; implicit-def: $vgpr144
	s_delay_alu instid0(VALU_DEP_3)
	v_cmpx_ne_u32_e64 v150, v151
	s_xor_b32 s13, exec_lo, s13
; %bb.4124:                             ;   in Loop: Header=BB2_3955 Depth=3
	s_delay_alu instid0(VALU_DEP_2) | instskip(SKIP_2) | instid1(VALU_DEP_2)
	v_cmp_lt_u32_e32 vcc_lo, 0xffffff, v145
	v_sub_nc_u32_e32 v144, v150, v151
	v_cndmask_b32_e64 v150, 0, 1, vcc_lo
	v_add_co_ci_u32_e32 v144, vcc_lo, 0, v144, vcc_lo
	s_delay_alu instid0(VALU_DEP_2)
	v_lshrrev_b32_e32 v145, v150, v145
; %bb.4125:                             ;   in Loop: Header=BB2_3955 Depth=3
	s_and_not1_saveexec_b32 s13, s13
; %bb.4126:                             ;   in Loop: Header=BB2_3955 Depth=3
	s_delay_alu instid0(VALU_DEP_1)
	v_bfe_u32 v144, v145, 23, 1
; %bb.4127:                             ;   in Loop: Header=BB2_3955 Depth=3
	s_or_b32 exec_lo, exec_lo, s13
	v_lshrrev_b32_e32 v145, 20, v145
	s_delay_alu instid0(VALU_DEP_2) | instskip(SKIP_2) | instid1(VALU_DEP_2)
	v_cmp_gt_i32_e32 vcc_lo, 16, v144
	v_lshrrev_b32_e32 v148, 24, v148
	v_min_i32_e32 v150, 15, v144
	v_dual_cndmask_b32 v145, 7, v145 :: v_dual_and_b32 v148, 0x80, v148
	s_delay_alu instid0(VALU_DEP_2) | instskip(NEXT) | instid1(VALU_DEP_2)
	v_lshlrev_b32_e32 v150, 3, v150
	v_and_b32_e32 v151, 7, v145
	v_or_b32_e32 v144, v144, v145
	s_delay_alu instid0(VALU_DEP_2) | instskip(NEXT) | instid1(VALU_DEP_2)
	v_or3_b32 v145, v150, v148, v151
	v_cmp_ne_u32_e32 vcc_lo, 0, v144
	s_delay_alu instid0(VALU_DEP_2)
	v_cndmask_b32_e32 v144, 0, v145, vcc_lo
.LBB2_4128:                             ;   in Loop: Header=BB2_3955 Depth=3
	s_or_b32 exec_lo, exec_lo, s34
.LBB2_4129:                             ;   in Loop: Header=BB2_3955 Depth=3
	s_delay_alu instid0(SALU_CYCLE_1) | instskip(NEXT) | instid1(SALU_CYCLE_1)
	s_or_b32 exec_lo, exec_lo, s31
	s_and_not1_b32 vcc_lo, exec_lo, s17
	s_cbranch_vccnz .LBB2_4139
; %bb.4130:                             ;   in Loop: Header=BB2_3955 Depth=3
	v_and_b32_e32 v148, 0xff, v134
	s_mov_b32 s13, 0
	s_mov_b32 s34, exec_lo
                                        ; implicit-def: $sgpr31
	s_delay_alu instid0(VALU_DEP_1)
	v_cmpx_lt_i16_e64 0x7f, v148
	s_xor_b32 s34, exec_lo, s34
	s_cbranch_execnz .LBB2_4281
; %bb.4131:                             ;   in Loop: Header=BB2_3955 Depth=3
	s_or_saveexec_b32 s34, s34
	v_mov_b32_e32 v145, s31
	s_xor_b32 exec_lo, exec_lo, s34
	s_cbranch_execnz .LBB2_4284
.LBB2_4132:                             ;   in Loop: Header=BB2_3955 Depth=3
	s_or_b32 exec_lo, exec_lo, s34
	s_and_saveexec_b32 s31, s13
	s_cbranch_execz .LBB2_4134
.LBB2_4133:                             ;   in Loop: Header=BB2_3955 Depth=3
	v_lshrrev_b16 v151, 3, v134
	v_lshlrev_b32_e32 v160, 24, v134
	s_delay_alu instid0(VALU_DEP_2) | instskip(NEXT) | instid1(VALU_DEP_1)
	v_and_b32_e32 v151, 15, v151
	v_cmp_eq_u32_e32 vcc_lo, 0, v151
	v_and_b32_e32 v145, 7, v134
	s_delay_alu instid0(VALU_DEP_1) | instskip(NEXT) | instid1(VALU_DEP_1)
	v_clz_i32_u32_e32 v148, v145
	v_min_u32_e32 v148, 32, v148
	s_delay_alu instid0(VALU_DEP_1) | instskip(SKIP_1) | instid1(VALU_DEP_2)
	v_subrev_nc_u32_e32 v150, 28, v148
	v_sub_nc_u32_e32 v148, 29, v148
	v_lshlrev_b32_e32 v150, v150, v134
	s_delay_alu instid0(VALU_DEP_2) | instskip(NEXT) | instid1(VALU_DEP_2)
	v_cndmask_b32_e32 v148, v151, v148, vcc_lo
	v_and_b32_e32 v150, 7, v150
	s_delay_alu instid0(VALU_DEP_2) | instskip(NEXT) | instid1(VALU_DEP_2)
	v_lshl_add_u32 v148, v148, 23, 0x3b800000
	v_dual_cndmask_b32 v145, v145, v150 :: v_dual_and_b32 v150, 0x80000000, v160
	s_delay_alu instid0(VALU_DEP_1) | instskip(NEXT) | instid1(VALU_DEP_1)
	v_lshlrev_b32_e32 v145, 20, v145
	v_or3_b32 v145, v150, v148, v145
.LBB2_4134:                             ;   in Loop: Header=BB2_3955 Depth=3
	s_or_b32 exec_lo, exec_lo, s31
	s_waitcnt vmcnt(1) lgkmcnt(1)
	v_and_b32_e32 v150, 0xff, v71
	s_mov_b32 s13, 0
	s_mov_b32 s34, exec_lo
                                        ; implicit-def: $sgpr31
	s_delay_alu instid0(VALU_DEP_1)
	v_cmpx_lt_i16_e64 0x7f, v150
	s_xor_b32 s34, exec_lo, s34
	s_cbranch_execnz .LBB2_4285
; %bb.4135:                             ;   in Loop: Header=BB2_3955 Depth=3
	s_or_saveexec_b32 s34, s34
	v_mov_b32_e32 v148, s31
	s_xor_b32 exec_lo, exec_lo, s34
	s_cbranch_execnz .LBB2_4288
.LBB2_4136:                             ;   in Loop: Header=BB2_3955 Depth=3
	s_or_b32 exec_lo, exec_lo, s34
	s_and_saveexec_b32 s31, s13
	s_cbranch_execz .LBB2_4138
.LBB2_4137:                             ;   in Loop: Header=BB2_3955 Depth=3
	v_and_b32_e32 v148, 7, v71
	v_lshrrev_b16 v160, 3, v71
	v_lshlrev_b32_e32 v161, 24, v71
	s_delay_alu instid0(VALU_DEP_3) | instskip(NEXT) | instid1(VALU_DEP_3)
	v_clz_i32_u32_e32 v150, v148
	v_and_b32_e32 v160, 15, v160
	s_delay_alu instid0(VALU_DEP_2) | instskip(NEXT) | instid1(VALU_DEP_2)
	v_min_u32_e32 v150, 32, v150
	v_cmp_eq_u32_e32 vcc_lo, 0, v160
	s_delay_alu instid0(VALU_DEP_2) | instskip(SKIP_1) | instid1(VALU_DEP_1)
	v_subrev_nc_u32_e32 v151, 28, v150
	v_sub_nc_u32_e32 v150, 29, v150
	v_dual_cndmask_b32 v150, v160, v150 :: v_dual_lshlrev_b32 v151, v151, v71
	s_delay_alu instid0(VALU_DEP_1) | instskip(NEXT) | instid1(VALU_DEP_2)
	v_and_b32_e32 v151, 7, v151
	v_lshl_add_u32 v150, v150, 23, 0x3b800000
	s_delay_alu instid0(VALU_DEP_2) | instskip(NEXT) | instid1(VALU_DEP_1)
	v_dual_cndmask_b32 v148, v148, v151 :: v_dual_and_b32 v151, 0x80000000, v161
	v_lshlrev_b32_e32 v148, 20, v148
	s_delay_alu instid0(VALU_DEP_1)
	v_or3_b32 v148, v151, v150, v148
.LBB2_4138:                             ;   in Loop: Header=BB2_3955 Depth=3
	s_or_b32 exec_lo, exec_lo, s31
	s_delay_alu instid0(VALU_DEP_1) | instskip(SKIP_1) | instid1(VALU_DEP_1)
	v_dual_max_f32 v148, v148, v148 :: v_dual_max_f32 v145, v145, v145
	s_mov_b32 s13, 0
	v_max_f32_e32 v145, v145, v148
	s_branch .LBB2_4140
.LBB2_4139:                             ;   in Loop: Header=BB2_3955 Depth=3
	s_mov_b32 s13, -1
                                        ; implicit-def: $vgpr145
.LBB2_4140:                             ;   in Loop: Header=BB2_3955 Depth=3
	s_delay_alu instid0(SALU_CYCLE_1)
	s_and_b32 vcc_lo, exec_lo, s13
	s_cbranch_vccz .LBB2_4150
; %bb.4141:                             ;   in Loop: Header=BB2_3955 Depth=3
	v_and_b32_e32 v148, 0xff, v134
	s_mov_b32 s13, 0
	s_mov_b32 s34, exec_lo
                                        ; implicit-def: $sgpr31
	s_delay_alu instid0(VALU_DEP_1)
	v_cmpx_lt_i16_e64 0x7f, v148
	s_xor_b32 s34, exec_lo, s34
	s_cbranch_execnz .LBB2_4289
; %bb.4142:                             ;   in Loop: Header=BB2_3955 Depth=3
	s_or_saveexec_b32 s34, s34
	v_mov_b32_e32 v145, s31
	s_xor_b32 exec_lo, exec_lo, s34
	s_cbranch_execnz .LBB2_4292
.LBB2_4143:                             ;   in Loop: Header=BB2_3955 Depth=3
	s_or_b32 exec_lo, exec_lo, s34
	s_and_saveexec_b32 s31, s13
	s_cbranch_execz .LBB2_4145
.LBB2_4144:                             ;   in Loop: Header=BB2_3955 Depth=3
	v_lshrrev_b16 v151, 3, v134
	s_delay_alu instid0(VALU_DEP_1) | instskip(NEXT) | instid1(VALU_DEP_1)
	v_and_b32_e32 v151, 15, v151
	v_cmp_eq_u32_e32 vcc_lo, 0, v151
	v_and_b32_e32 v145, 7, v134
	s_delay_alu instid0(VALU_DEP_1) | instskip(NEXT) | instid1(VALU_DEP_1)
	v_clz_i32_u32_e32 v148, v145
	v_min_u32_e32 v148, 32, v148
	s_delay_alu instid0(VALU_DEP_1) | instskip(SKIP_1) | instid1(VALU_DEP_2)
	v_subrev_nc_u32_e32 v150, 28, v148
	v_sub_nc_u32_e32 v148, 29, v148
	v_lshlrev_b32_e32 v150, v150, v134
	s_delay_alu instid0(VALU_DEP_2) | instskip(SKIP_1) | instid1(VALU_DEP_3)
	v_cndmask_b32_e32 v148, v151, v148, vcc_lo
	v_lshlrev_b32_e32 v134, 24, v134
	v_and_b32_e32 v150, 7, v150
	s_delay_alu instid0(VALU_DEP_3) | instskip(NEXT) | instid1(VALU_DEP_3)
	v_lshl_add_u32 v148, v148, 23, 0x3b800000
	v_and_b32_e32 v134, 0x80000000, v134
	s_delay_alu instid0(VALU_DEP_3) | instskip(NEXT) | instid1(VALU_DEP_1)
	v_cndmask_b32_e32 v145, v145, v150, vcc_lo
	v_lshlrev_b32_e32 v145, 20, v145
	s_delay_alu instid0(VALU_DEP_1)
	v_or3_b32 v145, v134, v148, v145
.LBB2_4145:                             ;   in Loop: Header=BB2_3955 Depth=3
	s_or_b32 exec_lo, exec_lo, s31
	s_waitcnt vmcnt(1) lgkmcnt(1)
	v_and_b32_e32 v148, 0xff, v71
	s_mov_b32 s13, 0
	s_mov_b32 s34, exec_lo
                                        ; implicit-def: $sgpr31
	s_delay_alu instid0(VALU_DEP_1)
	v_cmpx_lt_i16_e64 0x7f, v148
	s_xor_b32 s34, exec_lo, s34
	s_cbranch_execnz .LBB2_4293
; %bb.4146:                             ;   in Loop: Header=BB2_3955 Depth=3
	s_or_saveexec_b32 s34, s34
	v_mov_b32_e32 v134, s31
	s_xor_b32 exec_lo, exec_lo, s34
	s_cbranch_execnz .LBB2_4296
.LBB2_4147:                             ;   in Loop: Header=BB2_3955 Depth=3
	s_or_b32 exec_lo, exec_lo, s34
	s_and_saveexec_b32 s31, s13
	s_cbranch_execz .LBB2_4149
.LBB2_4148:                             ;   in Loop: Header=BB2_3955 Depth=3
	v_and_b32_e32 v134, 7, v71
	v_lshrrev_b16 v151, 3, v71
	s_delay_alu instid0(VALU_DEP_2) | instskip(NEXT) | instid1(VALU_DEP_1)
	v_clz_i32_u32_e32 v148, v134
	v_min_u32_e32 v148, 32, v148
	s_delay_alu instid0(VALU_DEP_1) | instskip(SKIP_1) | instid1(VALU_DEP_2)
	v_subrev_nc_u32_e32 v150, 28, v148
	v_sub_nc_u32_e32 v148, 29, v148
	v_lshlrev_b32_e32 v150, v150, v71
	s_delay_alu instid0(VALU_DEP_1) | instskip(SKIP_1) | instid1(VALU_DEP_1)
	v_and_b32_e32 v150, 7, v150
	v_and_b32_e32 v151, 15, v151
	v_cmp_eq_u32_e32 vcc_lo, 0, v151
	s_delay_alu instid0(VALU_DEP_3) | instskip(SKIP_1) | instid1(VALU_DEP_2)
	v_dual_cndmask_b32 v134, v134, v150 :: v_dual_lshlrev_b32 v71, 24, v71
	v_cndmask_b32_e32 v148, v151, v148, vcc_lo
	v_lshlrev_b32_e32 v134, 20, v134
	s_delay_alu instid0(VALU_DEP_3) | instskip(NEXT) | instid1(VALU_DEP_3)
	v_and_b32_e32 v71, 0x80000000, v71
	v_lshl_add_u32 v148, v148, 23, 0x3b800000
	s_delay_alu instid0(VALU_DEP_1)
	v_or3_b32 v134, v71, v148, v134
.LBB2_4149:                             ;   in Loop: Header=BB2_3955 Depth=3
	s_or_b32 exec_lo, exec_lo, s31
	s_delay_alu instid0(VALU_DEP_1) | instskip(NEXT) | instid1(VALU_DEP_1)
	v_dual_max_f32 v71, v134, v134 :: v_dual_max_f32 v134, v145, v145
	v_min_f32_e32 v145, v134, v71
.LBB2_4150:                             ;   in Loop: Header=BB2_3955 Depth=3
	s_waitcnt vmcnt(1) lgkmcnt(1)
	s_delay_alu instid0(VALU_DEP_1) | instskip(NEXT) | instid1(VALU_DEP_1)
	v_and_b32_e32 v71, 0x7f800000, v145
	v_cmp_ne_u32_e32 vcc_lo, 0x7f800000, v71
	v_mov_b32_e32 v71, 0x80
	s_and_saveexec_b32 s31, vcc_lo
	s_cbranch_execz .LBB2_4158
; %bb.4151:                             ;   in Loop: Header=BB2_3955 Depth=3
	v_mov_b32_e32 v71, 0
	s_mov_b32 s34, exec_lo
	v_cmpx_ne_u32_e32 0, v145
	s_cbranch_execz .LBB2_4157
; %bb.4152:                             ;   in Loop: Header=BB2_3955 Depth=3
	v_bfe_u32 v71, v145, 23, 8
	v_and_b32_e32 v134, 0x7fffff, v145
	s_delay_alu instid0(VALU_DEP_2) | instskip(SKIP_1) | instid1(VALU_DEP_3)
	v_sub_nc_u32_e32 v148, 0x78, v71
	v_cmp_gt_u32_e32 vcc_lo, 0x79, v71
	v_or_b32_e32 v150, 0x800000, v134
	s_delay_alu instid0(VALU_DEP_3) | instskip(SKIP_2) | instid1(VALU_DEP_3)
	v_cndmask_b32_e32 v148, 0, v148, vcc_lo
	v_cmp_eq_u32_e32 vcc_lo, 0, v71
	v_add_nc_u32_e32 v71, 0xffffff89, v71
	v_cndmask_b32_e64 v148, v148, 0x77, vcc_lo
	v_cndmask_b32_e32 v134, v150, v134, vcc_lo
	s_delay_alu instid0(VALU_DEP_3) | instskip(NEXT) | instid1(VALU_DEP_3)
	v_cndmask_b32_e64 v71, v71, 0xffffff8a, vcc_lo
	v_lshl_add_u32 v150, 0x100000, v148, -1
	s_delay_alu instid0(VALU_DEP_3) | instskip(SKIP_1) | instid1(VALU_DEP_4)
	v_lshrrev_b32_e32 v151, v148, v134
	v_lshlrev_b32_e64 v161, v148, 0x80000
	v_add_nc_u32_e32 v148, v148, v71
	s_delay_alu instid0(VALU_DEP_4) | instskip(NEXT) | instid1(VALU_DEP_4)
	v_and_b32_e32 v134, v150, v134
	v_bfe_u32 v160, v151, 20, 1
	s_delay_alu instid0(VALU_DEP_2) | instskip(NEXT) | instid1(VALU_DEP_2)
	v_cmp_eq_u32_e64 s13, v134, v161
	v_add_nc_u32_e32 v150, -1, v160
	s_delay_alu instid0(VALU_DEP_1) | instskip(SKIP_2) | instid1(VALU_DEP_2)
	v_cndmask_b32_e64 v134, 0, v150, s13
	v_lshrrev_b32_e32 v150, 23, v151
	s_mov_b32 s13, exec_lo
	v_add_nc_u32_e32 v134, v134, v151
	s_delay_alu instid0(VALU_DEP_2) | instskip(NEXT) | instid1(VALU_DEP_2)
	v_xor_b32_e32 v150, 1, v150
	v_and_b32_e32 v71, 0xfffff, v134
	s_delay_alu instid0(VALU_DEP_1) | instskip(NEXT) | instid1(VALU_DEP_3)
	v_add_nc_u32_e32 v134, v71, v151
                                        ; implicit-def: $vgpr71
	v_cmpx_ne_u32_e64 v148, v150
	s_xor_b32 s13, exec_lo, s13
; %bb.4153:                             ;   in Loop: Header=BB2_3955 Depth=3
	s_delay_alu instid0(VALU_DEP_2) | instskip(SKIP_2) | instid1(VALU_DEP_2)
	v_cmp_lt_u32_e32 vcc_lo, 0xffffff, v134
	v_sub_nc_u32_e32 v71, v148, v150
	v_cndmask_b32_e64 v148, 0, 1, vcc_lo
	v_add_co_ci_u32_e32 v71, vcc_lo, 0, v71, vcc_lo
	s_delay_alu instid0(VALU_DEP_2)
	v_lshrrev_b32_e32 v134, v148, v134
; %bb.4154:                             ;   in Loop: Header=BB2_3955 Depth=3
	s_and_not1_saveexec_b32 s13, s13
; %bb.4155:                             ;   in Loop: Header=BB2_3955 Depth=3
	s_delay_alu instid0(VALU_DEP_1)
	v_bfe_u32 v71, v134, 23, 1
; %bb.4156:                             ;   in Loop: Header=BB2_3955 Depth=3
	s_or_b32 exec_lo, exec_lo, s13
	v_lshrrev_b32_e32 v134, 20, v134
	s_delay_alu instid0(VALU_DEP_2) | instskip(SKIP_2) | instid1(VALU_DEP_2)
	v_cmp_gt_i32_e32 vcc_lo, 16, v71
	v_lshrrev_b32_e32 v145, 24, v145
	v_min_i32_e32 v148, 15, v71
	v_dual_cndmask_b32 v134, 7, v134 :: v_dual_and_b32 v145, 0x80, v145
	s_delay_alu instid0(VALU_DEP_1) | instskip(SKIP_1) | instid1(VALU_DEP_2)
	v_or_b32_e32 v71, v71, v134
	v_and_b32_e32 v150, 7, v134
	v_cmp_ne_u32_e32 vcc_lo, 0, v71
	v_lshlrev_b32_e32 v148, 3, v148
	s_delay_alu instid0(VALU_DEP_1) | instskip(NEXT) | instid1(VALU_DEP_1)
	v_or3_b32 v134, v148, v145, v150
	v_cndmask_b32_e32 v71, 0, v134, vcc_lo
.LBB2_4157:                             ;   in Loop: Header=BB2_3955 Depth=3
	s_or_b32 exec_lo, exec_lo, s34
.LBB2_4158:                             ;   in Loop: Header=BB2_3955 Depth=3
	s_delay_alu instid0(SALU_CYCLE_1) | instskip(NEXT) | instid1(SALU_CYCLE_1)
	s_or_b32 exec_lo, exec_lo, s31
	s_and_not1_b32 vcc_lo, exec_lo, s17
	s_cbranch_vccnz .LBB2_4168
; %bb.4159:                             ;   in Loop: Header=BB2_3955 Depth=3
	v_and_b32_e32 v145, 0xff, v69
	s_mov_b32 s13, 0
	s_mov_b32 s34, exec_lo
                                        ; implicit-def: $sgpr31
	s_delay_alu instid0(VALU_DEP_1)
	v_cmpx_lt_i16_e64 0x7f, v145
	s_xor_b32 s34, exec_lo, s34
	s_cbranch_execnz .LBB2_4297
; %bb.4160:                             ;   in Loop: Header=BB2_3955 Depth=3
	s_or_saveexec_b32 s34, s34
	v_mov_b32_e32 v134, s31
	s_xor_b32 exec_lo, exec_lo, s34
	s_cbranch_execnz .LBB2_4300
.LBB2_4161:                             ;   in Loop: Header=BB2_3955 Depth=3
	s_or_b32 exec_lo, exec_lo, s34
	s_and_saveexec_b32 s31, s13
	s_cbranch_execz .LBB2_4163
.LBB2_4162:                             ;   in Loop: Header=BB2_3955 Depth=3
	v_and_b32_e32 v134, 7, v69
	v_lshrrev_b16 v150, 3, v69
	s_delay_alu instid0(VALU_DEP_2) | instskip(NEXT) | instid1(VALU_DEP_2)
	v_clz_i32_u32_e32 v145, v134
	v_and_b32_e32 v150, 15, v150
	s_delay_alu instid0(VALU_DEP_2) | instskip(NEXT) | instid1(VALU_DEP_2)
	v_min_u32_e32 v145, 32, v145
	v_cmp_eq_u32_e32 vcc_lo, 0, v150
	s_delay_alu instid0(VALU_DEP_2) | instskip(SKIP_1) | instid1(VALU_DEP_2)
	v_subrev_nc_u32_e32 v148, 28, v145
	v_sub_nc_u32_e32 v145, 29, v145
	v_lshlrev_b32_e32 v148, v148, v69
	s_delay_alu instid0(VALU_DEP_1) | instskip(SKIP_1) | instid1(VALU_DEP_2)
	v_dual_cndmask_b32 v145, v150, v145 :: v_dual_and_b32 v148, 7, v148
	v_lshlrev_b32_e32 v151, 24, v69
	v_lshl_add_u32 v145, v145, 23, 0x3b800000
	s_delay_alu instid0(VALU_DEP_3) | instskip(NEXT) | instid1(VALU_DEP_3)
	v_cndmask_b32_e32 v134, v134, v148, vcc_lo
	v_and_b32_e32 v148, 0x80000000, v151
	s_delay_alu instid0(VALU_DEP_2) | instskip(NEXT) | instid1(VALU_DEP_1)
	v_lshlrev_b32_e32 v134, 20, v134
	v_or3_b32 v134, v148, v145, v134
.LBB2_4163:                             ;   in Loop: Header=BB2_3955 Depth=3
	s_or_b32 exec_lo, exec_lo, s31
	s_waitcnt vmcnt(0) lgkmcnt(0)
	v_and_b32_e32 v148, 0xff, v68
	s_mov_b32 s13, 0
	s_mov_b32 s34, exec_lo
                                        ; implicit-def: $sgpr31
	s_delay_alu instid0(VALU_DEP_1)
	v_cmpx_lt_i16_e64 0x7f, v148
	s_xor_b32 s34, exec_lo, s34
	s_cbranch_execnz .LBB2_4301
; %bb.4164:                             ;   in Loop: Header=BB2_3955 Depth=3
	s_or_saveexec_b32 s34, s34
	v_mov_b32_e32 v145, s31
	s_xor_b32 exec_lo, exec_lo, s34
	s_cbranch_execnz .LBB2_4304
.LBB2_4165:                             ;   in Loop: Header=BB2_3955 Depth=3
	s_or_b32 exec_lo, exec_lo, s34
	s_and_saveexec_b32 s31, s13
	s_cbranch_execz .LBB2_4167
.LBB2_4166:                             ;   in Loop: Header=BB2_3955 Depth=3
	v_and_b32_e32 v145, 7, v68
	v_lshrrev_b16 v151, 3, v68
	s_delay_alu instid0(VALU_DEP_2) | instskip(NEXT) | instid1(VALU_DEP_2)
	v_clz_i32_u32_e32 v148, v145
	v_and_b32_e32 v151, 15, v151
	s_delay_alu instid0(VALU_DEP_2) | instskip(NEXT) | instid1(VALU_DEP_2)
	v_min_u32_e32 v148, 32, v148
	v_cmp_eq_u32_e32 vcc_lo, 0, v151
	s_delay_alu instid0(VALU_DEP_2) | instskip(SKIP_1) | instid1(VALU_DEP_2)
	v_subrev_nc_u32_e32 v150, 28, v148
	v_sub_nc_u32_e32 v148, 29, v148
	v_lshlrev_b32_e32 v150, v150, v68
	s_delay_alu instid0(VALU_DEP_1) | instskip(NEXT) | instid1(VALU_DEP_1)
	v_and_b32_e32 v150, 7, v150
	v_dual_cndmask_b32 v145, v145, v150 :: v_dual_lshlrev_b32 v160, 24, v68
	s_delay_alu instid0(VALU_DEP_4) | instskip(NEXT) | instid1(VALU_DEP_2)
	v_cndmask_b32_e32 v148, v151, v148, vcc_lo
	v_and_b32_e32 v150, 0x80000000, v160
	s_delay_alu instid0(VALU_DEP_3) | instskip(NEXT) | instid1(VALU_DEP_3)
	v_lshlrev_b32_e32 v145, 20, v145
	v_lshl_add_u32 v148, v148, 23, 0x3b800000
	s_delay_alu instid0(VALU_DEP_1)
	v_or3_b32 v145, v150, v148, v145
.LBB2_4167:                             ;   in Loop: Header=BB2_3955 Depth=3
	s_or_b32 exec_lo, exec_lo, s31
	s_delay_alu instid0(VALU_DEP_1) | instskip(SKIP_1) | instid1(VALU_DEP_1)
	v_dual_max_f32 v145, v145, v145 :: v_dual_max_f32 v134, v134, v134
	s_mov_b32 s13, 0
	v_max_f32_e32 v134, v134, v145
	s_branch .LBB2_4169
.LBB2_4168:                             ;   in Loop: Header=BB2_3955 Depth=3
	s_mov_b32 s13, -1
                                        ; implicit-def: $vgpr134
.LBB2_4169:                             ;   in Loop: Header=BB2_3955 Depth=3
	s_delay_alu instid0(SALU_CYCLE_1)
	s_and_b32 vcc_lo, exec_lo, s13
	s_cbranch_vccz .LBB2_4179
; %bb.4170:                             ;   in Loop: Header=BB2_3955 Depth=3
	v_and_b32_e32 v145, 0xff, v69
	s_mov_b32 s13, 0
	s_mov_b32 s34, exec_lo
                                        ; implicit-def: $sgpr31
	s_delay_alu instid0(VALU_DEP_1)
	v_cmpx_lt_i16_e64 0x7f, v145
	s_xor_b32 s34, exec_lo, s34
	s_cbranch_execnz .LBB2_4305
; %bb.4171:                             ;   in Loop: Header=BB2_3955 Depth=3
	s_or_saveexec_b32 s34, s34
	v_mov_b32_e32 v134, s31
	s_xor_b32 exec_lo, exec_lo, s34
	s_cbranch_execnz .LBB2_4308
.LBB2_4172:                             ;   in Loop: Header=BB2_3955 Depth=3
	s_or_b32 exec_lo, exec_lo, s34
	s_and_saveexec_b32 s31, s13
	s_cbranch_execz .LBB2_4174
.LBB2_4173:                             ;   in Loop: Header=BB2_3955 Depth=3
	v_and_b32_e32 v134, 7, v69
	v_lshrrev_b16 v150, 3, v69
	s_delay_alu instid0(VALU_DEP_2) | instskip(NEXT) | instid1(VALU_DEP_2)
	v_clz_i32_u32_e32 v145, v134
	v_and_b32_e32 v150, 15, v150
	s_delay_alu instid0(VALU_DEP_2) | instskip(NEXT) | instid1(VALU_DEP_2)
	v_min_u32_e32 v145, 32, v145
	v_cmp_eq_u32_e32 vcc_lo, 0, v150
	s_delay_alu instid0(VALU_DEP_2) | instskip(SKIP_1) | instid1(VALU_DEP_2)
	v_subrev_nc_u32_e32 v148, 28, v145
	v_sub_nc_u32_e32 v145, 29, v145
	v_lshlrev_b32_e32 v148, v148, v69
	s_delay_alu instid0(VALU_DEP_1) | instskip(SKIP_1) | instid1(VALU_DEP_2)
	v_dual_cndmask_b32 v145, v150, v145 :: v_dual_and_b32 v148, 7, v148
	v_lshlrev_b32_e32 v69, 24, v69
	v_lshl_add_u32 v145, v145, 23, 0x3b800000
	s_delay_alu instid0(VALU_DEP_2) | instskip(NEXT) | instid1(VALU_DEP_1)
	v_dual_cndmask_b32 v134, v134, v148 :: v_dual_and_b32 v69, 0x80000000, v69
	v_lshlrev_b32_e32 v134, 20, v134
	s_delay_alu instid0(VALU_DEP_1)
	v_or3_b32 v134, v69, v145, v134
.LBB2_4174:                             ;   in Loop: Header=BB2_3955 Depth=3
	s_or_b32 exec_lo, exec_lo, s31
	s_waitcnt vmcnt(0) lgkmcnt(0)
	v_and_b32_e32 v145, 0xff, v68
	s_mov_b32 s13, 0
	s_mov_b32 s34, exec_lo
                                        ; implicit-def: $sgpr31
	s_delay_alu instid0(VALU_DEP_1)
	v_cmpx_lt_i16_e64 0x7f, v145
	s_xor_b32 s34, exec_lo, s34
	s_cbranch_execnz .LBB2_4309
; %bb.4175:                             ;   in Loop: Header=BB2_3955 Depth=3
	s_or_saveexec_b32 s34, s34
	v_mov_b32_e32 v69, s31
	s_xor_b32 exec_lo, exec_lo, s34
	s_cbranch_execnz .LBB2_4312
.LBB2_4176:                             ;   in Loop: Header=BB2_3955 Depth=3
	s_or_b32 exec_lo, exec_lo, s34
	s_and_saveexec_b32 s31, s13
	s_cbranch_execz .LBB2_4178
.LBB2_4177:                             ;   in Loop: Header=BB2_3955 Depth=3
	v_and_b32_e32 v69, 7, v68
	v_lshrrev_b16 v150, 3, v68
	s_delay_alu instid0(VALU_DEP_2) | instskip(NEXT) | instid1(VALU_DEP_2)
	v_clz_i32_u32_e32 v145, v69
	v_and_b32_e32 v150, 15, v150
	s_delay_alu instid0(VALU_DEP_2) | instskip(NEXT) | instid1(VALU_DEP_2)
	v_min_u32_e32 v145, 32, v145
	v_cmp_eq_u32_e32 vcc_lo, 0, v150
	s_delay_alu instid0(VALU_DEP_2) | instskip(SKIP_1) | instid1(VALU_DEP_1)
	v_subrev_nc_u32_e32 v148, 28, v145
	v_sub_nc_u32_e32 v145, 29, v145
	v_dual_cndmask_b32 v145, v150, v145 :: v_dual_lshlrev_b32 v148, v148, v68
	v_lshlrev_b32_e32 v68, 24, v68
	s_delay_alu instid0(VALU_DEP_2) | instskip(NEXT) | instid1(VALU_DEP_3)
	v_and_b32_e32 v148, 7, v148
	v_lshl_add_u32 v145, v145, 23, 0x3b800000
	s_delay_alu instid0(VALU_DEP_3) | instskip(NEXT) | instid1(VALU_DEP_3)
	v_and_b32_e32 v68, 0x80000000, v68
	v_cndmask_b32_e32 v69, v69, v148, vcc_lo
	s_delay_alu instid0(VALU_DEP_1) | instskip(NEXT) | instid1(VALU_DEP_1)
	v_lshlrev_b32_e32 v69, 20, v69
	v_or3_b32 v69, v68, v145, v69
.LBB2_4178:                             ;   in Loop: Header=BB2_3955 Depth=3
	s_or_b32 exec_lo, exec_lo, s31
	s_delay_alu instid0(VALU_DEP_1) | instskip(NEXT) | instid1(VALU_DEP_1)
	v_dual_max_f32 v68, v69, v69 :: v_dual_max_f32 v69, v134, v134
	v_min_f32_e32 v134, v69, v68
.LBB2_4179:                             ;   in Loop: Header=BB2_3955 Depth=3
	s_waitcnt vmcnt(0) lgkmcnt(0)
	s_delay_alu instid0(VALU_DEP_1) | instskip(NEXT) | instid1(VALU_DEP_1)
	v_and_b32_e32 v68, 0x7f800000, v134
	v_cmp_ne_u32_e32 vcc_lo, 0x7f800000, v68
	v_mov_b32_e32 v68, 0x80
	s_and_saveexec_b32 s31, vcc_lo
	s_cbranch_execz .LBB2_3954
; %bb.4180:                             ;   in Loop: Header=BB2_3955 Depth=3
	v_mov_b32_e32 v68, 0
	s_mov_b32 s34, exec_lo
	v_cmpx_ne_u32_e32 0, v134
	s_cbranch_execz .LBB2_3953
; %bb.4181:                             ;   in Loop: Header=BB2_3955 Depth=3
	v_bfe_u32 v68, v134, 23, 8
	v_and_b32_e32 v69, 0x7fffff, v134
	s_delay_alu instid0(VALU_DEP_2) | instskip(SKIP_1) | instid1(VALU_DEP_3)
	v_sub_nc_u32_e32 v145, 0x78, v68
	v_cmp_gt_u32_e32 vcc_lo, 0x79, v68
	v_or_b32_e32 v148, 0x800000, v69
	s_delay_alu instid0(VALU_DEP_3) | instskip(SKIP_2) | instid1(VALU_DEP_3)
	v_cndmask_b32_e32 v145, 0, v145, vcc_lo
	v_cmp_eq_u32_e32 vcc_lo, 0, v68
	v_add_nc_u32_e32 v68, 0xffffff89, v68
	v_cndmask_b32_e64 v145, v145, 0x77, vcc_lo
	v_cndmask_b32_e32 v69, v148, v69, vcc_lo
	s_delay_alu instid0(VALU_DEP_3) | instskip(NEXT) | instid1(VALU_DEP_3)
	v_cndmask_b32_e64 v68, v68, 0xffffff8a, vcc_lo
	v_lshl_add_u32 v148, 0x100000, v145, -1
	s_delay_alu instid0(VALU_DEP_3) | instskip(SKIP_1) | instid1(VALU_DEP_4)
	v_lshrrev_b32_e32 v150, v145, v69
	v_lshlrev_b32_e64 v160, v145, 0x80000
	v_add_nc_u32_e32 v145, v145, v68
	s_delay_alu instid0(VALU_DEP_4) | instskip(NEXT) | instid1(VALU_DEP_4)
	v_and_b32_e32 v69, v148, v69
	v_bfe_u32 v151, v150, 20, 1
	s_delay_alu instid0(VALU_DEP_2) | instskip(NEXT) | instid1(VALU_DEP_2)
	v_cmp_eq_u32_e64 s13, v69, v160
	v_add_nc_u32_e32 v148, -1, v151
	s_delay_alu instid0(VALU_DEP_1) | instskip(SKIP_2) | instid1(VALU_DEP_2)
	v_cndmask_b32_e64 v69, 0, v148, s13
	v_lshrrev_b32_e32 v148, 23, v150
	s_mov_b32 s13, exec_lo
	v_add_nc_u32_e32 v69, v69, v150
	s_delay_alu instid0(VALU_DEP_2) | instskip(NEXT) | instid1(VALU_DEP_2)
	v_xor_b32_e32 v148, 1, v148
	v_and_b32_e32 v68, 0xfffff, v69
	s_delay_alu instid0(VALU_DEP_1) | instskip(NEXT) | instid1(VALU_DEP_3)
	v_add_nc_u32_e32 v69, v68, v150
                                        ; implicit-def: $vgpr68
	v_cmpx_ne_u32_e64 v145, v148
	s_xor_b32 s13, exec_lo, s13
; %bb.4182:                             ;   in Loop: Header=BB2_3955 Depth=3
	s_delay_alu instid0(VALU_DEP_2) | instskip(SKIP_2) | instid1(VALU_DEP_2)
	v_cmp_lt_u32_e32 vcc_lo, 0xffffff, v69
	v_sub_nc_u32_e32 v68, v145, v148
	v_cndmask_b32_e64 v145, 0, 1, vcc_lo
	v_add_co_ci_u32_e32 v68, vcc_lo, 0, v68, vcc_lo
	s_delay_alu instid0(VALU_DEP_2)
	v_lshrrev_b32_e32 v69, v145, v69
; %bb.4183:                             ;   in Loop: Header=BB2_3955 Depth=3
	s_and_not1_saveexec_b32 s13, s13
	s_cbranch_execz .LBB2_3952
; %bb.4184:                             ;   in Loop: Header=BB2_3955 Depth=3
	s_delay_alu instid0(VALU_DEP_1)
	v_bfe_u32 v68, v69, 23, 1
	s_branch .LBB2_3952
.LBB2_4185:                             ;   in Loop: Header=BB2_3955 Depth=3
	s_mov_b32 s13, -1
	s_mov_b32 s35, exec_lo
                                        ; implicit-def: $sgpr31
	v_cmpx_eq_u16_e64 0x80, v163
; %bb.4186:                             ;   in Loop: Header=BB2_3955 Depth=3
	s_mov_b32 s31, 0x7f800001
	s_xor_b32 s13, exec_lo, -1
; %bb.4187:                             ;   in Loop: Header=BB2_3955 Depth=3
	s_or_b32 exec_lo, exec_lo, s35
	s_delay_alu instid0(SALU_CYCLE_1)
	s_and_b32 s13, s13, exec_lo
                                        ; implicit-def: $vgpr163
	s_or_saveexec_b32 s34, s34
	v_mov_b32_e32 v162, s31
	s_xor_b32 exec_lo, exec_lo, s34
	s_cbranch_execz .LBB2_3958
.LBB2_4188:                             ;   in Loop: Header=BB2_3955 Depth=3
	v_cmp_ne_u16_e64 vcc_lo, 0, v163
	v_mov_b32_e32 v162, 0
	s_and_not1_b32 s13, s13, exec_lo
	s_delay_alu instid0(VALU_DEP_2) | instskip(NEXT) | instid1(SALU_CYCLE_1)
	s_and_b32 vcc_lo, vcc_lo, exec_lo
	s_or_b32 s13, s13, vcc_lo
	s_or_b32 exec_lo, exec_lo, s34
	s_and_saveexec_b32 s31, s13
	s_cbranch_execnz .LBB2_3959
	s_branch .LBB2_3960
.LBB2_4189:                             ;   in Loop: Header=BB2_3955 Depth=3
	s_mov_b32 s13, -1
	s_mov_b32 s35, exec_lo
                                        ; implicit-def: $sgpr31
	v_cmpx_eq_u16_e64 0x80, v164
; %bb.4190:                             ;   in Loop: Header=BB2_3955 Depth=3
	s_mov_b32 s31, 0x7f800001
	s_xor_b32 s13, exec_lo, -1
; %bb.4191:                             ;   in Loop: Header=BB2_3955 Depth=3
	s_or_b32 exec_lo, exec_lo, s35
	s_delay_alu instid0(SALU_CYCLE_1)
	s_and_b32 s13, s13, exec_lo
                                        ; implicit-def: $vgpr164
	s_or_saveexec_b32 s34, s34
	v_mov_b32_e32 v163, s31
	s_xor_b32 exec_lo, exec_lo, s34
	s_cbranch_execz .LBB2_3962
.LBB2_4192:                             ;   in Loop: Header=BB2_3955 Depth=3
	v_cmp_ne_u16_e64 vcc_lo, 0, v164
	v_mov_b32_e32 v163, 0
	s_and_not1_b32 s13, s13, exec_lo
	s_delay_alu instid0(VALU_DEP_2) | instskip(NEXT) | instid1(SALU_CYCLE_1)
	s_and_b32 vcc_lo, vcc_lo, exec_lo
	s_or_b32 s13, s13, vcc_lo
	s_or_b32 exec_lo, exec_lo, s34
	s_and_saveexec_b32 s31, s13
	s_cbranch_execnz .LBB2_3963
	s_branch .LBB2_3964
.LBB2_4193:                             ;   in Loop: Header=BB2_3955 Depth=3
	s_mov_b32 s13, -1
	s_mov_b32 s35, exec_lo
                                        ; implicit-def: $sgpr31
	v_cmpx_eq_u16_e64 0x80, v163
; %bb.4194:                             ;   in Loop: Header=BB2_3955 Depth=3
	s_mov_b32 s31, 0x7f800001
	s_xor_b32 s13, exec_lo, -1
; %bb.4195:                             ;   in Loop: Header=BB2_3955 Depth=3
	s_or_b32 exec_lo, exec_lo, s35
	s_delay_alu instid0(SALU_CYCLE_1)
	s_and_b32 s13, s13, exec_lo
                                        ; implicit-def: $vgpr163
	s_or_saveexec_b32 s34, s34
	v_mov_b32_e32 v162, s31
	s_xor_b32 exec_lo, exec_lo, s34
	s_cbranch_execz .LBB2_3969
.LBB2_4196:                             ;   in Loop: Header=BB2_3955 Depth=3
	v_cmp_ne_u16_e64 vcc_lo, 0, v163
	v_mov_b32_e32 v162, 0
	s_and_not1_b32 s13, s13, exec_lo
	s_delay_alu instid0(VALU_DEP_2) | instskip(NEXT) | instid1(SALU_CYCLE_1)
	s_and_b32 vcc_lo, vcc_lo, exec_lo
	s_or_b32 s13, s13, vcc_lo
	s_or_b32 exec_lo, exec_lo, s34
	s_and_saveexec_b32 s31, s13
	s_cbranch_execnz .LBB2_3970
	s_branch .LBB2_3971
.LBB2_4197:                             ;   in Loop: Header=BB2_3955 Depth=3
	s_mov_b32 s13, -1
	s_mov_b32 s35, exec_lo
                                        ; implicit-def: $sgpr31
	v_cmpx_eq_u16_e64 0x80, v163
; %bb.4198:                             ;   in Loop: Header=BB2_3955 Depth=3
	s_mov_b32 s31, 0x7f800001
	s_xor_b32 s13, exec_lo, -1
; %bb.4199:                             ;   in Loop: Header=BB2_3955 Depth=3
	s_or_b32 exec_lo, exec_lo, s35
	s_delay_alu instid0(SALU_CYCLE_1)
	s_and_b32 s13, s13, exec_lo
                                        ; implicit-def: $vgpr163
	s_or_saveexec_b32 s34, s34
	v_mov_b32_e32 v161, s31
	s_xor_b32 exec_lo, exec_lo, s34
	s_cbranch_execz .LBB2_3973
.LBB2_4200:                             ;   in Loop: Header=BB2_3955 Depth=3
	v_cmp_ne_u16_e64 vcc_lo, 0, v163
	v_mov_b32_e32 v161, 0
	s_and_not1_b32 s13, s13, exec_lo
	s_delay_alu instid0(VALU_DEP_2) | instskip(NEXT) | instid1(SALU_CYCLE_1)
	s_and_b32 vcc_lo, vcc_lo, exec_lo
	s_or_b32 s13, s13, vcc_lo
	s_or_b32 exec_lo, exec_lo, s34
	s_and_saveexec_b32 s31, s13
	s_cbranch_execnz .LBB2_3974
	s_branch .LBB2_3975
.LBB2_4201:                             ;   in Loop: Header=BB2_3955 Depth=3
	s_mov_b32 s13, -1
	s_mov_b32 s35, exec_lo
                                        ; implicit-def: $sgpr31
	v_cmpx_eq_u16_e64 0x80, v162
; %bb.4202:                             ;   in Loop: Header=BB2_3955 Depth=3
	s_mov_b32 s31, 0x7f800001
	s_xor_b32 s13, exec_lo, -1
; %bb.4203:                             ;   in Loop: Header=BB2_3955 Depth=3
	s_or_b32 exec_lo, exec_lo, s35
	s_delay_alu instid0(SALU_CYCLE_1)
	s_and_b32 s13, s13, exec_lo
                                        ; implicit-def: $vgpr162
	s_or_saveexec_b32 s34, s34
	v_mov_b32_e32 v161, s31
	s_xor_b32 exec_lo, exec_lo, s34
	s_cbranch_execz .LBB2_3987
.LBB2_4204:                             ;   in Loop: Header=BB2_3955 Depth=3
	v_cmp_ne_u16_e64 vcc_lo, 0, v162
	v_mov_b32_e32 v161, 0
	s_and_not1_b32 s13, s13, exec_lo
	s_delay_alu instid0(VALU_DEP_2) | instskip(NEXT) | instid1(SALU_CYCLE_1)
	s_and_b32 vcc_lo, vcc_lo, exec_lo
	s_or_b32 s13, s13, vcc_lo
	s_or_b32 exec_lo, exec_lo, s34
	s_and_saveexec_b32 s31, s13
	s_cbranch_execnz .LBB2_3988
	s_branch .LBB2_3989
.LBB2_4205:                             ;   in Loop: Header=BB2_3955 Depth=3
	s_mov_b32 s13, -1
	s_mov_b32 s35, exec_lo
                                        ; implicit-def: $sgpr31
	v_cmpx_eq_u16_e64 0x80, v163
; %bb.4206:                             ;   in Loop: Header=BB2_3955 Depth=3
	s_mov_b32 s31, 0x7f800001
	s_xor_b32 s13, exec_lo, -1
; %bb.4207:                             ;   in Loop: Header=BB2_3955 Depth=3
	s_or_b32 exec_lo, exec_lo, s35
	s_delay_alu instid0(SALU_CYCLE_1)
	s_and_b32 s13, s13, exec_lo
                                        ; implicit-def: $vgpr163
	s_or_saveexec_b32 s34, s34
	v_mov_b32_e32 v162, s31
	s_xor_b32 exec_lo, exec_lo, s34
	s_cbranch_execz .LBB2_3991
.LBB2_4208:                             ;   in Loop: Header=BB2_3955 Depth=3
	v_cmp_ne_u16_e64 vcc_lo, 0, v163
	v_mov_b32_e32 v162, 0
	s_and_not1_b32 s13, s13, exec_lo
	s_delay_alu instid0(VALU_DEP_2) | instskip(NEXT) | instid1(SALU_CYCLE_1)
	s_and_b32 vcc_lo, vcc_lo, exec_lo
	s_or_b32 s13, s13, vcc_lo
	s_or_b32 exec_lo, exec_lo, s34
	s_and_saveexec_b32 s31, s13
	s_cbranch_execnz .LBB2_3992
	s_branch .LBB2_3993
.LBB2_4209:                             ;   in Loop: Header=BB2_3955 Depth=3
	s_mov_b32 s13, -1
	s_mov_b32 s35, exec_lo
                                        ; implicit-def: $sgpr31
	v_cmpx_eq_u16_e64 0x80, v162
; %bb.4210:                             ;   in Loop: Header=BB2_3955 Depth=3
	s_mov_b32 s31, 0x7f800001
	s_xor_b32 s13, exec_lo, -1
; %bb.4211:                             ;   in Loop: Header=BB2_3955 Depth=3
	s_or_b32 exec_lo, exec_lo, s35
	s_delay_alu instid0(SALU_CYCLE_1)
	s_and_b32 s13, s13, exec_lo
                                        ; implicit-def: $vgpr162
	s_or_saveexec_b32 s34, s34
	v_mov_b32_e32 v161, s31
	s_xor_b32 exec_lo, exec_lo, s34
	s_cbranch_execz .LBB2_3998
.LBB2_4212:                             ;   in Loop: Header=BB2_3955 Depth=3
	v_cmp_ne_u16_e64 vcc_lo, 0, v162
	v_mov_b32_e32 v161, 0
	s_and_not1_b32 s13, s13, exec_lo
	s_delay_alu instid0(VALU_DEP_2) | instskip(NEXT) | instid1(SALU_CYCLE_1)
	s_and_b32 vcc_lo, vcc_lo, exec_lo
	s_or_b32 s13, s13, vcc_lo
	s_or_b32 exec_lo, exec_lo, s34
	s_and_saveexec_b32 s31, s13
	s_cbranch_execnz .LBB2_3999
	s_branch .LBB2_4000
.LBB2_4213:                             ;   in Loop: Header=BB2_3955 Depth=3
	s_mov_b32 s13, -1
	s_mov_b32 s35, exec_lo
                                        ; implicit-def: $sgpr31
	v_cmpx_eq_u16_e64 0x80, v162
; %bb.4214:                             ;   in Loop: Header=BB2_3955 Depth=3
	s_mov_b32 s31, 0x7f800001
	s_xor_b32 s13, exec_lo, -1
; %bb.4215:                             ;   in Loop: Header=BB2_3955 Depth=3
	s_or_b32 exec_lo, exec_lo, s35
	s_delay_alu instid0(SALU_CYCLE_1)
	s_and_b32 s13, s13, exec_lo
                                        ; implicit-def: $vgpr162
	s_or_saveexec_b32 s34, s34
	v_mov_b32_e32 v160, s31
	s_xor_b32 exec_lo, exec_lo, s34
	s_cbranch_execz .LBB2_4002
.LBB2_4216:                             ;   in Loop: Header=BB2_3955 Depth=3
	v_cmp_ne_u16_e64 vcc_lo, 0, v162
	v_mov_b32_e32 v160, 0
	s_and_not1_b32 s13, s13, exec_lo
	s_delay_alu instid0(VALU_DEP_2) | instskip(NEXT) | instid1(SALU_CYCLE_1)
	s_and_b32 vcc_lo, vcc_lo, exec_lo
	s_or_b32 s13, s13, vcc_lo
	s_or_b32 exec_lo, exec_lo, s34
	s_and_saveexec_b32 s31, s13
	s_cbranch_execnz .LBB2_4003
	s_branch .LBB2_4004
.LBB2_4217:                             ;   in Loop: Header=BB2_3955 Depth=3
	s_mov_b32 s13, -1
	s_mov_b32 s35, exec_lo
                                        ; implicit-def: $sgpr31
	v_cmpx_eq_u16_e64 0x80, v161
; %bb.4218:                             ;   in Loop: Header=BB2_3955 Depth=3
	s_mov_b32 s31, 0x7f800001
	s_xor_b32 s13, exec_lo, -1
; %bb.4219:                             ;   in Loop: Header=BB2_3955 Depth=3
	s_or_b32 exec_lo, exec_lo, s35
	s_delay_alu instid0(SALU_CYCLE_1)
	s_and_b32 s13, s13, exec_lo
                                        ; implicit-def: $vgpr161
	s_or_saveexec_b32 s34, s34
	v_mov_b32_e32 v160, s31
	s_xor_b32 exec_lo, exec_lo, s34
	s_cbranch_execz .LBB2_4016
.LBB2_4220:                             ;   in Loop: Header=BB2_3955 Depth=3
	v_cmp_ne_u16_e64 vcc_lo, 0, v161
	v_mov_b32_e32 v160, 0
	s_and_not1_b32 s13, s13, exec_lo
	s_delay_alu instid0(VALU_DEP_2) | instskip(NEXT) | instid1(SALU_CYCLE_1)
	s_and_b32 vcc_lo, vcc_lo, exec_lo
	s_or_b32 s13, s13, vcc_lo
	s_or_b32 exec_lo, exec_lo, s34
	s_and_saveexec_b32 s31, s13
	s_cbranch_execnz .LBB2_4017
	s_branch .LBB2_4018
.LBB2_4221:                             ;   in Loop: Header=BB2_3955 Depth=3
	s_mov_b32 s13, -1
	s_mov_b32 s35, exec_lo
                                        ; implicit-def: $sgpr31
	v_cmpx_eq_u16_e64 0x80, v162
; %bb.4222:                             ;   in Loop: Header=BB2_3955 Depth=3
	s_mov_b32 s31, 0x7f800001
	s_xor_b32 s13, exec_lo, -1
; %bb.4223:                             ;   in Loop: Header=BB2_3955 Depth=3
	s_or_b32 exec_lo, exec_lo, s35
	s_delay_alu instid0(SALU_CYCLE_1)
	s_and_b32 s13, s13, exec_lo
                                        ; implicit-def: $vgpr162
	s_or_saveexec_b32 s34, s34
	v_mov_b32_e32 v161, s31
	s_xor_b32 exec_lo, exec_lo, s34
	s_cbranch_execz .LBB2_4020
.LBB2_4224:                             ;   in Loop: Header=BB2_3955 Depth=3
	v_cmp_ne_u16_e64 vcc_lo, 0, v162
	v_mov_b32_e32 v161, 0
	s_and_not1_b32 s13, s13, exec_lo
	s_delay_alu instid0(VALU_DEP_2) | instskip(NEXT) | instid1(SALU_CYCLE_1)
	s_and_b32 vcc_lo, vcc_lo, exec_lo
	s_or_b32 s13, s13, vcc_lo
	s_or_b32 exec_lo, exec_lo, s34
	s_and_saveexec_b32 s31, s13
	s_cbranch_execnz .LBB2_4021
	s_branch .LBB2_4022
.LBB2_4225:                             ;   in Loop: Header=BB2_3955 Depth=3
	s_mov_b32 s13, -1
	s_mov_b32 s35, exec_lo
                                        ; implicit-def: $sgpr31
	v_cmpx_eq_u16_e64 0x80, v161
; %bb.4226:                             ;   in Loop: Header=BB2_3955 Depth=3
	s_mov_b32 s31, 0x7f800001
	s_xor_b32 s13, exec_lo, -1
; %bb.4227:                             ;   in Loop: Header=BB2_3955 Depth=3
	s_or_b32 exec_lo, exec_lo, s35
	s_delay_alu instid0(SALU_CYCLE_1)
	s_and_b32 s13, s13, exec_lo
                                        ; implicit-def: $vgpr161
	s_or_saveexec_b32 s34, s34
	v_mov_b32_e32 v160, s31
	s_xor_b32 exec_lo, exec_lo, s34
	s_cbranch_execz .LBB2_4027
.LBB2_4228:                             ;   in Loop: Header=BB2_3955 Depth=3
	v_cmp_ne_u16_e64 vcc_lo, 0, v161
	v_mov_b32_e32 v160, 0
	s_and_not1_b32 s13, s13, exec_lo
	s_delay_alu instid0(VALU_DEP_2) | instskip(NEXT) | instid1(SALU_CYCLE_1)
	s_and_b32 vcc_lo, vcc_lo, exec_lo
	s_or_b32 s13, s13, vcc_lo
	s_or_b32 exec_lo, exec_lo, s34
	s_and_saveexec_b32 s31, s13
	s_cbranch_execnz .LBB2_4028
	s_branch .LBB2_4029
.LBB2_4229:                             ;   in Loop: Header=BB2_3955 Depth=3
	s_mov_b32 s13, -1
	s_mov_b32 s35, exec_lo
                                        ; implicit-def: $sgpr31
	v_cmpx_eq_u16_e64 0x80, v161
; %bb.4230:                             ;   in Loop: Header=BB2_3955 Depth=3
	s_mov_b32 s31, 0x7f800001
	s_xor_b32 s13, exec_lo, -1
; %bb.4231:                             ;   in Loop: Header=BB2_3955 Depth=3
	s_or_b32 exec_lo, exec_lo, s35
	s_delay_alu instid0(SALU_CYCLE_1)
	s_and_b32 s13, s13, exec_lo
                                        ; implicit-def: $vgpr161
	s_or_saveexec_b32 s34, s34
	v_mov_b32_e32 v151, s31
	s_xor_b32 exec_lo, exec_lo, s34
	s_cbranch_execz .LBB2_4031
.LBB2_4232:                             ;   in Loop: Header=BB2_3955 Depth=3
	v_cmp_ne_u16_e64 vcc_lo, 0, v161
	v_mov_b32_e32 v151, 0
	s_and_not1_b32 s13, s13, exec_lo
	s_delay_alu instid0(VALU_DEP_2) | instskip(NEXT) | instid1(SALU_CYCLE_1)
	s_and_b32 vcc_lo, vcc_lo, exec_lo
	s_or_b32 s13, s13, vcc_lo
	s_or_b32 exec_lo, exec_lo, s34
	s_and_saveexec_b32 s31, s13
	s_cbranch_execnz .LBB2_4032
	s_branch .LBB2_4033
.LBB2_4233:                             ;   in Loop: Header=BB2_3955 Depth=3
	s_mov_b32 s13, -1
	s_mov_b32 s35, exec_lo
                                        ; implicit-def: $sgpr31
	v_cmpx_eq_u16_e64 0x80, v160
; %bb.4234:                             ;   in Loop: Header=BB2_3955 Depth=3
	s_mov_b32 s31, 0x7f800001
	s_xor_b32 s13, exec_lo, -1
; %bb.4235:                             ;   in Loop: Header=BB2_3955 Depth=3
	s_or_b32 exec_lo, exec_lo, s35
	s_delay_alu instid0(SALU_CYCLE_1)
	s_and_b32 s13, s13, exec_lo
                                        ; implicit-def: $vgpr160
	s_or_saveexec_b32 s34, s34
	v_mov_b32_e32 v151, s31
	s_xor_b32 exec_lo, exec_lo, s34
	s_cbranch_execz .LBB2_4045
.LBB2_4236:                             ;   in Loop: Header=BB2_3955 Depth=3
	v_cmp_ne_u16_e64 vcc_lo, 0, v160
	v_mov_b32_e32 v151, 0
	s_and_not1_b32 s13, s13, exec_lo
	s_delay_alu instid0(VALU_DEP_2) | instskip(NEXT) | instid1(SALU_CYCLE_1)
	s_and_b32 vcc_lo, vcc_lo, exec_lo
	s_or_b32 s13, s13, vcc_lo
	s_or_b32 exec_lo, exec_lo, s34
	s_and_saveexec_b32 s31, s13
	s_cbranch_execnz .LBB2_4046
	s_branch .LBB2_4047
.LBB2_4237:                             ;   in Loop: Header=BB2_3955 Depth=3
	s_mov_b32 s13, -1
	s_mov_b32 s35, exec_lo
                                        ; implicit-def: $sgpr31
	v_cmpx_eq_u16_e64 0x80, v161
; %bb.4238:                             ;   in Loop: Header=BB2_3955 Depth=3
	s_mov_b32 s31, 0x7f800001
	s_xor_b32 s13, exec_lo, -1
; %bb.4239:                             ;   in Loop: Header=BB2_3955 Depth=3
	s_or_b32 exec_lo, exec_lo, s35
	s_delay_alu instid0(SALU_CYCLE_1)
	s_and_b32 s13, s13, exec_lo
                                        ; implicit-def: $vgpr161
	s_or_saveexec_b32 s34, s34
	v_mov_b32_e32 v160, s31
	s_xor_b32 exec_lo, exec_lo, s34
	s_cbranch_execz .LBB2_4049
.LBB2_4240:                             ;   in Loop: Header=BB2_3955 Depth=3
	v_cmp_ne_u16_e64 vcc_lo, 0, v161
	v_mov_b32_e32 v160, 0
	s_and_not1_b32 s13, s13, exec_lo
	s_delay_alu instid0(VALU_DEP_2) | instskip(NEXT) | instid1(SALU_CYCLE_1)
	s_and_b32 vcc_lo, vcc_lo, exec_lo
	s_or_b32 s13, s13, vcc_lo
	s_or_b32 exec_lo, exec_lo, s34
	s_and_saveexec_b32 s31, s13
	s_cbranch_execnz .LBB2_4050
	s_branch .LBB2_4051
.LBB2_4241:                             ;   in Loop: Header=BB2_3955 Depth=3
	s_mov_b32 s13, -1
	s_mov_b32 s35, exec_lo
                                        ; implicit-def: $sgpr31
	v_cmpx_eq_u16_e64 0x80, v160
; %bb.4242:                             ;   in Loop: Header=BB2_3955 Depth=3
	s_mov_b32 s31, 0x7f800001
	s_xor_b32 s13, exec_lo, -1
; %bb.4243:                             ;   in Loop: Header=BB2_3955 Depth=3
	s_or_b32 exec_lo, exec_lo, s35
	s_delay_alu instid0(SALU_CYCLE_1)
	s_and_b32 s13, s13, exec_lo
                                        ; implicit-def: $vgpr160
	s_or_saveexec_b32 s34, s34
	v_mov_b32_e32 v151, s31
	s_xor_b32 exec_lo, exec_lo, s34
	s_cbranch_execz .LBB2_4056
.LBB2_4244:                             ;   in Loop: Header=BB2_3955 Depth=3
	v_cmp_ne_u16_e64 vcc_lo, 0, v160
	v_mov_b32_e32 v151, 0
	s_and_not1_b32 s13, s13, exec_lo
	s_delay_alu instid0(VALU_DEP_2) | instskip(NEXT) | instid1(SALU_CYCLE_1)
	s_and_b32 vcc_lo, vcc_lo, exec_lo
	s_or_b32 s13, s13, vcc_lo
	s_or_b32 exec_lo, exec_lo, s34
	s_and_saveexec_b32 s31, s13
	s_cbranch_execnz .LBB2_4057
	s_branch .LBB2_4058
.LBB2_4245:                             ;   in Loop: Header=BB2_3955 Depth=3
	s_mov_b32 s13, -1
	s_mov_b32 s35, exec_lo
                                        ; implicit-def: $sgpr31
	v_cmpx_eq_u16_e64 0x80, v160
; %bb.4246:                             ;   in Loop: Header=BB2_3955 Depth=3
	s_mov_b32 s31, 0x7f800001
	s_xor_b32 s13, exec_lo, -1
; %bb.4247:                             ;   in Loop: Header=BB2_3955 Depth=3
	s_or_b32 exec_lo, exec_lo, s35
	s_delay_alu instid0(SALU_CYCLE_1)
	s_and_b32 s13, s13, exec_lo
                                        ; implicit-def: $vgpr160
	s_or_saveexec_b32 s34, s34
	v_mov_b32_e32 v150, s31
	s_xor_b32 exec_lo, exec_lo, s34
	s_cbranch_execz .LBB2_4060
.LBB2_4248:                             ;   in Loop: Header=BB2_3955 Depth=3
	v_cmp_ne_u16_e64 vcc_lo, 0, v160
	v_mov_b32_e32 v150, 0
	s_and_not1_b32 s13, s13, exec_lo
	s_delay_alu instid0(VALU_DEP_2) | instskip(NEXT) | instid1(SALU_CYCLE_1)
	s_and_b32 vcc_lo, vcc_lo, exec_lo
	s_or_b32 s13, s13, vcc_lo
	s_or_b32 exec_lo, exec_lo, s34
	s_and_saveexec_b32 s31, s13
	s_cbranch_execnz .LBB2_4061
	s_branch .LBB2_4062
.LBB2_4249:                             ;   in Loop: Header=BB2_3955 Depth=3
	s_mov_b32 s13, -1
	s_mov_b32 s35, exec_lo
                                        ; implicit-def: $sgpr31
	v_cmpx_eq_u16_e64 0x80, v151
; %bb.4250:                             ;   in Loop: Header=BB2_3955 Depth=3
	s_mov_b32 s31, 0x7f800001
	s_xor_b32 s13, exec_lo, -1
; %bb.4251:                             ;   in Loop: Header=BB2_3955 Depth=3
	s_or_b32 exec_lo, exec_lo, s35
	s_delay_alu instid0(SALU_CYCLE_1)
	s_and_b32 s13, s13, exec_lo
                                        ; implicit-def: $vgpr151
	s_or_saveexec_b32 s34, s34
	v_mov_b32_e32 v150, s31
	s_xor_b32 exec_lo, exec_lo, s34
	s_cbranch_execz .LBB2_4074
.LBB2_4252:                             ;   in Loop: Header=BB2_3955 Depth=3
	v_cmp_ne_u16_e64 vcc_lo, 0, v151
	v_mov_b32_e32 v150, 0
	s_and_not1_b32 s13, s13, exec_lo
	s_delay_alu instid0(VALU_DEP_2) | instskip(NEXT) | instid1(SALU_CYCLE_1)
	s_and_b32 vcc_lo, vcc_lo, exec_lo
	s_or_b32 s13, s13, vcc_lo
	s_or_b32 exec_lo, exec_lo, s34
	s_and_saveexec_b32 s31, s13
	s_cbranch_execnz .LBB2_4075
	s_branch .LBB2_4076
.LBB2_4253:                             ;   in Loop: Header=BB2_3955 Depth=3
	s_mov_b32 s13, -1
	s_mov_b32 s35, exec_lo
                                        ; implicit-def: $sgpr31
	v_cmpx_eq_u16_e64 0x80, v160
; %bb.4254:                             ;   in Loop: Header=BB2_3955 Depth=3
	s_mov_b32 s31, 0x7f800001
	s_xor_b32 s13, exec_lo, -1
; %bb.4255:                             ;   in Loop: Header=BB2_3955 Depth=3
	s_or_b32 exec_lo, exec_lo, s35
	s_delay_alu instid0(SALU_CYCLE_1)
	s_and_b32 s13, s13, exec_lo
                                        ; implicit-def: $vgpr160
	s_or_saveexec_b32 s34, s34
	v_mov_b32_e32 v151, s31
	s_xor_b32 exec_lo, exec_lo, s34
	s_cbranch_execz .LBB2_4078
.LBB2_4256:                             ;   in Loop: Header=BB2_3955 Depth=3
	v_cmp_ne_u16_e64 vcc_lo, 0, v160
	v_mov_b32_e32 v151, 0
	s_and_not1_b32 s13, s13, exec_lo
	s_delay_alu instid0(VALU_DEP_2) | instskip(NEXT) | instid1(SALU_CYCLE_1)
	s_and_b32 vcc_lo, vcc_lo, exec_lo
	s_or_b32 s13, s13, vcc_lo
	s_or_b32 exec_lo, exec_lo, s34
	s_and_saveexec_b32 s31, s13
	s_cbranch_execnz .LBB2_4079
	s_branch .LBB2_4080
.LBB2_4257:                             ;   in Loop: Header=BB2_3955 Depth=3
	s_mov_b32 s13, -1
	s_mov_b32 s35, exec_lo
                                        ; implicit-def: $sgpr31
	v_cmpx_eq_u16_e64 0x80, v151
; %bb.4258:                             ;   in Loop: Header=BB2_3955 Depth=3
	s_mov_b32 s31, 0x7f800001
	s_xor_b32 s13, exec_lo, -1
; %bb.4259:                             ;   in Loop: Header=BB2_3955 Depth=3
	s_or_b32 exec_lo, exec_lo, s35
	s_delay_alu instid0(SALU_CYCLE_1)
	s_and_b32 s13, s13, exec_lo
                                        ; implicit-def: $vgpr151
	s_or_saveexec_b32 s34, s34
	v_mov_b32_e32 v150, s31
	s_xor_b32 exec_lo, exec_lo, s34
	s_cbranch_execz .LBB2_4085
.LBB2_4260:                             ;   in Loop: Header=BB2_3955 Depth=3
	v_cmp_ne_u16_e64 vcc_lo, 0, v151
	v_mov_b32_e32 v150, 0
	s_and_not1_b32 s13, s13, exec_lo
	s_delay_alu instid0(VALU_DEP_2) | instskip(NEXT) | instid1(SALU_CYCLE_1)
	s_and_b32 vcc_lo, vcc_lo, exec_lo
	s_or_b32 s13, s13, vcc_lo
	s_or_b32 exec_lo, exec_lo, s34
	s_and_saveexec_b32 s31, s13
	s_cbranch_execnz .LBB2_4086
	s_branch .LBB2_4087
.LBB2_4261:                             ;   in Loop: Header=BB2_3955 Depth=3
	s_mov_b32 s13, -1
	s_mov_b32 s35, exec_lo
                                        ; implicit-def: $sgpr31
	v_cmpx_eq_u16_e64 0x80, v151
; %bb.4262:                             ;   in Loop: Header=BB2_3955 Depth=3
	s_mov_b32 s31, 0x7f800001
	s_xor_b32 s13, exec_lo, -1
; %bb.4263:                             ;   in Loop: Header=BB2_3955 Depth=3
	s_or_b32 exec_lo, exec_lo, s35
	s_delay_alu instid0(SALU_CYCLE_1)
	s_and_b32 s13, s13, exec_lo
                                        ; implicit-def: $vgpr151
	s_or_saveexec_b32 s34, s34
	v_mov_b32_e32 v148, s31
	s_xor_b32 exec_lo, exec_lo, s34
	s_cbranch_execz .LBB2_4089
.LBB2_4264:                             ;   in Loop: Header=BB2_3955 Depth=3
	v_cmp_ne_u16_e64 vcc_lo, 0, v151
	v_mov_b32_e32 v148, 0
	s_and_not1_b32 s13, s13, exec_lo
	s_delay_alu instid0(VALU_DEP_2) | instskip(NEXT) | instid1(SALU_CYCLE_1)
	s_and_b32 vcc_lo, vcc_lo, exec_lo
	s_or_b32 s13, s13, vcc_lo
	s_or_b32 exec_lo, exec_lo, s34
	s_and_saveexec_b32 s31, s13
	s_cbranch_execnz .LBB2_4090
	s_branch .LBB2_4091
.LBB2_4265:                             ;   in Loop: Header=BB2_3955 Depth=3
	s_mov_b32 s13, -1
	s_mov_b32 s35, exec_lo
                                        ; implicit-def: $sgpr31
	v_cmpx_eq_u16_e64 0x80, v150
; %bb.4266:                             ;   in Loop: Header=BB2_3955 Depth=3
	s_mov_b32 s31, 0x7f800001
	s_xor_b32 s13, exec_lo, -1
; %bb.4267:                             ;   in Loop: Header=BB2_3955 Depth=3
	s_or_b32 exec_lo, exec_lo, s35
	s_delay_alu instid0(SALU_CYCLE_1)
	s_and_b32 s13, s13, exec_lo
                                        ; implicit-def: $vgpr150
	s_or_saveexec_b32 s34, s34
	v_mov_b32_e32 v148, s31
	s_xor_b32 exec_lo, exec_lo, s34
	s_cbranch_execz .LBB2_4103
.LBB2_4268:                             ;   in Loop: Header=BB2_3955 Depth=3
	v_cmp_ne_u16_e64 vcc_lo, 0, v150
	v_mov_b32_e32 v148, 0
	s_and_not1_b32 s13, s13, exec_lo
	s_delay_alu instid0(VALU_DEP_2) | instskip(NEXT) | instid1(SALU_CYCLE_1)
	s_and_b32 vcc_lo, vcc_lo, exec_lo
	s_or_b32 s13, s13, vcc_lo
	s_or_b32 exec_lo, exec_lo, s34
	s_and_saveexec_b32 s31, s13
	s_cbranch_execnz .LBB2_4104
	s_branch .LBB2_4105
.LBB2_4269:                             ;   in Loop: Header=BB2_3955 Depth=3
	s_mov_b32 s13, -1
	s_mov_b32 s35, exec_lo
                                        ; implicit-def: $sgpr31
	v_cmpx_eq_u16_e64 0x80, v151
; %bb.4270:                             ;   in Loop: Header=BB2_3955 Depth=3
	s_mov_b32 s31, 0x7f800001
	s_xor_b32 s13, exec_lo, -1
; %bb.4271:                             ;   in Loop: Header=BB2_3955 Depth=3
	s_or_b32 exec_lo, exec_lo, s35
	s_delay_alu instid0(SALU_CYCLE_1)
	s_and_b32 s13, s13, exec_lo
                                        ; implicit-def: $vgpr151
	s_or_saveexec_b32 s34, s34
	v_mov_b32_e32 v150, s31
	s_xor_b32 exec_lo, exec_lo, s34
	s_cbranch_execz .LBB2_4107
.LBB2_4272:                             ;   in Loop: Header=BB2_3955 Depth=3
	v_cmp_ne_u16_e64 vcc_lo, 0, v151
	v_mov_b32_e32 v150, 0
	s_and_not1_b32 s13, s13, exec_lo
	s_delay_alu instid0(VALU_DEP_2) | instskip(NEXT) | instid1(SALU_CYCLE_1)
	s_and_b32 vcc_lo, vcc_lo, exec_lo
	s_or_b32 s13, s13, vcc_lo
	s_or_b32 exec_lo, exec_lo, s34
	s_and_saveexec_b32 s31, s13
	s_cbranch_execnz .LBB2_4108
	s_branch .LBB2_4109
.LBB2_4273:                             ;   in Loop: Header=BB2_3955 Depth=3
	s_mov_b32 s13, -1
	s_mov_b32 s35, exec_lo
                                        ; implicit-def: $sgpr31
	v_cmpx_eq_u16_e64 0x80, v150
; %bb.4274:                             ;   in Loop: Header=BB2_3955 Depth=3
	s_mov_b32 s31, 0x7f800001
	s_xor_b32 s13, exec_lo, -1
; %bb.4275:                             ;   in Loop: Header=BB2_3955 Depth=3
	s_or_b32 exec_lo, exec_lo, s35
	s_delay_alu instid0(SALU_CYCLE_1)
	s_and_b32 s13, s13, exec_lo
                                        ; implicit-def: $vgpr150
	s_or_saveexec_b32 s34, s34
	v_mov_b32_e32 v148, s31
	s_xor_b32 exec_lo, exec_lo, s34
	s_cbranch_execz .LBB2_4114
.LBB2_4276:                             ;   in Loop: Header=BB2_3955 Depth=3
	v_cmp_ne_u16_e64 vcc_lo, 0, v150
	v_mov_b32_e32 v148, 0
	s_and_not1_b32 s13, s13, exec_lo
	s_delay_alu instid0(VALU_DEP_2) | instskip(NEXT) | instid1(SALU_CYCLE_1)
	s_and_b32 vcc_lo, vcc_lo, exec_lo
	s_or_b32 s13, s13, vcc_lo
	s_or_b32 exec_lo, exec_lo, s34
	s_and_saveexec_b32 s31, s13
	s_cbranch_execnz .LBB2_4115
	s_branch .LBB2_4116
.LBB2_4277:                             ;   in Loop: Header=BB2_3955 Depth=3
	s_mov_b32 s13, -1
	s_mov_b32 s35, exec_lo
                                        ; implicit-def: $sgpr31
	v_cmpx_eq_u16_e64 0x80, v150
; %bb.4278:                             ;   in Loop: Header=BB2_3955 Depth=3
	s_mov_b32 s31, 0x7f800001
	s_xor_b32 s13, exec_lo, -1
; %bb.4279:                             ;   in Loop: Header=BB2_3955 Depth=3
	s_or_b32 exec_lo, exec_lo, s35
	s_delay_alu instid0(SALU_CYCLE_1)
	s_and_b32 s13, s13, exec_lo
                                        ; implicit-def: $vgpr150
	s_or_saveexec_b32 s34, s34
	v_mov_b32_e32 v145, s31
	s_xor_b32 exec_lo, exec_lo, s34
	s_cbranch_execz .LBB2_4118
.LBB2_4280:                             ;   in Loop: Header=BB2_3955 Depth=3
	v_cmp_ne_u16_e64 vcc_lo, 0, v150
	v_mov_b32_e32 v145, 0
	s_and_not1_b32 s13, s13, exec_lo
	s_delay_alu instid0(VALU_DEP_2) | instskip(NEXT) | instid1(SALU_CYCLE_1)
	s_and_b32 vcc_lo, vcc_lo, exec_lo
	s_or_b32 s13, s13, vcc_lo
	s_or_b32 exec_lo, exec_lo, s34
	s_and_saveexec_b32 s31, s13
	s_cbranch_execnz .LBB2_4119
	s_branch .LBB2_4120
.LBB2_4281:                             ;   in Loop: Header=BB2_3955 Depth=3
	s_mov_b32 s13, -1
	s_mov_b32 s35, exec_lo
                                        ; implicit-def: $sgpr31
	v_cmpx_eq_u16_e64 0x80, v148
; %bb.4282:                             ;   in Loop: Header=BB2_3955 Depth=3
	s_mov_b32 s31, 0x7f800001
	s_xor_b32 s13, exec_lo, -1
; %bb.4283:                             ;   in Loop: Header=BB2_3955 Depth=3
	s_or_b32 exec_lo, exec_lo, s35
	s_delay_alu instid0(SALU_CYCLE_1)
	s_and_b32 s13, s13, exec_lo
                                        ; implicit-def: $vgpr148
	s_or_saveexec_b32 s34, s34
	v_mov_b32_e32 v145, s31
	s_xor_b32 exec_lo, exec_lo, s34
	s_cbranch_execz .LBB2_4132
.LBB2_4284:                             ;   in Loop: Header=BB2_3955 Depth=3
	v_cmp_ne_u16_e64 vcc_lo, 0, v148
	v_mov_b32_e32 v145, 0
	s_and_not1_b32 s13, s13, exec_lo
	s_delay_alu instid0(VALU_DEP_2) | instskip(NEXT) | instid1(SALU_CYCLE_1)
	s_and_b32 vcc_lo, vcc_lo, exec_lo
	s_or_b32 s13, s13, vcc_lo
	s_or_b32 exec_lo, exec_lo, s34
	s_and_saveexec_b32 s31, s13
	s_cbranch_execnz .LBB2_4133
	s_branch .LBB2_4134
.LBB2_4285:                             ;   in Loop: Header=BB2_3955 Depth=3
	s_mov_b32 s13, -1
	s_mov_b32 s35, exec_lo
                                        ; implicit-def: $sgpr31
	v_cmpx_eq_u16_e64 0x80, v150
; %bb.4286:                             ;   in Loop: Header=BB2_3955 Depth=3
	s_mov_b32 s31, 0x7f800001
	s_xor_b32 s13, exec_lo, -1
; %bb.4287:                             ;   in Loop: Header=BB2_3955 Depth=3
	s_or_b32 exec_lo, exec_lo, s35
	s_delay_alu instid0(SALU_CYCLE_1)
	s_and_b32 s13, s13, exec_lo
                                        ; implicit-def: $vgpr150
	s_or_saveexec_b32 s34, s34
	v_mov_b32_e32 v148, s31
	s_xor_b32 exec_lo, exec_lo, s34
	s_cbranch_execz .LBB2_4136
.LBB2_4288:                             ;   in Loop: Header=BB2_3955 Depth=3
	v_cmp_ne_u16_e64 vcc_lo, 0, v150
	v_mov_b32_e32 v148, 0
	s_and_not1_b32 s13, s13, exec_lo
	s_delay_alu instid0(VALU_DEP_2) | instskip(NEXT) | instid1(SALU_CYCLE_1)
	s_and_b32 vcc_lo, vcc_lo, exec_lo
	s_or_b32 s13, s13, vcc_lo
	s_or_b32 exec_lo, exec_lo, s34
	s_and_saveexec_b32 s31, s13
	s_cbranch_execnz .LBB2_4137
	s_branch .LBB2_4138
.LBB2_4289:                             ;   in Loop: Header=BB2_3955 Depth=3
	s_mov_b32 s13, -1
	s_mov_b32 s35, exec_lo
                                        ; implicit-def: $sgpr31
	v_cmpx_eq_u16_e64 0x80, v148
; %bb.4290:                             ;   in Loop: Header=BB2_3955 Depth=3
	s_mov_b32 s31, 0x7f800001
	s_xor_b32 s13, exec_lo, -1
; %bb.4291:                             ;   in Loop: Header=BB2_3955 Depth=3
	s_or_b32 exec_lo, exec_lo, s35
	s_delay_alu instid0(SALU_CYCLE_1)
	s_and_b32 s13, s13, exec_lo
                                        ; implicit-def: $vgpr148
	s_or_saveexec_b32 s34, s34
	v_mov_b32_e32 v145, s31
	s_xor_b32 exec_lo, exec_lo, s34
	s_cbranch_execz .LBB2_4143
.LBB2_4292:                             ;   in Loop: Header=BB2_3955 Depth=3
	v_cmp_ne_u16_e64 vcc_lo, 0, v148
	v_mov_b32_e32 v145, 0
	s_and_not1_b32 s13, s13, exec_lo
	s_delay_alu instid0(VALU_DEP_2) | instskip(NEXT) | instid1(SALU_CYCLE_1)
	s_and_b32 vcc_lo, vcc_lo, exec_lo
	s_or_b32 s13, s13, vcc_lo
	s_or_b32 exec_lo, exec_lo, s34
	s_and_saveexec_b32 s31, s13
	s_cbranch_execnz .LBB2_4144
	s_branch .LBB2_4145
.LBB2_4293:                             ;   in Loop: Header=BB2_3955 Depth=3
	s_mov_b32 s13, -1
	s_mov_b32 s35, exec_lo
                                        ; implicit-def: $sgpr31
	v_cmpx_eq_u16_e64 0x80, v148
; %bb.4294:                             ;   in Loop: Header=BB2_3955 Depth=3
	s_mov_b32 s31, 0x7f800001
	s_xor_b32 s13, exec_lo, -1
; %bb.4295:                             ;   in Loop: Header=BB2_3955 Depth=3
	s_or_b32 exec_lo, exec_lo, s35
	s_delay_alu instid0(SALU_CYCLE_1)
	s_and_b32 s13, s13, exec_lo
                                        ; implicit-def: $vgpr148
	s_or_saveexec_b32 s34, s34
	v_mov_b32_e32 v134, s31
	s_xor_b32 exec_lo, exec_lo, s34
	s_cbranch_execz .LBB2_4147
.LBB2_4296:                             ;   in Loop: Header=BB2_3955 Depth=3
	v_cmp_ne_u16_e64 vcc_lo, 0, v148
	v_mov_b32_e32 v134, 0
	s_and_not1_b32 s13, s13, exec_lo
	s_delay_alu instid0(VALU_DEP_2) | instskip(NEXT) | instid1(SALU_CYCLE_1)
	s_and_b32 vcc_lo, vcc_lo, exec_lo
	s_or_b32 s13, s13, vcc_lo
	s_or_b32 exec_lo, exec_lo, s34
	s_and_saveexec_b32 s31, s13
	s_cbranch_execnz .LBB2_4148
	s_branch .LBB2_4149
.LBB2_4297:                             ;   in Loop: Header=BB2_3955 Depth=3
	s_mov_b32 s13, -1
	s_mov_b32 s35, exec_lo
                                        ; implicit-def: $sgpr31
	v_cmpx_eq_u16_e64 0x80, v145
; %bb.4298:                             ;   in Loop: Header=BB2_3955 Depth=3
	s_mov_b32 s31, 0x7f800001
	s_xor_b32 s13, exec_lo, -1
; %bb.4299:                             ;   in Loop: Header=BB2_3955 Depth=3
	s_or_b32 exec_lo, exec_lo, s35
	s_delay_alu instid0(SALU_CYCLE_1)
	s_and_b32 s13, s13, exec_lo
                                        ; implicit-def: $vgpr145
	s_or_saveexec_b32 s34, s34
	v_mov_b32_e32 v134, s31
	s_xor_b32 exec_lo, exec_lo, s34
	s_cbranch_execz .LBB2_4161
.LBB2_4300:                             ;   in Loop: Header=BB2_3955 Depth=3
	v_cmp_ne_u16_e64 vcc_lo, 0, v145
	v_mov_b32_e32 v134, 0
	s_and_not1_b32 s13, s13, exec_lo
	s_delay_alu instid0(VALU_DEP_2) | instskip(NEXT) | instid1(SALU_CYCLE_1)
	s_and_b32 vcc_lo, vcc_lo, exec_lo
	s_or_b32 s13, s13, vcc_lo
	s_or_b32 exec_lo, exec_lo, s34
	s_and_saveexec_b32 s31, s13
	s_cbranch_execnz .LBB2_4162
	s_branch .LBB2_4163
.LBB2_4301:                             ;   in Loop: Header=BB2_3955 Depth=3
	s_mov_b32 s13, -1
	s_mov_b32 s35, exec_lo
                                        ; implicit-def: $sgpr31
	v_cmpx_eq_u16_e64 0x80, v148
; %bb.4302:                             ;   in Loop: Header=BB2_3955 Depth=3
	s_mov_b32 s31, 0x7f800001
	s_xor_b32 s13, exec_lo, -1
; %bb.4303:                             ;   in Loop: Header=BB2_3955 Depth=3
	s_or_b32 exec_lo, exec_lo, s35
	s_delay_alu instid0(SALU_CYCLE_1)
	s_and_b32 s13, s13, exec_lo
                                        ; implicit-def: $vgpr148
	s_or_saveexec_b32 s34, s34
	v_mov_b32_e32 v145, s31
	s_xor_b32 exec_lo, exec_lo, s34
	s_cbranch_execz .LBB2_4165
.LBB2_4304:                             ;   in Loop: Header=BB2_3955 Depth=3
	v_cmp_ne_u16_e64 vcc_lo, 0, v148
	v_mov_b32_e32 v145, 0
	s_and_not1_b32 s13, s13, exec_lo
	s_delay_alu instid0(VALU_DEP_2) | instskip(NEXT) | instid1(SALU_CYCLE_1)
	s_and_b32 vcc_lo, vcc_lo, exec_lo
	s_or_b32 s13, s13, vcc_lo
	s_or_b32 exec_lo, exec_lo, s34
	s_and_saveexec_b32 s31, s13
	s_cbranch_execnz .LBB2_4166
	s_branch .LBB2_4167
.LBB2_4305:                             ;   in Loop: Header=BB2_3955 Depth=3
	s_mov_b32 s13, -1
	s_mov_b32 s35, exec_lo
                                        ; implicit-def: $sgpr31
	v_cmpx_eq_u16_e64 0x80, v145
; %bb.4306:                             ;   in Loop: Header=BB2_3955 Depth=3
	s_mov_b32 s31, 0x7f800001
	s_xor_b32 s13, exec_lo, -1
; %bb.4307:                             ;   in Loop: Header=BB2_3955 Depth=3
	s_or_b32 exec_lo, exec_lo, s35
	s_delay_alu instid0(SALU_CYCLE_1)
	s_and_b32 s13, s13, exec_lo
                                        ; implicit-def: $vgpr145
	s_or_saveexec_b32 s34, s34
	v_mov_b32_e32 v134, s31
	s_xor_b32 exec_lo, exec_lo, s34
	s_cbranch_execz .LBB2_4172
.LBB2_4308:                             ;   in Loop: Header=BB2_3955 Depth=3
	v_cmp_ne_u16_e64 vcc_lo, 0, v145
	v_mov_b32_e32 v134, 0
	s_and_not1_b32 s13, s13, exec_lo
	s_delay_alu instid0(VALU_DEP_2) | instskip(NEXT) | instid1(SALU_CYCLE_1)
	s_and_b32 vcc_lo, vcc_lo, exec_lo
	s_or_b32 s13, s13, vcc_lo
	s_or_b32 exec_lo, exec_lo, s34
	s_and_saveexec_b32 s31, s13
	s_cbranch_execnz .LBB2_4173
	s_branch .LBB2_4174
.LBB2_4309:                             ;   in Loop: Header=BB2_3955 Depth=3
	s_mov_b32 s13, -1
	s_mov_b32 s35, exec_lo
                                        ; implicit-def: $sgpr31
	v_cmpx_eq_u16_e64 0x80, v145
; %bb.4310:                             ;   in Loop: Header=BB2_3955 Depth=3
	s_mov_b32 s31, 0x7f800001
	s_xor_b32 s13, exec_lo, -1
; %bb.4311:                             ;   in Loop: Header=BB2_3955 Depth=3
	s_or_b32 exec_lo, exec_lo, s35
	s_delay_alu instid0(SALU_CYCLE_1)
	s_and_b32 s13, s13, exec_lo
                                        ; implicit-def: $vgpr145
	s_or_saveexec_b32 s34, s34
	v_mov_b32_e32 v69, s31
	s_xor_b32 exec_lo, exec_lo, s34
	s_cbranch_execz .LBB2_4176
.LBB2_4312:                             ;   in Loop: Header=BB2_3955 Depth=3
	v_cmp_ne_u16_e64 vcc_lo, 0, v145
	v_mov_b32_e32 v69, 0
	s_and_not1_b32 s13, s13, exec_lo
	s_delay_alu instid0(VALU_DEP_2) | instskip(NEXT) | instid1(SALU_CYCLE_1)
	s_and_b32 vcc_lo, vcc_lo, exec_lo
	s_or_b32 s13, s13, vcc_lo
	s_or_b32 exec_lo, exec_lo, s34
	s_and_saveexec_b32 s31, s13
	s_cbranch_execnz .LBB2_4177
	s_branch .LBB2_4178
.LBB2_4313:                             ;   in Loop: Header=BB2_2404 Depth=2
	s_or_b32 exec_lo, exec_lo, s16
.LBB2_4314:                             ;   in Loop: Header=BB2_2404 Depth=2
	s_delay_alu instid0(SALU_CYCLE_1) | instskip(SKIP_2) | instid1(VALU_DEP_1)
	s_or_b32 exec_lo, exec_lo, s14
	v_lshlrev_b32_e32 v8, 8, v67
	s_mov_b32 s31, exec_lo
	v_cmpx_ne_u32_e64 v65, v8
	s_cbranch_execz .LBB2_4366
; %bb.4315:                             ;   in Loop: Header=BB2_2404 Depth=2
	v_ashrrev_i32_e32 v9, 31, v66
	v_lshlrev_b32_e32 v2, 5, v2
	s_delay_alu instid0(VALU_DEP_2) | instskip(NEXT) | instid1(VALU_DEP_1)
	v_lshrrev_b32_e32 v9, 27, v9
	v_add_nc_u32_e32 v9, v66, v9
	s_delay_alu instid0(VALU_DEP_1) | instskip(NEXT) | instid1(VALU_DEP_1)
	v_and_b32_e32 v9, 0xffffffe0, v9
	v_sub_nc_u32_e32 v9, v66, v9
	s_delay_alu instid0(VALU_DEP_1) | instskip(NEXT) | instid1(VALU_DEP_1)
	v_sub_nc_u32_e32 v2, v9, v2
	v_add_nc_u32_e32 v8, v8, v2
	s_delay_alu instid0(VALU_DEP_1) | instskip(NEXT) | instid1(VALU_DEP_1)
	v_sub_nc_u32_e32 v2, v65, v8
	v_cmp_lt_i32_e32 vcc_lo, 0, v2
	s_and_b32 exec_lo, exec_lo, vcc_lo
	s_cbranch_execz .LBB2_4366
; %bb.4316:                             ;   in Loop: Header=BB2_2404 Depth=2
	s_cbranch_execnz .LBB2_7352
; %bb.4317:                             ;   in Loop: Header=BB2_2404 Depth=2
	ds_load_b128 v[9:12], v0
	v_add_nc_u32_e32 v13, v8, v64
	s_bitcmp1_b32 s30, 0
	s_mov_b32 s34, 0
	s_cselect_b32 s35, -1, 0
	s_delay_alu instid0(VALU_DEP_1) | instskip(SKIP_2) | instid1(VALU_DEP_2)
	v_ashrrev_i32_e32 v14, 31, v13
	s_waitcnt lgkmcnt(0)
	v_add_co_u32 v8, vcc_lo, v9, v13
	v_add_co_ci_u32_e32 v9, vcc_lo, v10, v14, vcc_lo
	v_add_co_u32 v10, vcc_lo, v11, v13
	v_add_co_ci_u32_e32 v11, vcc_lo, v12, v14, vcc_lo
	s_delay_alu instid0(VALU_DEP_3) | instskip(NEXT) | instid1(VALU_DEP_2)
	v_dual_mov_b32 v13, v9 :: v_dual_mov_b32 v12, v8
	v_dual_mov_b32 v15, v11 :: v_dual_mov_b32 v14, v10
.LBB2_4318:                             ;   Parent Loop BB2_51 Depth=1
                                        ;     Parent Loop BB2_2404 Depth=2
                                        ; =>    This Loop Header: Depth=3
                                        ;         Child Loop BB2_4348 Depth 4
	flat_load_u8 v65, v[14:15] slc dlc
	flat_load_u8 v66, v[12:13] slc dlc
	s_waitcnt vmcnt(1) lgkmcnt(1)
	v_bfe_u32 v69, v65, 3, 4
	v_lshlrev_b32_e32 v70, 24, v65
	s_delay_alu instid0(VALU_DEP_2) | instskip(SKIP_1) | instid1(VALU_DEP_1)
	v_cmp_eq_u32_e32 vcc_lo, 0, v69
	v_and_b32_e32 v64, 7, v65
	v_clz_i32_u32_e32 v67, v64
	s_delay_alu instid0(VALU_DEP_1) | instskip(NEXT) | instid1(VALU_DEP_1)
	v_min_u32_e32 v67, 32, v67
	v_subrev_nc_u32_e32 v68, 28, v67
	v_sub_nc_u32_e32 v67, 29, v67
	s_delay_alu instid0(VALU_DEP_1) | instskip(NEXT) | instid1(VALU_DEP_1)
	v_dual_cndmask_b32 v67, v69, v67 :: v_dual_lshlrev_b32 v68, v68, v65
	v_and_b32_e32 v68, 7, v68
	s_delay_alu instid0(VALU_DEP_2) | instskip(NEXT) | instid1(VALU_DEP_2)
	v_lshl_add_u32 v67, v67, 23, 0x3b800000
	v_cndmask_b32_e32 v64, v64, v68, vcc_lo
	v_and_b32_e32 v68, 0x80000000, v70
	s_and_b32 vcc_lo, exec_lo, s35
	s_delay_alu instid0(VALU_DEP_2) | instskip(NEXT) | instid1(VALU_DEP_1)
	v_lshlrev_b32_e32 v64, 20, v64
	v_or3_b32 v64, v68, v67, v64
	s_cbranch_vccz .LBB2_4328
; %bb.4319:                             ;   in Loop: Header=BB2_4318 Depth=3
	s_waitcnt vmcnt(0) lgkmcnt(0)
	v_and_b32_e32 v68, 0xff, v66
	s_mov_b32 s13, 0
	s_mov_b32 s16, exec_lo
                                        ; implicit-def: $sgpr14
	s_delay_alu instid0(VALU_DEP_1)
	v_cmpx_lt_i16_e32 0x7f, v68
	s_xor_b32 s16, exec_lo, s16
	s_cbranch_execnz .LBB2_4350
; %bb.4320:                             ;   in Loop: Header=BB2_4318 Depth=3
	s_or_saveexec_b32 s16, s16
	v_mov_b32_e32 v67, s14
	s_xor_b32 exec_lo, exec_lo, s16
	s_cbranch_execnz .LBB2_4353
.LBB2_4321:                             ;   in Loop: Header=BB2_4318 Depth=3
	s_or_b32 exec_lo, exec_lo, s16
	s_and_saveexec_b32 s14, s13
	s_cbranch_execz .LBB2_4323
.LBB2_4322:                             ;   in Loop: Header=BB2_4318 Depth=3
	v_lshrrev_b16 v70, 3, v66
	v_lshlrev_b32_e32 v71, 24, v66
	s_delay_alu instid0(VALU_DEP_2) | instskip(NEXT) | instid1(VALU_DEP_1)
	v_and_b32_e32 v70, 15, v70
	v_cmp_eq_u32_e32 vcc_lo, 0, v70
	v_and_b32_e32 v67, 7, v66
	s_delay_alu instid0(VALU_DEP_1) | instskip(NEXT) | instid1(VALU_DEP_1)
	v_clz_i32_u32_e32 v68, v67
	v_min_u32_e32 v68, 32, v68
	s_delay_alu instid0(VALU_DEP_1) | instskip(SKIP_1) | instid1(VALU_DEP_1)
	v_subrev_nc_u32_e32 v69, 28, v68
	v_sub_nc_u32_e32 v68, 29, v68
	v_dual_cndmask_b32 v68, v70, v68 :: v_dual_lshlrev_b32 v69, v69, v66
	s_delay_alu instid0(VALU_DEP_1) | instskip(NEXT) | instid1(VALU_DEP_2)
	v_and_b32_e32 v69, 7, v69
	v_lshl_add_u32 v68, v68, 23, 0x3b800000
	s_delay_alu instid0(VALU_DEP_2) | instskip(SKIP_1) | instid1(VALU_DEP_2)
	v_cndmask_b32_e32 v67, v67, v69, vcc_lo
	v_and_b32_e32 v69, 0x80000000, v71
	v_lshlrev_b32_e32 v67, 20, v67
	s_delay_alu instid0(VALU_DEP_1)
	v_or3_b32 v67, v69, v68, v67
.LBB2_4323:                             ;   in Loop: Header=BB2_4318 Depth=3
	s_or_b32 exec_lo, exec_lo, s14
	v_and_b32_e32 v68, 0xff, v65
	s_mov_b32 s13, 0
	s_mov_b32 s16, exec_lo
                                        ; implicit-def: $sgpr14
	s_delay_alu instid0(VALU_DEP_1)
	v_cmpx_lt_i16_e32 0x7f, v68
	s_xor_b32 s16, exec_lo, s16
	s_cbranch_execnz .LBB2_4354
; %bb.4324:                             ;   in Loop: Header=BB2_4318 Depth=3
	s_or_saveexec_b32 s16, s16
	v_mov_b32_e32 v69, s14
	s_xor_b32 exec_lo, exec_lo, s16
	s_cbranch_execnz .LBB2_4357
.LBB2_4325:                             ;   in Loop: Header=BB2_4318 Depth=3
	s_or_b32 exec_lo, exec_lo, s16
	s_and_saveexec_b32 s14, s13
.LBB2_4326:                             ;   in Loop: Header=BB2_4318 Depth=3
	v_mov_b32_e32 v69, v64
.LBB2_4327:                             ;   in Loop: Header=BB2_4318 Depth=3
	s_or_b32 exec_lo, exec_lo, s14
	s_delay_alu instid0(VALU_DEP_1) | instskip(SKIP_1) | instid1(VALU_DEP_1)
	v_dual_max_f32 v68, v69, v69 :: v_dual_max_f32 v67, v67, v67
	s_mov_b32 s13, 0
	v_max_f32_e32 v67, v67, v68
	s_branch .LBB2_4329
.LBB2_4328:                             ;   in Loop: Header=BB2_4318 Depth=3
	s_mov_b32 s13, -1
                                        ; implicit-def: $vgpr67
.LBB2_4329:                             ;   in Loop: Header=BB2_4318 Depth=3
	s_delay_alu instid0(SALU_CYCLE_1)
	s_and_b32 vcc_lo, exec_lo, s13
	s_cbranch_vccz .LBB2_4339
; %bb.4330:                             ;   in Loop: Header=BB2_4318 Depth=3
	s_waitcnt vmcnt(0) lgkmcnt(0)
	v_and_b32_e32 v68, 0xff, v66
	s_mov_b32 s13, 0
	s_mov_b32 s16, exec_lo
                                        ; implicit-def: $sgpr14
	s_delay_alu instid0(VALU_DEP_1)
	v_cmpx_lt_i16_e32 0x7f, v68
	s_xor_b32 s16, exec_lo, s16
	s_cbranch_execnz .LBB2_4358
; %bb.4331:                             ;   in Loop: Header=BB2_4318 Depth=3
	s_or_saveexec_b32 s16, s16
	v_mov_b32_e32 v67, s14
	s_xor_b32 exec_lo, exec_lo, s16
	s_cbranch_execnz .LBB2_4361
.LBB2_4332:                             ;   in Loop: Header=BB2_4318 Depth=3
	s_or_b32 exec_lo, exec_lo, s16
	s_and_saveexec_b32 s14, s13
	s_cbranch_execz .LBB2_4334
.LBB2_4333:                             ;   in Loop: Header=BB2_4318 Depth=3
	v_lshrrev_b16 v70, 3, v66
	s_delay_alu instid0(VALU_DEP_1) | instskip(NEXT) | instid1(VALU_DEP_1)
	v_and_b32_e32 v70, 15, v70
	v_cmp_eq_u32_e32 vcc_lo, 0, v70
	v_and_b32_e32 v67, 7, v66
	s_delay_alu instid0(VALU_DEP_1) | instskip(NEXT) | instid1(VALU_DEP_1)
	v_clz_i32_u32_e32 v68, v67
	v_min_u32_e32 v68, 32, v68
	s_delay_alu instid0(VALU_DEP_1) | instskip(SKIP_1) | instid1(VALU_DEP_1)
	v_subrev_nc_u32_e32 v69, 28, v68
	v_sub_nc_u32_e32 v68, 29, v68
	v_dual_cndmask_b32 v68, v70, v68 :: v_dual_lshlrev_b32 v69, v69, v66
	v_lshlrev_b32_e32 v66, 24, v66
	s_delay_alu instid0(VALU_DEP_2) | instskip(NEXT) | instid1(VALU_DEP_3)
	v_and_b32_e32 v69, 7, v69
	v_lshl_add_u32 v68, v68, 23, 0x3b800000
	s_delay_alu instid0(VALU_DEP_2) | instskip(NEXT) | instid1(VALU_DEP_1)
	v_dual_cndmask_b32 v67, v67, v69 :: v_dual_and_b32 v66, 0x80000000, v66
	v_lshlrev_b32_e32 v67, 20, v67
	s_delay_alu instid0(VALU_DEP_1)
	v_or3_b32 v67, v66, v68, v67
.LBB2_4334:                             ;   in Loop: Header=BB2_4318 Depth=3
	s_or_b32 exec_lo, exec_lo, s14
	v_and_b32_e32 v65, 0xff, v65
	s_mov_b32 s13, 0
	s_mov_b32 s16, exec_lo
                                        ; implicit-def: $sgpr14
	s_delay_alu instid0(VALU_DEP_1)
	v_cmpx_lt_i16_e32 0x7f, v65
	s_xor_b32 s16, exec_lo, s16
	s_cbranch_execnz .LBB2_4362
; %bb.4335:                             ;   in Loop: Header=BB2_4318 Depth=3
	s_or_saveexec_b32 s16, s16
	v_mov_b32_e32 v66, s14
	s_xor_b32 exec_lo, exec_lo, s16
	s_cbranch_execnz .LBB2_4365
.LBB2_4336:                             ;   in Loop: Header=BB2_4318 Depth=3
	s_or_b32 exec_lo, exec_lo, s16
	s_and_saveexec_b32 s14, s13
.LBB2_4337:                             ;   in Loop: Header=BB2_4318 Depth=3
	v_mov_b32_e32 v66, v64
.LBB2_4338:                             ;   in Loop: Header=BB2_4318 Depth=3
	s_or_b32 exec_lo, exec_lo, s14
	s_delay_alu instid0(VALU_DEP_1) | instskip(NEXT) | instid1(VALU_DEP_1)
	v_dual_max_f32 v64, v66, v66 :: v_dual_max_f32 v65, v67, v67
	v_min_f32_e32 v67, v65, v64
.LBB2_4339:                             ;   in Loop: Header=BB2_4318 Depth=3
	s_delay_alu instid0(VALU_DEP_1) | instskip(NEXT) | instid1(VALU_DEP_1)
	v_and_b32_e32 v64, 0x7f800000, v67
	v_cmp_ne_u32_e32 vcc_lo, 0x7f800000, v64
	v_mov_b32_e32 v64, 0x80
	s_and_saveexec_b32 s14, vcc_lo
	s_cbranch_execz .LBB2_4347
; %bb.4340:                             ;   in Loop: Header=BB2_4318 Depth=3
	v_mov_b32_e32 v64, 0
	s_mov_b32 s16, exec_lo
	v_cmpx_ne_u32_e32 0, v67
	s_cbranch_execz .LBB2_4346
; %bb.4341:                             ;   in Loop: Header=BB2_4318 Depth=3
	v_bfe_u32 v64, v67, 23, 8
	s_waitcnt vmcnt(0) lgkmcnt(0)
	s_delay_alu instid0(VALU_DEP_1) | instskip(SKIP_1) | instid1(VALU_DEP_2)
	v_sub_nc_u32_e32 v66, 0x78, v64
	v_cmp_gt_u32_e32 vcc_lo, 0x79, v64
	v_dual_cndmask_b32 v66, 0, v66 :: v_dual_and_b32 v65, 0x7fffff, v67
	s_delay_alu instid0(VALU_DEP_1) | instskip(SKIP_2) | instid1(VALU_DEP_4)
	v_or_b32_e32 v68, 0x800000, v65
	v_cmp_eq_u32_e32 vcc_lo, 0, v64
	v_add_nc_u32_e32 v64, 0xffffff89, v64
	v_cndmask_b32_e64 v66, v66, 0x77, vcc_lo
	s_delay_alu instid0(VALU_DEP_4) | instskip(NEXT) | instid1(VALU_DEP_3)
	v_cndmask_b32_e32 v65, v68, v65, vcc_lo
	v_cndmask_b32_e64 v64, v64, 0xffffff8a, vcc_lo
	s_delay_alu instid0(VALU_DEP_3) | instskip(NEXT) | instid1(VALU_DEP_3)
	v_lshl_add_u32 v68, 0x100000, v66, -1
	v_lshrrev_b32_e32 v69, v66, v65
	v_lshlrev_b32_e64 v71, v66, 0x80000
	s_delay_alu instid0(VALU_DEP_4) | instskip(NEXT) | instid1(VALU_DEP_4)
	v_add_nc_u32_e32 v66, v66, v64
	v_and_b32_e32 v65, v68, v65
	s_delay_alu instid0(VALU_DEP_4) | instskip(NEXT) | instid1(VALU_DEP_2)
	v_bfe_u32 v70, v69, 20, 1
	v_cmp_eq_u32_e64 s13, v65, v71
	s_delay_alu instid0(VALU_DEP_2) | instskip(NEXT) | instid1(VALU_DEP_1)
	v_add_nc_u32_e32 v68, -1, v70
	v_cndmask_b32_e64 v65, 0, v68, s13
	v_lshrrev_b32_e32 v68, 23, v69
	s_mov_b32 s13, exec_lo
	s_delay_alu instid0(VALU_DEP_2) | instskip(NEXT) | instid1(VALU_DEP_2)
	v_add_nc_u32_e32 v65, v65, v69
	v_xor_b32_e32 v68, 1, v68
	s_delay_alu instid0(VALU_DEP_2) | instskip(NEXT) | instid1(VALU_DEP_1)
	v_and_b32_e32 v64, 0xfffff, v65
	v_add_nc_u32_e32 v65, v64, v69
                                        ; implicit-def: $vgpr64
	s_delay_alu instid0(VALU_DEP_3)
	v_cmpx_ne_u32_e64 v66, v68
	s_xor_b32 s13, exec_lo, s13
; %bb.4342:                             ;   in Loop: Header=BB2_4318 Depth=3
	s_delay_alu instid0(VALU_DEP_2) | instskip(SKIP_2) | instid1(VALU_DEP_2)
	v_cmp_lt_u32_e32 vcc_lo, 0xffffff, v65
	v_sub_nc_u32_e32 v64, v66, v68
	v_cndmask_b32_e64 v66, 0, 1, vcc_lo
	v_add_co_ci_u32_e32 v64, vcc_lo, 0, v64, vcc_lo
	s_delay_alu instid0(VALU_DEP_2)
	v_lshrrev_b32_e32 v65, v66, v65
; %bb.4343:                             ;   in Loop: Header=BB2_4318 Depth=3
	s_and_not1_saveexec_b32 s13, s13
; %bb.4344:                             ;   in Loop: Header=BB2_4318 Depth=3
	s_delay_alu instid0(VALU_DEP_1)
	v_bfe_u32 v64, v65, 23, 1
; %bb.4345:                             ;   in Loop: Header=BB2_4318 Depth=3
	s_or_b32 exec_lo, exec_lo, s13
	v_lshrrev_b32_e32 v65, 20, v65
	s_delay_alu instid0(VALU_DEP_2) | instskip(SKIP_2) | instid1(VALU_DEP_2)
	v_cmp_gt_i32_e32 vcc_lo, 16, v64
	v_lshrrev_b32_e32 v66, 24, v67
	v_min_i32_e32 v67, 15, v64
	v_dual_cndmask_b32 v65, 7, v65 :: v_dual_and_b32 v66, 0x80, v66
	s_delay_alu instid0(VALU_DEP_1) | instskip(SKIP_1) | instid1(VALU_DEP_2)
	v_or_b32_e32 v64, v64, v65
	v_and_b32_e32 v68, 7, v65
	v_cmp_ne_u32_e32 vcc_lo, 0, v64
	v_lshlrev_b32_e32 v67, 3, v67
	s_delay_alu instid0(VALU_DEP_1) | instskip(NEXT) | instid1(VALU_DEP_1)
	v_or3_b32 v65, v67, v66, v68
	v_cndmask_b32_e32 v64, 0, v65, vcc_lo
.LBB2_4346:                             ;   in Loop: Header=BB2_4318 Depth=3
	s_or_b32 exec_lo, exec_lo, s16
.LBB2_4347:                             ;   in Loop: Header=BB2_4318 Depth=3
	s_delay_alu instid0(SALU_CYCLE_1)
	s_or_b32 exec_lo, exec_lo, s14
	s_mov_b64 s[16:17], 0
	s_mov_b32 s36, -1
.LBB2_4348:                             ;   Parent Loop BB2_51 Depth=1
                                        ;     Parent Loop BB2_2404 Depth=2
                                        ;       Parent Loop BB2_4318 Depth=3
                                        ; =>      This Inner Loop Header: Depth=4
	s_cmp_eq_u32 s16, 1
	s_cselect_b32 vcc_lo, -1, 0
	s_cmp_eq_u32 s16, 0
	s_waitcnt vmcnt(0) lgkmcnt(0)
	v_dual_cndmask_b32 v66, v9, v11 :: v_dual_cndmask_b32 v65, v8, v10
	s_mov_b64 s[16:17], 1
	s_delay_alu instid0(VALU_DEP_1) | instskip(NEXT) | instid1(VALU_DEP_1)
	v_add_co_u32 v67, s13, v65, 32
	v_add_co_ci_u32_e64 v68, s13, 0, v66, s13
	s_cselect_b32 s13, -1, 0
	s_and_b32 s14, exec_lo, s36
	s_delay_alu instid0(VALU_DEP_1)
	v_dual_cndmask_b32 v10, v10, v67 :: v_dual_cndmask_b32 v11, v11, v68
	v_cndmask_b32_e64 v9, v9, v68, s13
	v_cndmask_b32_e64 v8, v8, v67, s13
	s_mov_b32 s36, 0
	s_mov_b32 vcc_lo, s14
	flat_store_b8 v[65:66], v64 glc slc dlc
	s_cbranch_vccnz .LBB2_4348
; %bb.4349:                             ;   in Loop: Header=BB2_4318 Depth=3
	v_add_co_u32 v12, vcc_lo, v12, v114
	v_add_co_ci_u32_e32 v13, vcc_lo, v13, v115, vcc_lo
	v_add_co_u32 v14, vcc_lo, v14, v114
	v_sub_nc_u32_e32 v2, v2, v99
	v_add_co_ci_u32_e32 v15, vcc_lo, v15, v115, vcc_lo
	v_add_co_u32 v8, vcc_lo, v8, v102
	v_add_co_ci_u32_e32 v9, vcc_lo, v9, v113, vcc_lo
	s_delay_alu instid0(VALU_DEP_4) | instskip(SKIP_1) | instid1(VALU_DEP_1)
	v_cmp_gt_i32_e32 vcc_lo, 1, v2
	v_add_co_u32 v10, s13, v10, v102
	v_add_co_ci_u32_e64 v11, s13, v11, v113, s13
	s_or_b32 s34, vcc_lo, s34
	s_delay_alu instid0(SALU_CYCLE_1)
	s_and_not1_b32 exec_lo, exec_lo, s34
	s_cbranch_execnz .LBB2_4318
	s_branch .LBB2_4366
.LBB2_4350:                             ;   in Loop: Header=BB2_4318 Depth=3
	s_mov_b32 s13, -1
	s_mov_b32 s17, exec_lo
                                        ; implicit-def: $sgpr14
	v_cmpx_eq_u16_e32 0x80, v68
; %bb.4351:                             ;   in Loop: Header=BB2_4318 Depth=3
	s_mov_b32 s14, 0x7f800001
	s_xor_b32 s13, exec_lo, -1
; %bb.4352:                             ;   in Loop: Header=BB2_4318 Depth=3
	s_or_b32 exec_lo, exec_lo, s17
	s_delay_alu instid0(SALU_CYCLE_1)
	s_and_b32 s13, s13, exec_lo
                                        ; implicit-def: $vgpr68
	s_or_saveexec_b32 s16, s16
	v_mov_b32_e32 v67, s14
	s_xor_b32 exec_lo, exec_lo, s16
	s_cbranch_execz .LBB2_4321
.LBB2_4353:                             ;   in Loop: Header=BB2_4318 Depth=3
	v_cmp_ne_u16_e32 vcc_lo, 0, v68
	v_mov_b32_e32 v67, 0
	s_and_not1_b32 s13, s13, exec_lo
	s_and_b32 s14, vcc_lo, exec_lo
	s_delay_alu instid0(SALU_CYCLE_1)
	s_or_b32 s13, s13, s14
	s_or_b32 exec_lo, exec_lo, s16
	s_and_saveexec_b32 s14, s13
	s_cbranch_execnz .LBB2_4322
	s_branch .LBB2_4323
.LBB2_4354:                             ;   in Loop: Header=BB2_4318 Depth=3
	s_mov_b32 s13, -1
	s_mov_b32 s17, exec_lo
                                        ; implicit-def: $sgpr14
	v_cmpx_eq_u16_e32 0x80, v68
; %bb.4355:                             ;   in Loop: Header=BB2_4318 Depth=3
	s_mov_b32 s14, 0x7f800001
	s_xor_b32 s13, exec_lo, -1
; %bb.4356:                             ;   in Loop: Header=BB2_4318 Depth=3
	s_or_b32 exec_lo, exec_lo, s17
	s_delay_alu instid0(SALU_CYCLE_1)
	s_and_b32 s13, s13, exec_lo
                                        ; implicit-def: $vgpr68
	s_or_saveexec_b32 s16, s16
	v_mov_b32_e32 v69, s14
	s_xor_b32 exec_lo, exec_lo, s16
	s_cbranch_execz .LBB2_4325
.LBB2_4357:                             ;   in Loop: Header=BB2_4318 Depth=3
	v_cmp_ne_u16_e32 vcc_lo, 0, v68
	v_mov_b32_e32 v69, 0
	s_and_not1_b32 s13, s13, exec_lo
	s_and_b32 s14, vcc_lo, exec_lo
	s_delay_alu instid0(SALU_CYCLE_1)
	s_or_b32 s13, s13, s14
	s_or_b32 exec_lo, exec_lo, s16
	s_and_saveexec_b32 s14, s13
	s_cbranch_execnz .LBB2_4326
	s_branch .LBB2_4327
.LBB2_4358:                             ;   in Loop: Header=BB2_4318 Depth=3
	s_mov_b32 s13, -1
	s_mov_b32 s17, exec_lo
                                        ; implicit-def: $sgpr14
	v_cmpx_eq_u16_e32 0x80, v68
; %bb.4359:                             ;   in Loop: Header=BB2_4318 Depth=3
	s_mov_b32 s14, 0x7f800001
	s_xor_b32 s13, exec_lo, -1
; %bb.4360:                             ;   in Loop: Header=BB2_4318 Depth=3
	s_or_b32 exec_lo, exec_lo, s17
	s_delay_alu instid0(SALU_CYCLE_1)
	s_and_b32 s13, s13, exec_lo
                                        ; implicit-def: $vgpr68
	s_or_saveexec_b32 s16, s16
	v_mov_b32_e32 v67, s14
	s_xor_b32 exec_lo, exec_lo, s16
	s_cbranch_execz .LBB2_4332
.LBB2_4361:                             ;   in Loop: Header=BB2_4318 Depth=3
	v_cmp_ne_u16_e32 vcc_lo, 0, v68
	v_mov_b32_e32 v67, 0
	s_and_not1_b32 s13, s13, exec_lo
	s_and_b32 s14, vcc_lo, exec_lo
	s_delay_alu instid0(SALU_CYCLE_1)
	s_or_b32 s13, s13, s14
	s_or_b32 exec_lo, exec_lo, s16
	s_and_saveexec_b32 s14, s13
	s_cbranch_execnz .LBB2_4333
	s_branch .LBB2_4334
.LBB2_4362:                             ;   in Loop: Header=BB2_4318 Depth=3
	s_mov_b32 s13, -1
	s_mov_b32 s17, exec_lo
                                        ; implicit-def: $sgpr14
	v_cmpx_eq_u16_e32 0x80, v65
; %bb.4363:                             ;   in Loop: Header=BB2_4318 Depth=3
	s_mov_b32 s14, 0x7f800001
	s_xor_b32 s13, exec_lo, -1
; %bb.4364:                             ;   in Loop: Header=BB2_4318 Depth=3
	s_or_b32 exec_lo, exec_lo, s17
	s_delay_alu instid0(SALU_CYCLE_1)
	s_and_b32 s13, s13, exec_lo
                                        ; implicit-def: $vgpr65
	s_or_saveexec_b32 s16, s16
	v_mov_b32_e32 v66, s14
	s_xor_b32 exec_lo, exec_lo, s16
	s_cbranch_execz .LBB2_4336
.LBB2_4365:                             ;   in Loop: Header=BB2_4318 Depth=3
	v_cmp_ne_u16_e32 vcc_lo, 0, v65
	v_mov_b32_e32 v66, 0
	s_and_not1_b32 s13, s13, exec_lo
	s_and_b32 s14, vcc_lo, exec_lo
	s_delay_alu instid0(SALU_CYCLE_1)
	s_or_b32 s13, s13, s14
	s_or_b32 exec_lo, exec_lo, s16
	s_and_saveexec_b32 s14, s13
	s_cbranch_execnz .LBB2_4337
	s_branch .LBB2_4338
.LBB2_4366:                             ;   in Loop: Header=BB2_2404 Depth=2
	s_or_b32 exec_lo, exec_lo, s31
.LBB2_4367:                             ;   in Loop: Header=BB2_2404 Depth=2
	s_delay_alu instid0(SALU_CYCLE_1)
	s_or_b32 exec_lo, exec_lo, s15
	s_mov_b32 s13, 0
.LBB2_4368:                             ;   in Loop: Header=BB2_2404 Depth=2
	s_delay_alu instid0(SALU_CYCLE_1)
	s_and_b32 vcc_lo, exec_lo, s13
	s_cbranch_vccz .LBB2_6247
; %bb.4369:                             ;   in Loop: Header=BB2_2404 Depth=2
	s_mov_b32 s13, -1
	s_and_saveexec_b32 s14, s12
	s_cbranch_execz .LBB2_4371
; %bb.4370:                             ;   in Loop: Header=BB2_2404 Depth=2
	ds_load_b32 v2, v0 offset:720
	s_waitcnt lgkmcnt(0)
	v_and_b32_e32 v2, 15, v2
	s_delay_alu instid0(VALU_DEP_1)
	v_cmp_eq_u32_e32 vcc_lo, 0, v2
	s_or_not1_b32 s13, vcc_lo, exec_lo
.LBB2_4371:                             ;   in Loop: Header=BB2_2404 Depth=2
	s_or_b32 exec_lo, exec_lo, s14
	s_and_saveexec_b32 s14, s5
	s_cbranch_execz .LBB2_4373
; %bb.4372:                             ;   in Loop: Header=BB2_2404 Depth=2
	ds_load_b32 v2, v0 offset:784
	s_waitcnt lgkmcnt(0)
	v_and_b32_e32 v2, 15, v2
	s_delay_alu instid0(VALU_DEP_1) | instskip(SKIP_3) | instid1(SALU_CYCLE_1)
	v_cmp_eq_u32_e32 vcc_lo, 0, v2
	s_and_b32 s15, s13, vcc_lo
	s_and_not1_b32 s13, s13, exec_lo
	s_and_b32 s15, s15, exec_lo
	s_or_b32 s13, s13, s15
.LBB2_4373:                             ;   in Loop: Header=BB2_2404 Depth=2
	s_or_b32 exec_lo, exec_lo, s14
	s_xor_b32 s13, s13, -1
	v_dual_mov_b32 v14, 0 :: v_dual_mov_b32 v15, v55
	v_cndmask_b32_e64 v2, 0, 1, s13
	;;#ASMSTART
	;;#ASMEND
	s_delay_alu instid0(VALU_DEP_1)
	v_cmp_ne_u32_e32 vcc_lo, 0, v2
	v_mov_b32_e32 v64, v0
	v_mov_b32_e32 v8, v84
	s_mov_b32 s16, -1
	s_cbranch_vccnz .LBB2_5829
; %bb.4374:                             ;   in Loop: Header=BB2_2404 Depth=2
	v_ashrrev_i32_e32 v2, 31, v55
	v_sub_nc_u32_e32 v70, v55, v116
	s_mov_b32 s15, exec_lo
	s_delay_alu instid0(VALU_DEP_2) | instskip(NEXT) | instid1(VALU_DEP_1)
	v_lshrrev_b32_e32 v2, 23, v2
	v_add_nc_u32_e32 v8, v55, v2
	s_delay_alu instid0(VALU_DEP_1) | instskip(SKIP_1) | instid1(VALU_DEP_2)
	v_and_b32_e32 v2, 0xfffffe00, v8
	v_ashrrev_i32_e32 v8, 9, v8
	v_sub_nc_u32_e32 v71, v55, v2
	s_delay_alu instid0(VALU_DEP_1) | instskip(NEXT) | instid1(VALU_DEP_1)
	v_cmp_lt_i32_e64 s13, 15, v71
	v_add_co_ci_u32_e64 v134, vcc_lo, v8, v117, s13
	v_cmpx_lt_i32_e32 15, v70
	s_cbranch_execz .LBB2_5099
; %bb.4375:                             ;   in Loop: Header=BB2_2404 Depth=2
	s_cbranch_execnz .LBB2_7318
; %bb.4376:                             ;   in Loop: Header=BB2_2404 Depth=2
	ds_load_b128 v[8:11], v0
	ds_load_b64 v[12:13], v0
	s_bitcmp1_b32 s30, 0
	s_mov_b32 s16, 0
	s_cselect_b32 s17, -1, 0
	s_waitcnt lgkmcnt(1)
	v_add_co_u32 v64, vcc_lo, v8, v116
	v_add_co_ci_u32_e32 v65, vcc_lo, v9, v118, vcc_lo
	s_waitcnt vmcnt(0)
	v_add_co_u32 v66, vcc_lo, v10, v116
	v_add_co_ci_u32_e32 v67, vcc_lo, v11, v118, vcc_lo
	s_waitcnt lgkmcnt(0)
	v_add_co_u32 v68, vcc_lo, v12, v116
	v_add_co_ci_u32_e32 v69, vcc_lo, v13, v118, vcc_lo
	s_branch .LBB2_4380
.LBB2_4377:                             ;   in Loop: Header=BB2_4380 Depth=3
	s_or_b32 exec_lo, exec_lo, s14
	s_delay_alu instid0(VALU_DEP_1) | instskip(NEXT) | instid1(VALU_DEP_2)
	v_lshrrev_b32_e32 v15, 20, v15
	v_cmp_gt_i32_e32 vcc_lo, 16, v11
	v_min_i32_e32 v160, 15, v11
	v_lshrrev_b32_e32 v161, 24, v162
	s_delay_alu instid0(VALU_DEP_2) | instskip(NEXT) | instid1(VALU_DEP_2)
	v_dual_cndmask_b32 v15, 7, v15 :: v_dual_lshlrev_b32 v160, 3, v160
	v_and_b32_e32 v161, 0x80, v161
	s_delay_alu instid0(VALU_DEP_2) | instskip(SKIP_1) | instid1(VALU_DEP_2)
	v_or_b32_e32 v11, v11, v15
	v_and_b32_e32 v162, 7, v15
	v_cmp_ne_u32_e32 vcc_lo, 0, v11
	v_and_b32_e32 v160, 0xf8, v160
	s_delay_alu instid0(VALU_DEP_1) | instskip(NEXT) | instid1(VALU_DEP_1)
	v_or3_b32 v160, v161, v160, v162
	v_lshlrev_b32_e32 v15, 8, v160
	s_delay_alu instid0(VALU_DEP_1)
	v_cndmask_b32_e32 v11, 0, v15, vcc_lo
.LBB2_4378:                             ;   in Loop: Header=BB2_4380 Depth=3
	s_or_b32 exec_lo, exec_lo, s34
.LBB2_4379:                             ;   in Loop: Header=BB2_4380 Depth=3
	s_delay_alu instid0(SALU_CYCLE_1)
	s_or_b32 exec_lo, exec_lo, s31
	v_lshlrev_b32_e32 v15, 8, v146
	v_and_b32_e32 v145, 0xff, v145
	v_or_b32_e32 v9, v9, v147
	v_lshlrev_b32_e32 v144, 8, v144
	v_lshlrev_b32_e32 v146, 8, v148
	v_perm_b32 v12, v15, v12, 0xc0c0500
	v_lshlrev_b32_e32 v15, 16, v145
	v_and_b32_e32 v145, 0xff, v149
	v_lshlrev_b32_e32 v147, 8, v150
	v_lshlrev_b32_e32 v8, 24, v8
	v_perm_b32 v135, v144, v135, 0xc0c0500
	v_lshlrev_b32_e32 v10, 24, v10
	v_lshlrev_b32_e32 v144, 16, v145
	v_perm_b32 v13, v146, v13, 0xc0c0500
	v_perm_b32 v14, v147, v14, 0xc0c0500
	v_or_b32_e32 v11, v11, v151
	v_add_co_u32 v64, vcc_lo, v64, v100
	v_lshl_or_b32 v9, v9, 16, v12
	v_or3_b32 v8, v8, v15, v135
	v_or3_b32 v10, v10, v144, v13
	v_lshl_or_b32 v11, v11, 16, v14
	v_sub_nc_u32_e32 v70, v70, v86
	v_add_co_ci_u32_e32 v65, vcc_lo, v65, v101, vcc_lo
	v_add_co_u32 v66, vcc_lo, v66, v100
	v_add_co_ci_u32_e32 v67, vcc_lo, v67, v101, vcc_lo
	global_store_b128 v[68:69], v[8:11], off glc slc dlc
	v_cmp_gt_i32_e32 vcc_lo, 16, v70
	v_add_co_u32 v68, s14, v68, v100
	s_delay_alu instid0(VALU_DEP_1) | instskip(SKIP_2) | instid1(SALU_CYCLE_1)
	v_add_co_ci_u32_e64 v69, s14, v69, v101, s14
	v_sub_nc_u32_e32 v134, v134, v83
	s_or_b32 s16, vcc_lo, s16
	s_and_not1_b32 exec_lo, exec_lo, s16
	s_cbranch_execz .LBB2_5098
.LBB2_4380:                             ;   Parent Loop BB2_51 Depth=1
                                        ;     Parent Loop BB2_2404 Depth=2
                                        ; =>    This Inner Loop Header: Depth=3
	global_load_b128 v[12:15], v[64:65], off slc dlc
	global_load_b128 v[8:11], v[66:67], off slc dlc
	s_and_b32 vcc_lo, exec_lo, s17
	s_cbranch_vccz .LBB2_4390
; %bb.4381:                             ;   in Loop: Header=BB2_4380 Depth=3
	s_waitcnt vmcnt(1)
	v_and_b32_e32 v144, 0xff, v12
	s_mov_b32 s14, 0
	s_mov_b32 s34, exec_lo
                                        ; implicit-def: $sgpr31
	s_delay_alu instid0(VALU_DEP_1)
	v_cmpx_lt_i16_e64 0x7f, v144
	s_xor_b32 s34, exec_lo, s34
	s_cbranch_execnz .LBB2_4842
; %bb.4382:                             ;   in Loop: Header=BB2_4380 Depth=3
	s_or_saveexec_b32 s34, s34
	v_mov_b32_e32 v135, s31
	s_xor_b32 exec_lo, exec_lo, s34
	s_cbranch_execnz .LBB2_4845
.LBB2_4383:                             ;   in Loop: Header=BB2_4380 Depth=3
	s_or_b32 exec_lo, exec_lo, s34
	s_and_saveexec_b32 s31, s14
	s_cbranch_execz .LBB2_4385
.LBB2_4384:                             ;   in Loop: Header=BB2_4380 Depth=3
	v_and_b32_e32 v135, 7, v12
	v_bfe_u32 v146, v12, 3, 4
	v_lshlrev_b32_e32 v147, 24, v12
	s_delay_alu instid0(VALU_DEP_3) | instskip(NEXT) | instid1(VALU_DEP_3)
	v_clz_i32_u32_e32 v144, v135
	v_cmp_eq_u32_e32 vcc_lo, 0, v146
	s_delay_alu instid0(VALU_DEP_2) | instskip(NEXT) | instid1(VALU_DEP_1)
	v_min_u32_e32 v144, 32, v144
	v_subrev_nc_u32_e32 v145, 28, v144
	v_sub_nc_u32_e32 v144, 29, v144
	s_delay_alu instid0(VALU_DEP_2) | instskip(NEXT) | instid1(VALU_DEP_1)
	v_lshlrev_b32_e32 v145, v145, v12
	v_dual_cndmask_b32 v144, v146, v144 :: v_dual_and_b32 v145, 7, v145
	s_delay_alu instid0(VALU_DEP_1) | instskip(NEXT) | instid1(VALU_DEP_2)
	v_lshl_add_u32 v144, v144, 23, 0x3b800000
	v_cndmask_b32_e32 v135, v135, v145, vcc_lo
	v_and_b32_e32 v145, 0x80000000, v147
	s_delay_alu instid0(VALU_DEP_2) | instskip(NEXT) | instid1(VALU_DEP_1)
	v_lshlrev_b32_e32 v135, 20, v135
	v_or3_b32 v135, v145, v144, v135
.LBB2_4385:                             ;   in Loop: Header=BB2_4380 Depth=3
	s_or_b32 exec_lo, exec_lo, s31
	s_waitcnt vmcnt(0)
	v_and_b32_e32 v145, 0xff, v8
	s_mov_b32 s14, 0
	s_mov_b32 s34, exec_lo
                                        ; implicit-def: $sgpr31
	s_delay_alu instid0(VALU_DEP_1)
	v_cmpx_lt_i16_e64 0x7f, v145
	s_xor_b32 s34, exec_lo, s34
	s_cbranch_execnz .LBB2_4846
; %bb.4386:                             ;   in Loop: Header=BB2_4380 Depth=3
	s_or_saveexec_b32 s34, s34
	v_mov_b32_e32 v144, s31
	s_xor_b32 exec_lo, exec_lo, s34
	s_cbranch_execnz .LBB2_4849
.LBB2_4387:                             ;   in Loop: Header=BB2_4380 Depth=3
	s_or_b32 exec_lo, exec_lo, s34
	s_and_saveexec_b32 s31, s14
	s_cbranch_execz .LBB2_4389
.LBB2_4388:                             ;   in Loop: Header=BB2_4380 Depth=3
	v_bfe_u32 v147, v8, 3, 4
	v_lshlrev_b32_e32 v148, 24, v8
	s_delay_alu instid0(VALU_DEP_2) | instskip(SKIP_1) | instid1(VALU_DEP_1)
	v_cmp_eq_u32_e32 vcc_lo, 0, v147
	v_and_b32_e32 v144, 7, v8
	v_clz_i32_u32_e32 v145, v144
	s_delay_alu instid0(VALU_DEP_1) | instskip(NEXT) | instid1(VALU_DEP_1)
	v_min_u32_e32 v145, 32, v145
	v_subrev_nc_u32_e32 v146, 28, v145
	v_sub_nc_u32_e32 v145, 29, v145
	s_delay_alu instid0(VALU_DEP_1) | instskip(NEXT) | instid1(VALU_DEP_1)
	v_dual_cndmask_b32 v145, v147, v145 :: v_dual_lshlrev_b32 v146, v146, v8
	v_and_b32_e32 v146, 7, v146
	s_delay_alu instid0(VALU_DEP_2) | instskip(NEXT) | instid1(VALU_DEP_2)
	v_lshl_add_u32 v145, v145, 23, 0x3b800000
	v_cndmask_b32_e32 v144, v144, v146, vcc_lo
	v_and_b32_e32 v146, 0x80000000, v148
	s_delay_alu instid0(VALU_DEP_2) | instskip(NEXT) | instid1(VALU_DEP_1)
	v_lshlrev_b32_e32 v144, 20, v144
	v_or3_b32 v144, v146, v145, v144
.LBB2_4389:                             ;   in Loop: Header=BB2_4380 Depth=3
	s_or_b32 exec_lo, exec_lo, s31
	s_delay_alu instid0(VALU_DEP_1) | instskip(SKIP_1) | instid1(VALU_DEP_1)
	v_dual_max_f32 v144, v144, v144 :: v_dual_max_f32 v135, v135, v135
	s_mov_b32 s14, 0
	v_max_f32_e32 v144, v135, v144
	s_branch .LBB2_4391
.LBB2_4390:                             ;   in Loop: Header=BB2_4380 Depth=3
	s_mov_b32 s14, -1
                                        ; implicit-def: $vgpr144
.LBB2_4391:                             ;   in Loop: Header=BB2_4380 Depth=3
	s_delay_alu instid0(SALU_CYCLE_1)
	s_and_b32 vcc_lo, exec_lo, s14
	s_cbranch_vccz .LBB2_4401
; %bb.4392:                             ;   in Loop: Header=BB2_4380 Depth=3
	s_waitcnt vmcnt(1)
	v_and_b32_e32 v144, 0xff, v12
	s_mov_b32 s14, 0
	s_mov_b32 s34, exec_lo
                                        ; implicit-def: $sgpr31
	s_delay_alu instid0(VALU_DEP_1)
	v_cmpx_lt_i16_e64 0x7f, v144
	s_xor_b32 s34, exec_lo, s34
	s_cbranch_execnz .LBB2_4850
; %bb.4393:                             ;   in Loop: Header=BB2_4380 Depth=3
	s_or_saveexec_b32 s34, s34
	v_mov_b32_e32 v135, s31
	s_xor_b32 exec_lo, exec_lo, s34
	s_cbranch_execnz .LBB2_4853
.LBB2_4394:                             ;   in Loop: Header=BB2_4380 Depth=3
	s_or_b32 exec_lo, exec_lo, s34
	s_and_saveexec_b32 s31, s14
	s_cbranch_execz .LBB2_4396
.LBB2_4395:                             ;   in Loop: Header=BB2_4380 Depth=3
	v_and_b32_e32 v135, 7, v12
	v_bfe_u32 v146, v12, 3, 4
	v_lshlrev_b32_e32 v147, 24, v12
	s_delay_alu instid0(VALU_DEP_3) | instskip(NEXT) | instid1(VALU_DEP_3)
	v_clz_i32_u32_e32 v144, v135
	v_cmp_eq_u32_e32 vcc_lo, 0, v146
	s_delay_alu instid0(VALU_DEP_2) | instskip(NEXT) | instid1(VALU_DEP_1)
	v_min_u32_e32 v144, 32, v144
	v_subrev_nc_u32_e32 v145, 28, v144
	v_sub_nc_u32_e32 v144, 29, v144
	s_delay_alu instid0(VALU_DEP_2) | instskip(NEXT) | instid1(VALU_DEP_1)
	v_lshlrev_b32_e32 v145, v145, v12
	v_dual_cndmask_b32 v144, v146, v144 :: v_dual_and_b32 v145, 7, v145
	s_delay_alu instid0(VALU_DEP_1) | instskip(NEXT) | instid1(VALU_DEP_2)
	v_lshl_add_u32 v144, v144, 23, 0x3b800000
	v_cndmask_b32_e32 v135, v135, v145, vcc_lo
	v_and_b32_e32 v145, 0x80000000, v147
	s_delay_alu instid0(VALU_DEP_2) | instskip(NEXT) | instid1(VALU_DEP_1)
	v_lshlrev_b32_e32 v135, 20, v135
	v_or3_b32 v135, v145, v144, v135
.LBB2_4396:                             ;   in Loop: Header=BB2_4380 Depth=3
	s_or_b32 exec_lo, exec_lo, s31
	s_waitcnt vmcnt(0)
	v_and_b32_e32 v145, 0xff, v8
	s_mov_b32 s14, 0
	s_mov_b32 s34, exec_lo
                                        ; implicit-def: $sgpr31
	s_delay_alu instid0(VALU_DEP_1)
	v_cmpx_lt_i16_e64 0x7f, v145
	s_xor_b32 s34, exec_lo, s34
	s_cbranch_execnz .LBB2_4854
; %bb.4397:                             ;   in Loop: Header=BB2_4380 Depth=3
	s_or_saveexec_b32 s34, s34
	v_mov_b32_e32 v144, s31
	s_xor_b32 exec_lo, exec_lo, s34
	s_cbranch_execnz .LBB2_4857
.LBB2_4398:                             ;   in Loop: Header=BB2_4380 Depth=3
	s_or_b32 exec_lo, exec_lo, s34
	s_and_saveexec_b32 s31, s14
	s_cbranch_execz .LBB2_4400
.LBB2_4399:                             ;   in Loop: Header=BB2_4380 Depth=3
	v_bfe_u32 v147, v8, 3, 4
	v_lshlrev_b32_e32 v148, 24, v8
	s_delay_alu instid0(VALU_DEP_2) | instskip(SKIP_1) | instid1(VALU_DEP_1)
	v_cmp_eq_u32_e32 vcc_lo, 0, v147
	v_and_b32_e32 v144, 7, v8
	v_clz_i32_u32_e32 v145, v144
	s_delay_alu instid0(VALU_DEP_1) | instskip(NEXT) | instid1(VALU_DEP_1)
	v_min_u32_e32 v145, 32, v145
	v_subrev_nc_u32_e32 v146, 28, v145
	v_sub_nc_u32_e32 v145, 29, v145
	s_delay_alu instid0(VALU_DEP_1) | instskip(NEXT) | instid1(VALU_DEP_1)
	v_dual_cndmask_b32 v145, v147, v145 :: v_dual_lshlrev_b32 v146, v146, v8
	v_and_b32_e32 v146, 7, v146
	s_delay_alu instid0(VALU_DEP_2) | instskip(NEXT) | instid1(VALU_DEP_2)
	v_lshl_add_u32 v145, v145, 23, 0x3b800000
	v_cndmask_b32_e32 v144, v144, v146, vcc_lo
	v_and_b32_e32 v146, 0x80000000, v148
	s_delay_alu instid0(VALU_DEP_2) | instskip(NEXT) | instid1(VALU_DEP_1)
	v_lshlrev_b32_e32 v144, 20, v144
	v_or3_b32 v144, v146, v145, v144
.LBB2_4400:                             ;   in Loop: Header=BB2_4380 Depth=3
	s_or_b32 exec_lo, exec_lo, s31
	s_delay_alu instid0(VALU_DEP_1) | instskip(NEXT) | instid1(VALU_DEP_1)
	v_dual_max_f32 v144, v144, v144 :: v_dual_max_f32 v135, v135, v135
	v_min_f32_e32 v144, v135, v144
.LBB2_4401:                             ;   in Loop: Header=BB2_4380 Depth=3
	s_delay_alu instid0(VALU_DEP_1) | instskip(NEXT) | instid1(VALU_DEP_1)
	v_and_b32_e32 v135, 0x7f800000, v144
	v_cmp_ne_u32_e32 vcc_lo, 0x7f800000, v135
	v_mov_b32_e32 v135, 0x80
	s_and_saveexec_b32 s31, vcc_lo
	s_cbranch_execz .LBB2_4409
; %bb.4402:                             ;   in Loop: Header=BB2_4380 Depth=3
	v_mov_b32_e32 v135, 0
	s_mov_b32 s34, exec_lo
	v_cmpx_ne_u32_e32 0, v144
	s_cbranch_execz .LBB2_4408
; %bb.4403:                             ;   in Loop: Header=BB2_4380 Depth=3
	v_bfe_u32 v135, v144, 23, 8
	s_delay_alu instid0(VALU_DEP_1) | instskip(SKIP_1) | instid1(VALU_DEP_2)
	v_sub_nc_u32_e32 v146, 0x78, v135
	v_cmp_gt_u32_e32 vcc_lo, 0x79, v135
	v_dual_cndmask_b32 v146, 0, v146 :: v_dual_and_b32 v145, 0x7fffff, v144
	s_delay_alu instid0(VALU_DEP_1) | instskip(SKIP_2) | instid1(VALU_DEP_4)
	v_or_b32_e32 v147, 0x800000, v145
	v_cmp_eq_u32_e32 vcc_lo, 0, v135
	v_add_nc_u32_e32 v135, 0xffffff89, v135
	v_cndmask_b32_e64 v146, v146, 0x77, vcc_lo
	s_delay_alu instid0(VALU_DEP_2) | instskip(SKIP_1) | instid1(VALU_DEP_3)
	v_cndmask_b32_e64 v135, v135, 0xffffff8a, vcc_lo
	v_cndmask_b32_e32 v145, v147, v145, vcc_lo
	v_lshl_add_u32 v147, 0x100000, v146, -1
	v_lshlrev_b32_e64 v150, v146, 0x80000
	s_delay_alu instid0(VALU_DEP_3) | instskip(SKIP_1) | instid1(VALU_DEP_4)
	v_lshrrev_b32_e32 v148, v146, v145
	v_add_nc_u32_e32 v146, v146, v135
	v_and_b32_e32 v145, v147, v145
	s_delay_alu instid0(VALU_DEP_3) | instskip(NEXT) | instid1(VALU_DEP_2)
	v_bfe_u32 v149, v148, 20, 1
	v_cmp_eq_u32_e64 s14, v145, v150
	s_delay_alu instid0(VALU_DEP_2) | instskip(NEXT) | instid1(VALU_DEP_1)
	v_add_nc_u32_e32 v147, -1, v149
	v_cndmask_b32_e64 v145, 0, v147, s14
	v_lshrrev_b32_e32 v147, 23, v148
	s_mov_b32 s14, exec_lo
	s_delay_alu instid0(VALU_DEP_2) | instskip(NEXT) | instid1(VALU_DEP_2)
	v_add_nc_u32_e32 v145, v145, v148
	v_xor_b32_e32 v147, 1, v147
	s_delay_alu instid0(VALU_DEP_2) | instskip(NEXT) | instid1(VALU_DEP_1)
	v_and_b32_e32 v135, 0xfffff, v145
	v_add_nc_u32_e32 v145, v135, v148
                                        ; implicit-def: $vgpr135
	s_delay_alu instid0(VALU_DEP_3)
	v_cmpx_ne_u32_e64 v146, v147
	s_xor_b32 s14, exec_lo, s14
; %bb.4404:                             ;   in Loop: Header=BB2_4380 Depth=3
	s_delay_alu instid0(VALU_DEP_2) | instskip(SKIP_2) | instid1(VALU_DEP_2)
	v_cmp_lt_u32_e32 vcc_lo, 0xffffff, v145
	v_sub_nc_u32_e32 v135, v146, v147
	v_cndmask_b32_e64 v146, 0, 1, vcc_lo
	v_add_co_ci_u32_e32 v135, vcc_lo, 0, v135, vcc_lo
	s_delay_alu instid0(VALU_DEP_2)
	v_lshrrev_b32_e32 v145, v146, v145
; %bb.4405:                             ;   in Loop: Header=BB2_4380 Depth=3
	s_and_not1_saveexec_b32 s14, s14
; %bb.4406:                             ;   in Loop: Header=BB2_4380 Depth=3
	s_delay_alu instid0(VALU_DEP_1)
	v_bfe_u32 v135, v145, 23, 1
; %bb.4407:                             ;   in Loop: Header=BB2_4380 Depth=3
	s_or_b32 exec_lo, exec_lo, s14
	v_lshrrev_b32_e32 v145, 20, v145
	s_delay_alu instid0(VALU_DEP_2) | instskip(SKIP_2) | instid1(VALU_DEP_2)
	v_cmp_gt_i32_e32 vcc_lo, 16, v135
	v_lshrrev_b32_e32 v144, 24, v144
	v_min_i32_e32 v146, 15, v135
	v_dual_cndmask_b32 v145, 7, v145 :: v_dual_and_b32 v144, 0x80, v144
	s_delay_alu instid0(VALU_DEP_1) | instskip(SKIP_1) | instid1(VALU_DEP_2)
	v_or_b32_e32 v135, v135, v145
	v_and_b32_e32 v147, 7, v145
	v_cmp_ne_u32_e32 vcc_lo, 0, v135
	v_lshlrev_b32_e32 v146, 3, v146
	s_delay_alu instid0(VALU_DEP_1) | instskip(NEXT) | instid1(VALU_DEP_1)
	v_or3_b32 v144, v146, v144, v147
	v_cndmask_b32_e32 v135, 0, v144, vcc_lo
.LBB2_4408:                             ;   in Loop: Header=BB2_4380 Depth=3
	s_or_b32 exec_lo, exec_lo, s34
.LBB2_4409:                             ;   in Loop: Header=BB2_4380 Depth=3
	s_delay_alu instid0(SALU_CYCLE_1)
	s_or_b32 exec_lo, exec_lo, s31
	s_waitcnt vmcnt(1)
	v_lshrrev_b16 v145, 8, v12
	s_waitcnt vmcnt(0)
	v_lshrrev_b16 v144, 8, v8
	s_and_b32 vcc_lo, exec_lo, s17
	s_cbranch_vccz .LBB2_4419
; %bb.4410:                             ;   in Loop: Header=BB2_4380 Depth=3
	s_mov_b32 s14, 0
	s_mov_b32 s34, exec_lo
                                        ; implicit-def: $sgpr31
	v_cmpx_lt_i16_e64 0x7f, v145
	s_xor_b32 s34, exec_lo, s34
	s_cbranch_execnz .LBB2_4858
; %bb.4411:                             ;   in Loop: Header=BB2_4380 Depth=3
	s_or_saveexec_b32 s34, s34
	v_mov_b32_e32 v146, s31
	s_xor_b32 exec_lo, exec_lo, s34
	s_cbranch_execnz .LBB2_4861
.LBB2_4412:                             ;   in Loop: Header=BB2_4380 Depth=3
	s_or_b32 exec_lo, exec_lo, s34
	s_and_saveexec_b32 s31, s14
	s_cbranch_execz .LBB2_4414
.LBB2_4413:                             ;   in Loop: Header=BB2_4380 Depth=3
	v_and_b32_e32 v146, 0xffff, v145
	s_delay_alu instid0(VALU_DEP_1) | instskip(NEXT) | instid1(VALU_DEP_1)
	v_and_b32_e32 v147, 7, v146
	v_clz_i32_u32_e32 v148, v147
	s_delay_alu instid0(VALU_DEP_1) | instskip(NEXT) | instid1(VALU_DEP_1)
	v_min_u32_e32 v148, 32, v148
	v_subrev_nc_u32_e32 v149, 28, v148
	v_sub_nc_u32_e32 v148, 29, v148
	s_delay_alu instid0(VALU_DEP_2) | instskip(SKIP_1) | instid1(VALU_DEP_2)
	v_lshlrev_b32_e32 v149, v149, v146
	v_bfe_u32 v146, v146, 3, 4
	v_and_b32_e32 v149, 7, v149
	s_delay_alu instid0(VALU_DEP_2) | instskip(SKIP_1) | instid1(VALU_DEP_3)
	v_cmp_eq_u32_e32 vcc_lo, 0, v146
	v_cndmask_b32_e32 v146, v146, v148, vcc_lo
	v_dual_cndmask_b32 v147, v147, v149 :: v_dual_lshlrev_b32 v150, 16, v12
	s_delay_alu instid0(VALU_DEP_2) | instskip(NEXT) | instid1(VALU_DEP_2)
	v_lshl_add_u32 v146, v146, 23, 0x3b800000
	v_and_b32_e32 v148, 0x80000000, v150
	s_delay_alu instid0(VALU_DEP_3) | instskip(NEXT) | instid1(VALU_DEP_1)
	v_lshlrev_b32_e32 v147, 20, v147
	v_or3_b32 v146, v148, v146, v147
.LBB2_4414:                             ;   in Loop: Header=BB2_4380 Depth=3
	s_or_b32 exec_lo, exec_lo, s31
	s_mov_b32 s14, 0
	s_mov_b32 s34, exec_lo
                                        ; implicit-def: $sgpr31
	v_cmpx_lt_i16_e64 0x7f, v144
	s_xor_b32 s34, exec_lo, s34
	s_cbranch_execnz .LBB2_4862
; %bb.4415:                             ;   in Loop: Header=BB2_4380 Depth=3
	s_or_saveexec_b32 s34, s34
	v_mov_b32_e32 v147, s31
	s_xor_b32 exec_lo, exec_lo, s34
	s_cbranch_execnz .LBB2_4865
.LBB2_4416:                             ;   in Loop: Header=BB2_4380 Depth=3
	s_or_b32 exec_lo, exec_lo, s34
	s_and_saveexec_b32 s31, s14
	s_cbranch_execz .LBB2_4418
.LBB2_4417:                             ;   in Loop: Header=BB2_4380 Depth=3
	v_and_b32_e32 v147, 0xffff, v144
	v_lshlrev_b32_e32 v151, 16, v8
	s_delay_alu instid0(VALU_DEP_2) | instskip(NEXT) | instid1(VALU_DEP_1)
	v_and_b32_e32 v148, 7, v147
	v_clz_i32_u32_e32 v149, v148
	s_delay_alu instid0(VALU_DEP_1) | instskip(NEXT) | instid1(VALU_DEP_1)
	v_min_u32_e32 v149, 32, v149
	v_subrev_nc_u32_e32 v150, 28, v149
	v_sub_nc_u32_e32 v149, 29, v149
	s_delay_alu instid0(VALU_DEP_2) | instskip(SKIP_1) | instid1(VALU_DEP_2)
	v_lshlrev_b32_e32 v150, v150, v147
	v_bfe_u32 v147, v147, 3, 4
	v_and_b32_e32 v150, 7, v150
	s_delay_alu instid0(VALU_DEP_2) | instskip(NEXT) | instid1(VALU_DEP_2)
	v_cmp_eq_u32_e32 vcc_lo, 0, v147
	v_dual_cndmask_b32 v147, v147, v149 :: v_dual_cndmask_b32 v148, v148, v150
	v_and_b32_e32 v149, 0x80000000, v151
	s_delay_alu instid0(VALU_DEP_2) | instskip(NEXT) | instid1(VALU_DEP_3)
	v_lshl_add_u32 v147, v147, 23, 0x3b800000
	v_lshlrev_b32_e32 v148, 20, v148
	s_delay_alu instid0(VALU_DEP_1)
	v_or3_b32 v147, v149, v147, v148
.LBB2_4418:                             ;   in Loop: Header=BB2_4380 Depth=3
	s_or_b32 exec_lo, exec_lo, s31
	s_delay_alu instid0(VALU_DEP_1) | instskip(SKIP_1) | instid1(VALU_DEP_1)
	v_dual_max_f32 v147, v147, v147 :: v_dual_max_f32 v146, v146, v146
	s_mov_b32 s14, 0
	v_max_f32_e32 v146, v146, v147
	s_branch .LBB2_4420
.LBB2_4419:                             ;   in Loop: Header=BB2_4380 Depth=3
	s_mov_b32 s14, -1
                                        ; implicit-def: $vgpr146
.LBB2_4420:                             ;   in Loop: Header=BB2_4380 Depth=3
	s_delay_alu instid0(SALU_CYCLE_1)
	s_and_b32 vcc_lo, exec_lo, s14
	s_cbranch_vccz .LBB2_4430
; %bb.4421:                             ;   in Loop: Header=BB2_4380 Depth=3
	s_mov_b32 s14, 0
	s_mov_b32 s34, exec_lo
                                        ; implicit-def: $sgpr31
	v_cmpx_lt_i16_e64 0x7f, v145
	s_xor_b32 s34, exec_lo, s34
	s_cbranch_execnz .LBB2_4866
; %bb.4422:                             ;   in Loop: Header=BB2_4380 Depth=3
	s_or_saveexec_b32 s34, s34
	v_mov_b32_e32 v146, s31
	s_xor_b32 exec_lo, exec_lo, s34
	s_cbranch_execnz .LBB2_4869
.LBB2_4423:                             ;   in Loop: Header=BB2_4380 Depth=3
	s_or_b32 exec_lo, exec_lo, s34
	s_and_saveexec_b32 s31, s14
	s_cbranch_execz .LBB2_4425
.LBB2_4424:                             ;   in Loop: Header=BB2_4380 Depth=3
	v_and_b32_e32 v145, 0xffff, v145
	v_lshlrev_b32_e32 v149, 16, v12
	s_delay_alu instid0(VALU_DEP_2) | instskip(NEXT) | instid1(VALU_DEP_1)
	v_and_b32_e32 v146, 7, v145
	v_clz_i32_u32_e32 v147, v146
	s_delay_alu instid0(VALU_DEP_1) | instskip(NEXT) | instid1(VALU_DEP_1)
	v_min_u32_e32 v147, 32, v147
	v_subrev_nc_u32_e32 v148, 28, v147
	v_sub_nc_u32_e32 v147, 29, v147
	s_delay_alu instid0(VALU_DEP_2) | instskip(SKIP_1) | instid1(VALU_DEP_2)
	v_lshlrev_b32_e32 v148, v148, v145
	v_bfe_u32 v145, v145, 3, 4
	v_and_b32_e32 v148, 7, v148
	s_delay_alu instid0(VALU_DEP_2) | instskip(NEXT) | instid1(VALU_DEP_2)
	v_cmp_eq_u32_e32 vcc_lo, 0, v145
	v_dual_cndmask_b32 v145, v145, v147 :: v_dual_cndmask_b32 v146, v146, v148
	v_and_b32_e32 v147, 0x80000000, v149
	s_delay_alu instid0(VALU_DEP_2) | instskip(NEXT) | instid1(VALU_DEP_3)
	v_lshl_add_u32 v145, v145, 23, 0x3b800000
	v_lshlrev_b32_e32 v146, 20, v146
	s_delay_alu instid0(VALU_DEP_1)
	v_or3_b32 v146, v147, v145, v146
.LBB2_4425:                             ;   in Loop: Header=BB2_4380 Depth=3
	s_or_b32 exec_lo, exec_lo, s31
	s_mov_b32 s14, 0
	s_mov_b32 s34, exec_lo
                                        ; implicit-def: $sgpr31
	v_cmpx_lt_i16_e64 0x7f, v144
	s_xor_b32 s34, exec_lo, s34
	s_cbranch_execnz .LBB2_4870
; %bb.4426:                             ;   in Loop: Header=BB2_4380 Depth=3
	s_or_saveexec_b32 s34, s34
	v_mov_b32_e32 v145, s31
	s_xor_b32 exec_lo, exec_lo, s34
	s_cbranch_execnz .LBB2_4873
.LBB2_4427:                             ;   in Loop: Header=BB2_4380 Depth=3
	s_or_b32 exec_lo, exec_lo, s34
	s_and_saveexec_b32 s31, s14
	s_cbranch_execz .LBB2_4429
.LBB2_4428:                             ;   in Loop: Header=BB2_4380 Depth=3
	v_and_b32_e32 v144, 0xffff, v144
	v_lshlrev_b32_e32 v149, 16, v8
	s_delay_alu instid0(VALU_DEP_2) | instskip(NEXT) | instid1(VALU_DEP_1)
	v_and_b32_e32 v145, 7, v144
	v_clz_i32_u32_e32 v147, v145
	s_delay_alu instid0(VALU_DEP_1) | instskip(NEXT) | instid1(VALU_DEP_1)
	v_min_u32_e32 v147, 32, v147
	v_subrev_nc_u32_e32 v148, 28, v147
	v_sub_nc_u32_e32 v147, 29, v147
	s_delay_alu instid0(VALU_DEP_2) | instskip(SKIP_1) | instid1(VALU_DEP_2)
	v_lshlrev_b32_e32 v148, v148, v144
	v_bfe_u32 v144, v144, 3, 4
	v_and_b32_e32 v148, 7, v148
	s_delay_alu instid0(VALU_DEP_2) | instskip(NEXT) | instid1(VALU_DEP_2)
	v_cmp_eq_u32_e32 vcc_lo, 0, v144
	v_dual_cndmask_b32 v144, v144, v147 :: v_dual_cndmask_b32 v145, v145, v148
	v_and_b32_e32 v147, 0x80000000, v149
	s_delay_alu instid0(VALU_DEP_2) | instskip(NEXT) | instid1(VALU_DEP_3)
	v_lshl_add_u32 v144, v144, 23, 0x3b800000
	v_lshlrev_b32_e32 v145, 20, v145
	s_delay_alu instid0(VALU_DEP_1)
	v_or3_b32 v145, v147, v144, v145
.LBB2_4429:                             ;   in Loop: Header=BB2_4380 Depth=3
	s_or_b32 exec_lo, exec_lo, s31
	s_delay_alu instid0(VALU_DEP_1) | instskip(NEXT) | instid1(VALU_DEP_1)
	v_dual_max_f32 v144, v145, v145 :: v_dual_max_f32 v145, v146, v146
	v_min_f32_e32 v146, v145, v144
.LBB2_4430:                             ;   in Loop: Header=BB2_4380 Depth=3
	s_delay_alu instid0(VALU_DEP_1) | instskip(NEXT) | instid1(VALU_DEP_1)
	v_and_b32_e32 v144, 0x7f800000, v146
	v_cmp_ne_u32_e32 vcc_lo, 0x7f800000, v144
	v_mov_b32_e32 v144, 0x80
	s_and_saveexec_b32 s31, vcc_lo
	s_cbranch_execz .LBB2_4438
; %bb.4431:                             ;   in Loop: Header=BB2_4380 Depth=3
	v_mov_b32_e32 v144, 0
	s_mov_b32 s34, exec_lo
	v_cmpx_ne_u32_e32 0, v146
	s_cbranch_execz .LBB2_4437
; %bb.4432:                             ;   in Loop: Header=BB2_4380 Depth=3
	v_bfe_u32 v144, v146, 23, 8
	v_and_b32_e32 v145, 0x7fffff, v146
	s_delay_alu instid0(VALU_DEP_2) | instskip(SKIP_1) | instid1(VALU_DEP_3)
	v_sub_nc_u32_e32 v147, 0x78, v144
	v_cmp_gt_u32_e32 vcc_lo, 0x79, v144
	v_or_b32_e32 v148, 0x800000, v145
	s_delay_alu instid0(VALU_DEP_3) | instskip(SKIP_2) | instid1(VALU_DEP_3)
	v_cndmask_b32_e32 v147, 0, v147, vcc_lo
	v_cmp_eq_u32_e32 vcc_lo, 0, v144
	v_add_nc_u32_e32 v144, 0xffffff89, v144
	v_cndmask_b32_e64 v147, v147, 0x77, vcc_lo
	v_cndmask_b32_e32 v145, v148, v145, vcc_lo
	s_delay_alu instid0(VALU_DEP_3) | instskip(NEXT) | instid1(VALU_DEP_3)
	v_cndmask_b32_e64 v144, v144, 0xffffff8a, vcc_lo
	v_lshl_add_u32 v148, 0x100000, v147, -1
	s_delay_alu instid0(VALU_DEP_3) | instskip(SKIP_1) | instid1(VALU_DEP_4)
	v_lshrrev_b32_e32 v149, v147, v145
	v_lshlrev_b32_e64 v151, v147, 0x80000
	v_add_nc_u32_e32 v147, v147, v144
	s_delay_alu instid0(VALU_DEP_4) | instskip(NEXT) | instid1(VALU_DEP_4)
	v_and_b32_e32 v145, v148, v145
	v_bfe_u32 v150, v149, 20, 1
	s_delay_alu instid0(VALU_DEP_2) | instskip(NEXT) | instid1(VALU_DEP_2)
	v_cmp_eq_u32_e64 s14, v145, v151
	v_add_nc_u32_e32 v148, -1, v150
	s_delay_alu instid0(VALU_DEP_1) | instskip(SKIP_2) | instid1(VALU_DEP_2)
	v_cndmask_b32_e64 v145, 0, v148, s14
	v_lshrrev_b32_e32 v148, 23, v149
	s_mov_b32 s14, exec_lo
	v_add_nc_u32_e32 v145, v145, v149
	s_delay_alu instid0(VALU_DEP_2) | instskip(NEXT) | instid1(VALU_DEP_2)
	v_xor_b32_e32 v148, 1, v148
	v_and_b32_e32 v144, 0xfffff, v145
	s_delay_alu instid0(VALU_DEP_1) | instskip(NEXT) | instid1(VALU_DEP_3)
	v_add_nc_u32_e32 v145, v144, v149
                                        ; implicit-def: $vgpr144
	v_cmpx_ne_u32_e64 v147, v148
	s_xor_b32 s14, exec_lo, s14
; %bb.4433:                             ;   in Loop: Header=BB2_4380 Depth=3
	s_delay_alu instid0(VALU_DEP_2) | instskip(SKIP_2) | instid1(VALU_DEP_2)
	v_cmp_lt_u32_e32 vcc_lo, 0xffffff, v145
	v_sub_nc_u32_e32 v144, v147, v148
	v_cndmask_b32_e64 v147, 0, 1, vcc_lo
	v_add_co_ci_u32_e32 v144, vcc_lo, 0, v144, vcc_lo
	s_delay_alu instid0(VALU_DEP_2)
	v_lshrrev_b32_e32 v145, v147, v145
; %bb.4434:                             ;   in Loop: Header=BB2_4380 Depth=3
	s_and_not1_saveexec_b32 s14, s14
; %bb.4435:                             ;   in Loop: Header=BB2_4380 Depth=3
	s_delay_alu instid0(VALU_DEP_1)
	v_bfe_u32 v144, v145, 23, 1
; %bb.4436:                             ;   in Loop: Header=BB2_4380 Depth=3
	s_or_b32 exec_lo, exec_lo, s14
	v_lshrrev_b32_e32 v145, 20, v145
	s_delay_alu instid0(VALU_DEP_2) | instskip(SKIP_2) | instid1(VALU_DEP_2)
	v_cmp_gt_i32_e32 vcc_lo, 16, v144
	v_lshrrev_b32_e32 v146, 24, v146
	v_min_i32_e32 v147, 15, v144
	v_dual_cndmask_b32 v145, 7, v145 :: v_dual_and_b32 v146, 0x80, v146
	s_delay_alu instid0(VALU_DEP_1) | instskip(SKIP_1) | instid1(VALU_DEP_2)
	v_or_b32_e32 v144, v144, v145
	v_and_b32_e32 v148, 7, v145
	v_cmp_ne_u32_e32 vcc_lo, 0, v144
	v_lshlrev_b32_e32 v147, 3, v147
	s_delay_alu instid0(VALU_DEP_1) | instskip(NEXT) | instid1(VALU_DEP_1)
	v_or3_b32 v145, v147, v146, v148
	v_cndmask_b32_e32 v144, 0, v145, vcc_lo
.LBB2_4437:                             ;   in Loop: Header=BB2_4380 Depth=3
	s_or_b32 exec_lo, exec_lo, s34
.LBB2_4438:                             ;   in Loop: Header=BB2_4380 Depth=3
	s_delay_alu instid0(SALU_CYCLE_1)
	s_or_b32 exec_lo, exec_lo, s31
	v_lshrrev_b32_e32 v146, 16, v12
	v_lshrrev_b32_e32 v145, 16, v8
	s_and_b32 vcc_lo, exec_lo, s17
	s_cbranch_vccz .LBB2_4448
; %bb.4439:                             ;   in Loop: Header=BB2_4380 Depth=3
	s_delay_alu instid0(VALU_DEP_2) | instskip(SKIP_2) | instid1(VALU_DEP_1)
	v_and_b32_e32 v148, 0xff, v146
	s_mov_b32 s14, 0
	s_mov_b32 s34, exec_lo
                                        ; implicit-def: $sgpr31
	v_cmpx_lt_i16_e64 0x7f, v148
	s_xor_b32 s34, exec_lo, s34
	s_cbranch_execnz .LBB2_4874
; %bb.4440:                             ;   in Loop: Header=BB2_4380 Depth=3
	s_or_saveexec_b32 s34, s34
	v_mov_b32_e32 v147, s31
	s_xor_b32 exec_lo, exec_lo, s34
	s_cbranch_execnz .LBB2_4877
.LBB2_4441:                             ;   in Loop: Header=BB2_4380 Depth=3
	s_or_b32 exec_lo, exec_lo, s34
	s_and_saveexec_b32 s31, s14
	s_cbranch_execz .LBB2_4443
.LBB2_4442:                             ;   in Loop: Header=BB2_4380 Depth=3
	v_bfe_u32 v147, v12, 16, 3
	v_bfe_u32 v150, v12, 19, 4
	v_lshlrev_b32_e32 v151, 24, v146
	s_delay_alu instid0(VALU_DEP_3) | instskip(NEXT) | instid1(VALU_DEP_3)
	v_clz_i32_u32_e32 v148, v147
	v_cmp_eq_u32_e32 vcc_lo, 0, v150
	s_delay_alu instid0(VALU_DEP_2) | instskip(NEXT) | instid1(VALU_DEP_1)
	v_min_u32_e32 v148, 32, v148
	v_subrev_nc_u32_e32 v149, 28, v148
	v_sub_nc_u32_e32 v148, 29, v148
	s_delay_alu instid0(VALU_DEP_1) | instskip(NEXT) | instid1(VALU_DEP_1)
	v_dual_cndmask_b32 v148, v150, v148 :: v_dual_lshlrev_b32 v149, v149, v146
	v_and_b32_e32 v149, 7, v149
	s_delay_alu instid0(VALU_DEP_2) | instskip(NEXT) | instid1(VALU_DEP_2)
	v_lshl_add_u32 v148, v148, 23, 0x3b800000
	v_cndmask_b32_e32 v147, v147, v149, vcc_lo
	v_and_b32_e32 v149, 0x80000000, v151
	s_delay_alu instid0(VALU_DEP_2) | instskip(NEXT) | instid1(VALU_DEP_1)
	v_lshlrev_b32_e32 v147, 20, v147
	v_or3_b32 v147, v149, v148, v147
.LBB2_4443:                             ;   in Loop: Header=BB2_4380 Depth=3
	s_or_b32 exec_lo, exec_lo, s31
	v_and_b32_e32 v149, 0xff, v145
	s_mov_b32 s14, 0
	s_mov_b32 s34, exec_lo
                                        ; implicit-def: $sgpr31
	s_delay_alu instid0(VALU_DEP_1)
	v_cmpx_lt_i16_e64 0x7f, v149
	s_xor_b32 s34, exec_lo, s34
	s_cbranch_execnz .LBB2_4878
; %bb.4444:                             ;   in Loop: Header=BB2_4380 Depth=3
	s_or_saveexec_b32 s34, s34
	v_mov_b32_e32 v148, s31
	s_xor_b32 exec_lo, exec_lo, s34
	s_cbranch_execnz .LBB2_4881
.LBB2_4445:                             ;   in Loop: Header=BB2_4380 Depth=3
	s_or_b32 exec_lo, exec_lo, s34
	s_and_saveexec_b32 s31, s14
	s_cbranch_execz .LBB2_4447
.LBB2_4446:                             ;   in Loop: Header=BB2_4380 Depth=3
	v_bfe_u32 v148, v8, 16, 3
	v_bfe_u32 v151, v8, 19, 4
	v_lshlrev_b32_e32 v160, 24, v145
	s_delay_alu instid0(VALU_DEP_3) | instskip(NEXT) | instid1(VALU_DEP_3)
	v_clz_i32_u32_e32 v149, v148
	v_cmp_eq_u32_e32 vcc_lo, 0, v151
	s_delay_alu instid0(VALU_DEP_2) | instskip(NEXT) | instid1(VALU_DEP_1)
	v_min_u32_e32 v149, 32, v149
	v_subrev_nc_u32_e32 v150, 28, v149
	v_sub_nc_u32_e32 v149, 29, v149
	s_delay_alu instid0(VALU_DEP_2) | instskip(NEXT) | instid1(VALU_DEP_1)
	v_lshlrev_b32_e32 v150, v150, v145
	v_dual_cndmask_b32 v149, v151, v149 :: v_dual_and_b32 v150, 7, v150
	s_delay_alu instid0(VALU_DEP_1) | instskip(NEXT) | instid1(VALU_DEP_2)
	v_lshl_add_u32 v149, v149, 23, 0x3b800000
	v_cndmask_b32_e32 v148, v148, v150, vcc_lo
	v_and_b32_e32 v150, 0x80000000, v160
	s_delay_alu instid0(VALU_DEP_2) | instskip(NEXT) | instid1(VALU_DEP_1)
	v_lshlrev_b32_e32 v148, 20, v148
	v_or3_b32 v148, v150, v149, v148
.LBB2_4447:                             ;   in Loop: Header=BB2_4380 Depth=3
	s_or_b32 exec_lo, exec_lo, s31
	s_delay_alu instid0(VALU_DEP_1) | instskip(SKIP_1) | instid1(VALU_DEP_1)
	v_dual_max_f32 v148, v148, v148 :: v_dual_max_f32 v147, v147, v147
	s_mov_b32 s14, 0
	v_max_f32_e32 v147, v147, v148
	s_branch .LBB2_4449
.LBB2_4448:                             ;   in Loop: Header=BB2_4380 Depth=3
	s_mov_b32 s14, -1
                                        ; implicit-def: $vgpr147
.LBB2_4449:                             ;   in Loop: Header=BB2_4380 Depth=3
	s_delay_alu instid0(SALU_CYCLE_1)
	s_and_b32 vcc_lo, exec_lo, s14
	s_cbranch_vccz .LBB2_4459
; %bb.4450:                             ;   in Loop: Header=BB2_4380 Depth=3
	v_and_b32_e32 v148, 0xff, v146
	s_mov_b32 s14, 0
	s_mov_b32 s34, exec_lo
                                        ; implicit-def: $sgpr31
	s_delay_alu instid0(VALU_DEP_1)
	v_cmpx_lt_i16_e64 0x7f, v148
	s_xor_b32 s34, exec_lo, s34
	s_cbranch_execnz .LBB2_4882
; %bb.4451:                             ;   in Loop: Header=BB2_4380 Depth=3
	s_or_saveexec_b32 s34, s34
	v_mov_b32_e32 v147, s31
	s_xor_b32 exec_lo, exec_lo, s34
	s_cbranch_execnz .LBB2_4885
.LBB2_4452:                             ;   in Loop: Header=BB2_4380 Depth=3
	s_or_b32 exec_lo, exec_lo, s34
	s_and_saveexec_b32 s31, s14
	s_cbranch_execz .LBB2_4454
.LBB2_4453:                             ;   in Loop: Header=BB2_4380 Depth=3
	v_bfe_u32 v147, v12, 16, 3
	v_bfe_u32 v150, v12, 19, 4
	s_delay_alu instid0(VALU_DEP_2) | instskip(NEXT) | instid1(VALU_DEP_2)
	v_clz_i32_u32_e32 v148, v147
	v_cmp_eq_u32_e32 vcc_lo, 0, v150
	s_delay_alu instid0(VALU_DEP_2) | instskip(NEXT) | instid1(VALU_DEP_1)
	v_min_u32_e32 v148, 32, v148
	v_subrev_nc_u32_e32 v149, 28, v148
	v_sub_nc_u32_e32 v148, 29, v148
	s_delay_alu instid0(VALU_DEP_1) | instskip(NEXT) | instid1(VALU_DEP_1)
	v_dual_cndmask_b32 v148, v150, v148 :: v_dual_lshlrev_b32 v149, v149, v146
	v_and_b32_e32 v149, 7, v149
	v_lshlrev_b32_e32 v146, 24, v146
	s_delay_alu instid0(VALU_DEP_3) | instskip(NEXT) | instid1(VALU_DEP_2)
	v_lshl_add_u32 v148, v148, 23, 0x3b800000
	v_dual_cndmask_b32 v147, v147, v149 :: v_dual_and_b32 v146, 0x80000000, v146
	s_delay_alu instid0(VALU_DEP_1) | instskip(NEXT) | instid1(VALU_DEP_1)
	v_lshlrev_b32_e32 v147, 20, v147
	v_or3_b32 v147, v146, v148, v147
.LBB2_4454:                             ;   in Loop: Header=BB2_4380 Depth=3
	s_or_b32 exec_lo, exec_lo, s31
	v_and_b32_e32 v148, 0xff, v145
	s_mov_b32 s14, 0
	s_mov_b32 s34, exec_lo
                                        ; implicit-def: $sgpr31
	s_delay_alu instid0(VALU_DEP_1)
	v_cmpx_lt_i16_e64 0x7f, v148
	s_xor_b32 s34, exec_lo, s34
	s_cbranch_execnz .LBB2_4886
; %bb.4455:                             ;   in Loop: Header=BB2_4380 Depth=3
	s_or_saveexec_b32 s34, s34
	v_mov_b32_e32 v146, s31
	s_xor_b32 exec_lo, exec_lo, s34
	s_cbranch_execnz .LBB2_4889
.LBB2_4456:                             ;   in Loop: Header=BB2_4380 Depth=3
	s_or_b32 exec_lo, exec_lo, s34
	s_and_saveexec_b32 s31, s14
	s_cbranch_execz .LBB2_4458
.LBB2_4457:                             ;   in Loop: Header=BB2_4380 Depth=3
	v_bfe_u32 v146, v8, 16, 3
	v_bfe_u32 v150, v8, 19, 4
	s_delay_alu instid0(VALU_DEP_2) | instskip(NEXT) | instid1(VALU_DEP_2)
	v_clz_i32_u32_e32 v148, v146
	v_cmp_eq_u32_e32 vcc_lo, 0, v150
	s_delay_alu instid0(VALU_DEP_2) | instskip(NEXT) | instid1(VALU_DEP_1)
	v_min_u32_e32 v148, 32, v148
	v_subrev_nc_u32_e32 v149, 28, v148
	v_sub_nc_u32_e32 v148, 29, v148
	s_delay_alu instid0(VALU_DEP_1) | instskip(SKIP_1) | instid1(VALU_DEP_2)
	v_dual_cndmask_b32 v148, v150, v148 :: v_dual_lshlrev_b32 v149, v149, v145
	v_lshlrev_b32_e32 v145, 24, v145
	v_and_b32_e32 v149, 7, v149
	s_delay_alu instid0(VALU_DEP_3) | instskip(NEXT) | instid1(VALU_DEP_3)
	v_lshl_add_u32 v148, v148, 23, 0x3b800000
	v_and_b32_e32 v145, 0x80000000, v145
	s_delay_alu instid0(VALU_DEP_3) | instskip(NEXT) | instid1(VALU_DEP_1)
	v_cndmask_b32_e32 v146, v146, v149, vcc_lo
	v_lshlrev_b32_e32 v146, 20, v146
	s_delay_alu instid0(VALU_DEP_1)
	v_or3_b32 v146, v145, v148, v146
.LBB2_4458:                             ;   in Loop: Header=BB2_4380 Depth=3
	s_or_b32 exec_lo, exec_lo, s31
	s_delay_alu instid0(VALU_DEP_1) | instskip(NEXT) | instid1(VALU_DEP_1)
	v_dual_max_f32 v145, v146, v146 :: v_dual_max_f32 v146, v147, v147
	v_min_f32_e32 v147, v146, v145
.LBB2_4459:                             ;   in Loop: Header=BB2_4380 Depth=3
	s_delay_alu instid0(VALU_DEP_1) | instskip(NEXT) | instid1(VALU_DEP_1)
	v_and_b32_e32 v145, 0x7f800000, v147
	v_cmp_ne_u32_e32 vcc_lo, 0x7f800000, v145
	v_mov_b32_e32 v145, 0x80
	s_and_saveexec_b32 s31, vcc_lo
	s_cbranch_execz .LBB2_4467
; %bb.4460:                             ;   in Loop: Header=BB2_4380 Depth=3
	v_mov_b32_e32 v145, 0
	s_mov_b32 s34, exec_lo
	v_cmpx_ne_u32_e32 0, v147
	s_cbranch_execz .LBB2_4466
; %bb.4461:                             ;   in Loop: Header=BB2_4380 Depth=3
	v_bfe_u32 v145, v147, 23, 8
	v_and_b32_e32 v146, 0x7fffff, v147
	s_delay_alu instid0(VALU_DEP_2) | instskip(SKIP_1) | instid1(VALU_DEP_3)
	v_sub_nc_u32_e32 v148, 0x78, v145
	v_cmp_gt_u32_e32 vcc_lo, 0x79, v145
	v_or_b32_e32 v149, 0x800000, v146
	s_delay_alu instid0(VALU_DEP_3) | instskip(SKIP_2) | instid1(VALU_DEP_3)
	v_cndmask_b32_e32 v148, 0, v148, vcc_lo
	v_cmp_eq_u32_e32 vcc_lo, 0, v145
	v_add_nc_u32_e32 v145, 0xffffff89, v145
	v_cndmask_b32_e64 v148, v148, 0x77, vcc_lo
	v_cndmask_b32_e32 v146, v149, v146, vcc_lo
	s_delay_alu instid0(VALU_DEP_3) | instskip(NEXT) | instid1(VALU_DEP_3)
	v_cndmask_b32_e64 v145, v145, 0xffffff8a, vcc_lo
	v_lshl_add_u32 v149, 0x100000, v148, -1
	s_delay_alu instid0(VALU_DEP_3) | instskip(SKIP_1) | instid1(VALU_DEP_4)
	v_lshrrev_b32_e32 v150, v148, v146
	v_lshlrev_b32_e64 v160, v148, 0x80000
	v_add_nc_u32_e32 v148, v148, v145
	s_delay_alu instid0(VALU_DEP_4) | instskip(NEXT) | instid1(VALU_DEP_4)
	v_and_b32_e32 v146, v149, v146
	v_bfe_u32 v151, v150, 20, 1
	s_delay_alu instid0(VALU_DEP_2) | instskip(NEXT) | instid1(VALU_DEP_2)
	v_cmp_eq_u32_e64 s14, v146, v160
	v_add_nc_u32_e32 v149, -1, v151
	s_delay_alu instid0(VALU_DEP_1) | instskip(SKIP_2) | instid1(VALU_DEP_2)
	v_cndmask_b32_e64 v146, 0, v149, s14
	v_lshrrev_b32_e32 v149, 23, v150
	s_mov_b32 s14, exec_lo
	v_add_nc_u32_e32 v146, v146, v150
	s_delay_alu instid0(VALU_DEP_2) | instskip(NEXT) | instid1(VALU_DEP_2)
	v_xor_b32_e32 v149, 1, v149
	v_and_b32_e32 v145, 0xfffff, v146
	s_delay_alu instid0(VALU_DEP_1) | instskip(NEXT) | instid1(VALU_DEP_3)
	v_add_nc_u32_e32 v146, v145, v150
                                        ; implicit-def: $vgpr145
	v_cmpx_ne_u32_e64 v148, v149
	s_xor_b32 s14, exec_lo, s14
; %bb.4462:                             ;   in Loop: Header=BB2_4380 Depth=3
	s_delay_alu instid0(VALU_DEP_2) | instskip(SKIP_2) | instid1(VALU_DEP_2)
	v_cmp_lt_u32_e32 vcc_lo, 0xffffff, v146
	v_sub_nc_u32_e32 v145, v148, v149
	v_cndmask_b32_e64 v148, 0, 1, vcc_lo
	v_add_co_ci_u32_e32 v145, vcc_lo, 0, v145, vcc_lo
	s_delay_alu instid0(VALU_DEP_2)
	v_lshrrev_b32_e32 v146, v148, v146
; %bb.4463:                             ;   in Loop: Header=BB2_4380 Depth=3
	s_and_not1_saveexec_b32 s14, s14
; %bb.4464:                             ;   in Loop: Header=BB2_4380 Depth=3
	s_delay_alu instid0(VALU_DEP_1)
	v_bfe_u32 v145, v146, 23, 1
; %bb.4465:                             ;   in Loop: Header=BB2_4380 Depth=3
	s_or_b32 exec_lo, exec_lo, s14
	v_lshrrev_b32_e32 v146, 20, v146
	s_delay_alu instid0(VALU_DEP_2) | instskip(SKIP_2) | instid1(VALU_DEP_2)
	v_cmp_gt_i32_e32 vcc_lo, 16, v145
	v_lshrrev_b32_e32 v147, 24, v147
	v_min_i32_e32 v148, 15, v145
	v_dual_cndmask_b32 v146, 7, v146 :: v_dual_and_b32 v147, 0x80, v147
	s_delay_alu instid0(VALU_DEP_1) | instskip(SKIP_1) | instid1(VALU_DEP_2)
	v_or_b32_e32 v145, v145, v146
	v_and_b32_e32 v149, 7, v146
	v_cmp_ne_u32_e32 vcc_lo, 0, v145
	v_lshlrev_b32_e32 v148, 3, v148
	s_delay_alu instid0(VALU_DEP_1) | instskip(NEXT) | instid1(VALU_DEP_1)
	v_or3_b32 v146, v148, v147, v149
	v_cndmask_b32_e32 v145, 0, v146, vcc_lo
.LBB2_4466:                             ;   in Loop: Header=BB2_4380 Depth=3
	s_or_b32 exec_lo, exec_lo, s34
.LBB2_4467:                             ;   in Loop: Header=BB2_4380 Depth=3
	s_delay_alu instid0(SALU_CYCLE_1)
	s_or_b32 exec_lo, exec_lo, s31
	v_lshrrev_b32_e32 v147, 24, v12
	v_lshrrev_b32_e32 v146, 24, v8
	s_and_b32 vcc_lo, exec_lo, s17
	s_cbranch_vccz .LBB2_4477
; %bb.4468:                             ;   in Loop: Header=BB2_4380 Depth=3
	s_mov_b32 s14, 0
	s_mov_b32 s34, exec_lo
                                        ; implicit-def: $sgpr31
	v_cmpx_lt_i16_e64 0x7f, v147
	s_xor_b32 s34, exec_lo, s34
	s_cbranch_execnz .LBB2_4890
; %bb.4469:                             ;   in Loop: Header=BB2_4380 Depth=3
	s_or_saveexec_b32 s34, s34
	v_mov_b32_e32 v148, s31
	s_xor_b32 exec_lo, exec_lo, s34
	s_cbranch_execnz .LBB2_4893
.LBB2_4470:                             ;   in Loop: Header=BB2_4380 Depth=3
	s_or_b32 exec_lo, exec_lo, s34
	s_and_saveexec_b32 s31, s14
	s_cbranch_execz .LBB2_4472
.LBB2_4471:                             ;   in Loop: Header=BB2_4380 Depth=3
	v_bfe_u32 v148, v12, 24, 3
	v_bfe_u32 v151, v12, 27, 4
	s_delay_alu instid0(VALU_DEP_2) | instskip(NEXT) | instid1(VALU_DEP_2)
	v_clz_i32_u32_e32 v149, v148
	v_cmp_eq_u32_e32 vcc_lo, 0, v151
	s_delay_alu instid0(VALU_DEP_2) | instskip(NEXT) | instid1(VALU_DEP_1)
	v_min_u32_e32 v149, 32, v149
	v_subrev_nc_u32_e32 v150, 28, v149
	v_sub_nc_u32_e32 v149, 29, v149
	s_delay_alu instid0(VALU_DEP_1) | instskip(NEXT) | instid1(VALU_DEP_1)
	v_dual_cndmask_b32 v149, v151, v149 :: v_dual_lshlrev_b32 v150, v150, v147
	v_and_b32_e32 v150, 7, v150
	s_delay_alu instid0(VALU_DEP_2) | instskip(NEXT) | instid1(VALU_DEP_2)
	v_lshl_add_u32 v149, v149, 23, 0x3b800000
	v_cndmask_b32_e32 v148, v148, v150, vcc_lo
	v_and_b32_e32 v150, 0x80000000, v12
	s_delay_alu instid0(VALU_DEP_2) | instskip(NEXT) | instid1(VALU_DEP_1)
	v_lshlrev_b32_e32 v148, 20, v148
	v_or3_b32 v148, v150, v149, v148
.LBB2_4472:                             ;   in Loop: Header=BB2_4380 Depth=3
	s_or_b32 exec_lo, exec_lo, s31
	s_mov_b32 s14, 0
	s_mov_b32 s34, exec_lo
                                        ; implicit-def: $sgpr31
	v_cmpx_lt_i16_e64 0x7f, v146
	s_xor_b32 s34, exec_lo, s34
	s_cbranch_execnz .LBB2_4894
; %bb.4473:                             ;   in Loop: Header=BB2_4380 Depth=3
	s_or_saveexec_b32 s34, s34
	v_mov_b32_e32 v149, s31
	s_xor_b32 exec_lo, exec_lo, s34
	s_cbranch_execnz .LBB2_4897
.LBB2_4474:                             ;   in Loop: Header=BB2_4380 Depth=3
	s_or_b32 exec_lo, exec_lo, s34
	s_and_saveexec_b32 s31, s14
	s_cbranch_execz .LBB2_4476
.LBB2_4475:                             ;   in Loop: Header=BB2_4380 Depth=3
	v_bfe_u32 v149, v8, 24, 3
	v_bfe_u32 v160, v8, 27, 4
	s_delay_alu instid0(VALU_DEP_2) | instskip(NEXT) | instid1(VALU_DEP_2)
	v_clz_i32_u32_e32 v150, v149
	v_cmp_eq_u32_e32 vcc_lo, 0, v160
	s_delay_alu instid0(VALU_DEP_2) | instskip(NEXT) | instid1(VALU_DEP_1)
	v_min_u32_e32 v150, 32, v150
	v_subrev_nc_u32_e32 v151, 28, v150
	v_sub_nc_u32_e32 v150, 29, v150
	s_delay_alu instid0(VALU_DEP_2) | instskip(NEXT) | instid1(VALU_DEP_1)
	v_lshlrev_b32_e32 v151, v151, v146
	v_dual_cndmask_b32 v150, v160, v150 :: v_dual_and_b32 v151, 7, v151
	s_delay_alu instid0(VALU_DEP_1) | instskip(NEXT) | instid1(VALU_DEP_2)
	v_lshl_add_u32 v150, v150, 23, 0x3b800000
	v_cndmask_b32_e32 v149, v149, v151, vcc_lo
	v_and_b32_e32 v151, 0x80000000, v8
	s_delay_alu instid0(VALU_DEP_2) | instskip(NEXT) | instid1(VALU_DEP_1)
	v_lshlrev_b32_e32 v149, 20, v149
	v_or3_b32 v149, v151, v150, v149
.LBB2_4476:                             ;   in Loop: Header=BB2_4380 Depth=3
	s_or_b32 exec_lo, exec_lo, s31
	s_delay_alu instid0(VALU_DEP_1) | instskip(SKIP_1) | instid1(VALU_DEP_1)
	v_dual_max_f32 v149, v149, v149 :: v_dual_max_f32 v148, v148, v148
	s_mov_b32 s14, 0
	v_max_f32_e32 v148, v148, v149
	s_branch .LBB2_4478
.LBB2_4477:                             ;   in Loop: Header=BB2_4380 Depth=3
	s_mov_b32 s14, -1
                                        ; implicit-def: $vgpr148
.LBB2_4478:                             ;   in Loop: Header=BB2_4380 Depth=3
	s_delay_alu instid0(SALU_CYCLE_1)
	s_and_b32 vcc_lo, exec_lo, s14
	s_cbranch_vccz .LBB2_4488
; %bb.4479:                             ;   in Loop: Header=BB2_4380 Depth=3
	s_mov_b32 s14, 0
	s_mov_b32 s34, exec_lo
                                        ; implicit-def: $sgpr31
	v_cmpx_lt_i16_e64 0x7f, v147
	s_xor_b32 s34, exec_lo, s34
	s_cbranch_execnz .LBB2_4898
; %bb.4480:                             ;   in Loop: Header=BB2_4380 Depth=3
	s_or_saveexec_b32 s34, s34
	v_mov_b32_e32 v148, s31
	s_xor_b32 exec_lo, exec_lo, s34
	s_cbranch_execnz .LBB2_4901
.LBB2_4481:                             ;   in Loop: Header=BB2_4380 Depth=3
	s_or_b32 exec_lo, exec_lo, s34
	s_and_saveexec_b32 s31, s14
	s_cbranch_execz .LBB2_4483
.LBB2_4482:                             ;   in Loop: Header=BB2_4380 Depth=3
	v_bfe_u32 v148, v12, 24, 3
	s_delay_alu instid0(VALU_DEP_1) | instskip(NEXT) | instid1(VALU_DEP_1)
	v_clz_i32_u32_e32 v149, v148
	v_min_u32_e32 v149, 32, v149
	s_delay_alu instid0(VALU_DEP_1) | instskip(SKIP_1) | instid1(VALU_DEP_2)
	v_subrev_nc_u32_e32 v150, 28, v149
	v_sub_nc_u32_e32 v149, 29, v149
	v_lshlrev_b32_e32 v147, v150, v147
	v_bfe_u32 v150, v12, 27, 4
	v_and_b32_e32 v12, 0x80000000, v12
	s_delay_alu instid0(VALU_DEP_3) | instskip(NEXT) | instid1(VALU_DEP_3)
	v_and_b32_e32 v147, 7, v147
	v_cmp_eq_u32_e32 vcc_lo, 0, v150
	v_cndmask_b32_e32 v149, v150, v149, vcc_lo
	s_delay_alu instid0(VALU_DEP_3) | instskip(NEXT) | instid1(VALU_DEP_2)
	v_cndmask_b32_e32 v147, v148, v147, vcc_lo
	v_lshl_add_u32 v148, v149, 23, 0x3b800000
	s_delay_alu instid0(VALU_DEP_2) | instskip(NEXT) | instid1(VALU_DEP_1)
	v_lshlrev_b32_e32 v147, 20, v147
	v_or3_b32 v148, v12, v148, v147
.LBB2_4483:                             ;   in Loop: Header=BB2_4380 Depth=3
	s_or_b32 exec_lo, exec_lo, s31
	s_mov_b32 s14, 0
	s_mov_b32 s34, exec_lo
                                        ; implicit-def: $sgpr31
	v_cmpx_lt_i16_e64 0x7f, v146
	s_xor_b32 s34, exec_lo, s34
	s_cbranch_execnz .LBB2_4902
; %bb.4484:                             ;   in Loop: Header=BB2_4380 Depth=3
	s_or_saveexec_b32 s34, s34
	v_mov_b32_e32 v12, s31
	s_xor_b32 exec_lo, exec_lo, s34
	s_cbranch_execnz .LBB2_4905
.LBB2_4485:                             ;   in Loop: Header=BB2_4380 Depth=3
	s_or_b32 exec_lo, exec_lo, s34
	s_and_saveexec_b32 s31, s14
	s_cbranch_execz .LBB2_4487
.LBB2_4486:                             ;   in Loop: Header=BB2_4380 Depth=3
	v_bfe_u32 v12, v8, 24, 3
	s_delay_alu instid0(VALU_DEP_1) | instskip(NEXT) | instid1(VALU_DEP_1)
	v_clz_i32_u32_e32 v147, v12
	v_min_u32_e32 v147, 32, v147
	s_delay_alu instid0(VALU_DEP_1) | instskip(SKIP_1) | instid1(VALU_DEP_2)
	v_subrev_nc_u32_e32 v149, 28, v147
	v_sub_nc_u32_e32 v147, 29, v147
	v_lshlrev_b32_e32 v146, v149, v146
	v_bfe_u32 v149, v8, 27, 4
	v_and_b32_e32 v8, 0x80000000, v8
	s_delay_alu instid0(VALU_DEP_2) | instskip(NEXT) | instid1(VALU_DEP_4)
	v_cmp_eq_u32_e32 vcc_lo, 0, v149
	v_dual_cndmask_b32 v147, v149, v147 :: v_dual_and_b32 v146, 7, v146
	s_delay_alu instid0(VALU_DEP_1) | instskip(NEXT) | instid1(VALU_DEP_2)
	v_cndmask_b32_e32 v12, v12, v146, vcc_lo
	v_lshl_add_u32 v146, v147, 23, 0x3b800000
	s_delay_alu instid0(VALU_DEP_2) | instskip(NEXT) | instid1(VALU_DEP_1)
	v_lshlrev_b32_e32 v12, 20, v12
	v_or3_b32 v12, v8, v146, v12
.LBB2_4487:                             ;   in Loop: Header=BB2_4380 Depth=3
	s_or_b32 exec_lo, exec_lo, s31
	s_delay_alu instid0(VALU_DEP_1) | instskip(SKIP_1) | instid1(VALU_DEP_1)
	v_max_f32_e32 v8, v12, v12
	v_max_f32_e32 v12, v148, v148
	v_min_f32_e32 v148, v12, v8
.LBB2_4488:                             ;   in Loop: Header=BB2_4380 Depth=3
	s_delay_alu instid0(VALU_DEP_1) | instskip(NEXT) | instid1(VALU_DEP_1)
	v_and_b32_e32 v8, 0x7f800000, v148
	v_cmp_ne_u32_e32 vcc_lo, 0x7f800000, v8
	v_mov_b32_e32 v8, 0x80
	s_and_saveexec_b32 s31, vcc_lo
	s_cbranch_execz .LBB2_4496
; %bb.4489:                             ;   in Loop: Header=BB2_4380 Depth=3
	v_mov_b32_e32 v8, 0
	s_mov_b32 s34, exec_lo
	v_cmpx_ne_u32_e32 0, v148
	s_cbranch_execz .LBB2_4495
; %bb.4490:                             ;   in Loop: Header=BB2_4380 Depth=3
	v_bfe_u32 v8, v148, 23, 8
	v_and_b32_e32 v12, 0x7fffff, v148
	s_delay_alu instid0(VALU_DEP_2) | instskip(SKIP_1) | instid1(VALU_DEP_3)
	v_sub_nc_u32_e32 v146, 0x78, v8
	v_cmp_gt_u32_e32 vcc_lo, 0x79, v8
	v_or_b32_e32 v147, 0x800000, v12
	s_delay_alu instid0(VALU_DEP_3) | instskip(SKIP_2) | instid1(VALU_DEP_3)
	v_cndmask_b32_e32 v146, 0, v146, vcc_lo
	v_cmp_eq_u32_e32 vcc_lo, 0, v8
	v_add_nc_u32_e32 v8, 0xffffff89, v8
	v_cndmask_b32_e64 v146, v146, 0x77, vcc_lo
	v_cndmask_b32_e32 v12, v147, v12, vcc_lo
	s_delay_alu instid0(VALU_DEP_3) | instskip(NEXT) | instid1(VALU_DEP_3)
	v_cndmask_b32_e64 v8, v8, 0xffffff8a, vcc_lo
	v_lshl_add_u32 v147, 0x100000, v146, -1
	s_delay_alu instid0(VALU_DEP_3) | instskip(SKIP_1) | instid1(VALU_DEP_4)
	v_lshrrev_b32_e32 v149, v146, v12
	v_lshlrev_b32_e64 v151, v146, 0x80000
	v_add_nc_u32_e32 v146, v146, v8
	s_delay_alu instid0(VALU_DEP_4) | instskip(NEXT) | instid1(VALU_DEP_4)
	v_and_b32_e32 v12, v147, v12
	v_bfe_u32 v150, v149, 20, 1
	s_delay_alu instid0(VALU_DEP_2) | instskip(NEXT) | instid1(VALU_DEP_2)
	v_cmp_eq_u32_e64 s14, v12, v151
	v_add_nc_u32_e32 v147, -1, v150
	s_delay_alu instid0(VALU_DEP_1) | instskip(SKIP_2) | instid1(VALU_DEP_2)
	v_cndmask_b32_e64 v12, 0, v147, s14
	v_lshrrev_b32_e32 v147, 23, v149
	s_mov_b32 s14, exec_lo
	v_add_nc_u32_e32 v12, v12, v149
	s_delay_alu instid0(VALU_DEP_2) | instskip(NEXT) | instid1(VALU_DEP_2)
	v_xor_b32_e32 v147, 1, v147
	v_and_b32_e32 v8, 0xfffff, v12
	s_delay_alu instid0(VALU_DEP_1) | instskip(NEXT) | instid1(VALU_DEP_3)
	v_add_nc_u32_e32 v12, v8, v149
                                        ; implicit-def: $vgpr8
	v_cmpx_ne_u32_e64 v146, v147
	s_xor_b32 s14, exec_lo, s14
; %bb.4491:                             ;   in Loop: Header=BB2_4380 Depth=3
	s_delay_alu instid0(VALU_DEP_2) | instskip(SKIP_2) | instid1(VALU_DEP_2)
	v_cmp_lt_u32_e32 vcc_lo, 0xffffff, v12
	v_sub_nc_u32_e32 v8, v146, v147
	v_cndmask_b32_e64 v146, 0, 1, vcc_lo
	v_add_co_ci_u32_e32 v8, vcc_lo, 0, v8, vcc_lo
	s_delay_alu instid0(VALU_DEP_2)
	v_lshrrev_b32_e32 v12, v146, v12
; %bb.4492:                             ;   in Loop: Header=BB2_4380 Depth=3
	s_and_not1_saveexec_b32 s14, s14
; %bb.4493:                             ;   in Loop: Header=BB2_4380 Depth=3
	s_delay_alu instid0(VALU_DEP_1)
	v_bfe_u32 v8, v12, 23, 1
; %bb.4494:                             ;   in Loop: Header=BB2_4380 Depth=3
	s_or_b32 exec_lo, exec_lo, s14
	v_lshrrev_b32_e32 v12, 20, v12
	s_delay_alu instid0(VALU_DEP_2) | instskip(SKIP_2) | instid1(VALU_DEP_4)
	v_cmp_gt_i32_e32 vcc_lo, 16, v8
	v_lshrrev_b32_e32 v146, 24, v148
	v_min_i32_e32 v147, 15, v8
	v_cndmask_b32_e32 v12, 7, v12, vcc_lo
	s_delay_alu instid0(VALU_DEP_3) | instskip(NEXT) | instid1(VALU_DEP_3)
	v_and_b32_e32 v146, 0x80, v146
	v_lshlrev_b32_e32 v147, 3, v147
	s_delay_alu instid0(VALU_DEP_3) | instskip(SKIP_1) | instid1(VALU_DEP_2)
	v_and_b32_e32 v148, 7, v12
	v_or_b32_e32 v8, v8, v12
	v_or3_b32 v12, v147, v146, v148
	s_delay_alu instid0(VALU_DEP_2) | instskip(NEXT) | instid1(VALU_DEP_2)
	v_cmp_ne_u32_e32 vcc_lo, 0, v8
	v_cndmask_b32_e32 v8, 0, v12, vcc_lo
.LBB2_4495:                             ;   in Loop: Header=BB2_4380 Depth=3
	s_or_b32 exec_lo, exec_lo, s34
.LBB2_4496:                             ;   in Loop: Header=BB2_4380 Depth=3
	s_delay_alu instid0(SALU_CYCLE_1) | instskip(NEXT) | instid1(SALU_CYCLE_1)
	s_or_b32 exec_lo, exec_lo, s31
	s_and_b32 vcc_lo, exec_lo, s17
	s_cbranch_vccz .LBB2_4506
; %bb.4497:                             ;   in Loop: Header=BB2_4380 Depth=3
	v_and_b32_e32 v146, 0xff, v13
	s_mov_b32 s14, 0
	s_mov_b32 s34, exec_lo
                                        ; implicit-def: $sgpr31
	s_delay_alu instid0(VALU_DEP_1)
	v_cmpx_lt_i16_e64 0x7f, v146
	s_xor_b32 s34, exec_lo, s34
	s_cbranch_execnz .LBB2_4906
; %bb.4498:                             ;   in Loop: Header=BB2_4380 Depth=3
	s_or_saveexec_b32 s34, s34
	v_mov_b32_e32 v12, s31
	s_xor_b32 exec_lo, exec_lo, s34
	s_cbranch_execnz .LBB2_4909
.LBB2_4499:                             ;   in Loop: Header=BB2_4380 Depth=3
	s_or_b32 exec_lo, exec_lo, s34
	s_and_saveexec_b32 s31, s14
	s_cbranch_execz .LBB2_4501
.LBB2_4500:                             ;   in Loop: Header=BB2_4380 Depth=3
	v_and_b32_e32 v12, 7, v13
	v_bfe_u32 v148, v13, 3, 4
	s_delay_alu instid0(VALU_DEP_2) | instskip(NEXT) | instid1(VALU_DEP_2)
	v_clz_i32_u32_e32 v146, v12
	v_cmp_eq_u32_e32 vcc_lo, 0, v148
	s_delay_alu instid0(VALU_DEP_2) | instskip(NEXT) | instid1(VALU_DEP_1)
	v_min_u32_e32 v146, 32, v146
	v_subrev_nc_u32_e32 v147, 28, v146
	v_sub_nc_u32_e32 v146, 29, v146
	s_delay_alu instid0(VALU_DEP_1) | instskip(NEXT) | instid1(VALU_DEP_1)
	v_dual_cndmask_b32 v146, v148, v146 :: v_dual_lshlrev_b32 v147, v147, v13
	v_and_b32_e32 v147, 7, v147
	v_lshlrev_b32_e32 v149, 24, v13
	s_delay_alu instid0(VALU_DEP_3) | instskip(NEXT) | instid1(VALU_DEP_2)
	v_lshl_add_u32 v146, v146, 23, 0x3b800000
	v_dual_cndmask_b32 v12, v12, v147 :: v_dual_and_b32 v147, 0x80000000, v149
	s_delay_alu instid0(VALU_DEP_1) | instskip(NEXT) | instid1(VALU_DEP_1)
	v_lshlrev_b32_e32 v12, 20, v12
	v_or3_b32 v12, v147, v146, v12
.LBB2_4501:                             ;   in Loop: Header=BB2_4380 Depth=3
	s_or_b32 exec_lo, exec_lo, s31
	v_and_b32_e32 v147, 0xff, v9
	s_mov_b32 s14, 0
	s_mov_b32 s34, exec_lo
                                        ; implicit-def: $sgpr31
	s_delay_alu instid0(VALU_DEP_1)
	v_cmpx_lt_i16_e64 0x7f, v147
	s_xor_b32 s34, exec_lo, s34
	s_cbranch_execnz .LBB2_4910
; %bb.4502:                             ;   in Loop: Header=BB2_4380 Depth=3
	s_or_saveexec_b32 s34, s34
	v_mov_b32_e32 v146, s31
	s_xor_b32 exec_lo, exec_lo, s34
	s_cbranch_execnz .LBB2_4913
.LBB2_4503:                             ;   in Loop: Header=BB2_4380 Depth=3
	s_or_b32 exec_lo, exec_lo, s34
	s_and_saveexec_b32 s31, s14
	s_cbranch_execz .LBB2_4505
.LBB2_4504:                             ;   in Loop: Header=BB2_4380 Depth=3
	v_bfe_u32 v149, v9, 3, 4
	v_lshlrev_b32_e32 v150, 24, v9
	s_delay_alu instid0(VALU_DEP_2) | instskip(SKIP_1) | instid1(VALU_DEP_1)
	v_cmp_eq_u32_e32 vcc_lo, 0, v149
	v_and_b32_e32 v146, 7, v9
	v_clz_i32_u32_e32 v147, v146
	s_delay_alu instid0(VALU_DEP_1) | instskip(NEXT) | instid1(VALU_DEP_1)
	v_min_u32_e32 v147, 32, v147
	v_subrev_nc_u32_e32 v148, 28, v147
	v_sub_nc_u32_e32 v147, 29, v147
	s_delay_alu instid0(VALU_DEP_1) | instskip(NEXT) | instid1(VALU_DEP_1)
	v_dual_cndmask_b32 v147, v149, v147 :: v_dual_lshlrev_b32 v148, v148, v9
	v_and_b32_e32 v148, 7, v148
	s_delay_alu instid0(VALU_DEP_2) | instskip(NEXT) | instid1(VALU_DEP_2)
	v_lshl_add_u32 v147, v147, 23, 0x3b800000
	v_cndmask_b32_e32 v146, v146, v148, vcc_lo
	v_and_b32_e32 v148, 0x80000000, v150
	s_delay_alu instid0(VALU_DEP_2) | instskip(NEXT) | instid1(VALU_DEP_1)
	v_lshlrev_b32_e32 v146, 20, v146
	v_or3_b32 v146, v148, v147, v146
.LBB2_4505:                             ;   in Loop: Header=BB2_4380 Depth=3
	s_or_b32 exec_lo, exec_lo, s31
	s_delay_alu instid0(VALU_DEP_1) | instskip(SKIP_2) | instid1(VALU_DEP_1)
	v_max_f32_e32 v146, v146, v146
	v_max_f32_e32 v12, v12, v12
	s_mov_b32 s14, 0
	v_max_f32_e32 v146, v12, v146
	s_branch .LBB2_4507
.LBB2_4506:                             ;   in Loop: Header=BB2_4380 Depth=3
	s_mov_b32 s14, -1
                                        ; implicit-def: $vgpr146
.LBB2_4507:                             ;   in Loop: Header=BB2_4380 Depth=3
	s_delay_alu instid0(SALU_CYCLE_1)
	s_and_b32 vcc_lo, exec_lo, s14
	s_cbranch_vccz .LBB2_4517
; %bb.4508:                             ;   in Loop: Header=BB2_4380 Depth=3
	v_and_b32_e32 v146, 0xff, v13
	s_mov_b32 s14, 0
	s_mov_b32 s34, exec_lo
                                        ; implicit-def: $sgpr31
	s_delay_alu instid0(VALU_DEP_1)
	v_cmpx_lt_i16_e64 0x7f, v146
	s_xor_b32 s34, exec_lo, s34
	s_cbranch_execnz .LBB2_4914
; %bb.4509:                             ;   in Loop: Header=BB2_4380 Depth=3
	s_or_saveexec_b32 s34, s34
	v_mov_b32_e32 v12, s31
	s_xor_b32 exec_lo, exec_lo, s34
	s_cbranch_execnz .LBB2_4917
.LBB2_4510:                             ;   in Loop: Header=BB2_4380 Depth=3
	s_or_b32 exec_lo, exec_lo, s34
	s_and_saveexec_b32 s31, s14
	s_cbranch_execz .LBB2_4512
.LBB2_4511:                             ;   in Loop: Header=BB2_4380 Depth=3
	v_and_b32_e32 v12, 7, v13
	v_bfe_u32 v148, v13, 3, 4
	s_delay_alu instid0(VALU_DEP_2) | instskip(NEXT) | instid1(VALU_DEP_2)
	v_clz_i32_u32_e32 v146, v12
	v_cmp_eq_u32_e32 vcc_lo, 0, v148
	s_delay_alu instid0(VALU_DEP_2) | instskip(NEXT) | instid1(VALU_DEP_1)
	v_min_u32_e32 v146, 32, v146
	v_subrev_nc_u32_e32 v147, 28, v146
	v_sub_nc_u32_e32 v146, 29, v146
	s_delay_alu instid0(VALU_DEP_1) | instskip(NEXT) | instid1(VALU_DEP_1)
	v_dual_cndmask_b32 v146, v148, v146 :: v_dual_lshlrev_b32 v147, v147, v13
	v_and_b32_e32 v147, 7, v147
	v_lshlrev_b32_e32 v149, 24, v13
	s_delay_alu instid0(VALU_DEP_3) | instskip(NEXT) | instid1(VALU_DEP_2)
	v_lshl_add_u32 v146, v146, 23, 0x3b800000
	v_dual_cndmask_b32 v12, v12, v147 :: v_dual_and_b32 v147, 0x80000000, v149
	s_delay_alu instid0(VALU_DEP_1) | instskip(NEXT) | instid1(VALU_DEP_1)
	v_lshlrev_b32_e32 v12, 20, v12
	v_or3_b32 v12, v147, v146, v12
.LBB2_4512:                             ;   in Loop: Header=BB2_4380 Depth=3
	s_or_b32 exec_lo, exec_lo, s31
	v_and_b32_e32 v147, 0xff, v9
	s_mov_b32 s14, 0
	s_mov_b32 s34, exec_lo
                                        ; implicit-def: $sgpr31
	s_delay_alu instid0(VALU_DEP_1)
	v_cmpx_lt_i16_e64 0x7f, v147
	s_xor_b32 s34, exec_lo, s34
	s_cbranch_execnz .LBB2_4918
; %bb.4513:                             ;   in Loop: Header=BB2_4380 Depth=3
	s_or_saveexec_b32 s34, s34
	v_mov_b32_e32 v146, s31
	s_xor_b32 exec_lo, exec_lo, s34
	s_cbranch_execnz .LBB2_4921
.LBB2_4514:                             ;   in Loop: Header=BB2_4380 Depth=3
	s_or_b32 exec_lo, exec_lo, s34
	s_and_saveexec_b32 s31, s14
	s_cbranch_execz .LBB2_4516
.LBB2_4515:                             ;   in Loop: Header=BB2_4380 Depth=3
	v_bfe_u32 v149, v9, 3, 4
	v_lshlrev_b32_e32 v150, 24, v9
	s_delay_alu instid0(VALU_DEP_2) | instskip(SKIP_1) | instid1(VALU_DEP_1)
	v_cmp_eq_u32_e32 vcc_lo, 0, v149
	v_and_b32_e32 v146, 7, v9
	v_clz_i32_u32_e32 v147, v146
	s_delay_alu instid0(VALU_DEP_1) | instskip(NEXT) | instid1(VALU_DEP_1)
	v_min_u32_e32 v147, 32, v147
	v_subrev_nc_u32_e32 v148, 28, v147
	v_sub_nc_u32_e32 v147, 29, v147
	s_delay_alu instid0(VALU_DEP_1) | instskip(NEXT) | instid1(VALU_DEP_1)
	v_dual_cndmask_b32 v147, v149, v147 :: v_dual_lshlrev_b32 v148, v148, v9
	v_and_b32_e32 v148, 7, v148
	s_delay_alu instid0(VALU_DEP_2) | instskip(NEXT) | instid1(VALU_DEP_2)
	v_lshl_add_u32 v147, v147, 23, 0x3b800000
	v_cndmask_b32_e32 v146, v146, v148, vcc_lo
	v_and_b32_e32 v148, 0x80000000, v150
	s_delay_alu instid0(VALU_DEP_2) | instskip(NEXT) | instid1(VALU_DEP_1)
	v_lshlrev_b32_e32 v146, 20, v146
	v_or3_b32 v146, v148, v147, v146
.LBB2_4516:                             ;   in Loop: Header=BB2_4380 Depth=3
	s_or_b32 exec_lo, exec_lo, s31
	s_delay_alu instid0(VALU_DEP_1) | instskip(SKIP_1) | instid1(VALU_DEP_1)
	v_max_f32_e32 v146, v146, v146
	v_max_f32_e32 v12, v12, v12
	v_min_f32_e32 v146, v12, v146
.LBB2_4517:                             ;   in Loop: Header=BB2_4380 Depth=3
	s_delay_alu instid0(VALU_DEP_1) | instskip(NEXT) | instid1(VALU_DEP_1)
	v_and_b32_e32 v12, 0x7f800000, v146
	v_cmp_ne_u32_e32 vcc_lo, 0x7f800000, v12
	v_mov_b32_e32 v12, 0x80
	s_and_saveexec_b32 s31, vcc_lo
	s_cbranch_execz .LBB2_4525
; %bb.4518:                             ;   in Loop: Header=BB2_4380 Depth=3
	v_mov_b32_e32 v12, 0
	s_mov_b32 s34, exec_lo
	v_cmpx_ne_u32_e32 0, v146
	s_cbranch_execz .LBB2_4524
; %bb.4519:                             ;   in Loop: Header=BB2_4380 Depth=3
	v_bfe_u32 v12, v146, 23, 8
	s_delay_alu instid0(VALU_DEP_1) | instskip(SKIP_1) | instid1(VALU_DEP_2)
	v_sub_nc_u32_e32 v148, 0x78, v12
	v_cmp_gt_u32_e32 vcc_lo, 0x79, v12
	v_dual_cndmask_b32 v148, 0, v148 :: v_dual_and_b32 v147, 0x7fffff, v146
	s_delay_alu instid0(VALU_DEP_1) | instskip(SKIP_2) | instid1(VALU_DEP_4)
	v_or_b32_e32 v149, 0x800000, v147
	v_cmp_eq_u32_e32 vcc_lo, 0, v12
	v_add_nc_u32_e32 v12, 0xffffff89, v12
	v_cndmask_b32_e64 v148, v148, 0x77, vcc_lo
	s_delay_alu instid0(VALU_DEP_4) | instskip(NEXT) | instid1(VALU_DEP_3)
	v_cndmask_b32_e32 v147, v149, v147, vcc_lo
	v_cndmask_b32_e64 v12, v12, 0xffffff8a, vcc_lo
	s_delay_alu instid0(VALU_DEP_3) | instskip(NEXT) | instid1(VALU_DEP_3)
	v_lshl_add_u32 v149, 0x100000, v148, -1
	v_lshrrev_b32_e32 v150, v148, v147
	v_lshlrev_b32_e64 v160, v148, 0x80000
	s_delay_alu instid0(VALU_DEP_4) | instskip(NEXT) | instid1(VALU_DEP_4)
	v_add_nc_u32_e32 v148, v148, v12
	v_and_b32_e32 v147, v149, v147
	s_delay_alu instid0(VALU_DEP_4) | instskip(NEXT) | instid1(VALU_DEP_2)
	v_bfe_u32 v151, v150, 20, 1
	v_cmp_eq_u32_e64 s14, v147, v160
	s_delay_alu instid0(VALU_DEP_2) | instskip(NEXT) | instid1(VALU_DEP_1)
	v_add_nc_u32_e32 v149, -1, v151
	v_cndmask_b32_e64 v147, 0, v149, s14
	v_lshrrev_b32_e32 v149, 23, v150
	s_mov_b32 s14, exec_lo
	s_delay_alu instid0(VALU_DEP_2) | instskip(NEXT) | instid1(VALU_DEP_2)
	v_add_nc_u32_e32 v147, v147, v150
	v_xor_b32_e32 v149, 1, v149
	s_delay_alu instid0(VALU_DEP_2) | instskip(NEXT) | instid1(VALU_DEP_1)
	v_and_b32_e32 v12, 0xfffff, v147
	v_add_nc_u32_e32 v147, v12, v150
                                        ; implicit-def: $vgpr12
	s_delay_alu instid0(VALU_DEP_3)
	v_cmpx_ne_u32_e64 v148, v149
	s_xor_b32 s14, exec_lo, s14
; %bb.4520:                             ;   in Loop: Header=BB2_4380 Depth=3
	s_delay_alu instid0(VALU_DEP_2) | instskip(SKIP_2) | instid1(VALU_DEP_2)
	v_cmp_lt_u32_e32 vcc_lo, 0xffffff, v147
	v_sub_nc_u32_e32 v12, v148, v149
	v_cndmask_b32_e64 v148, 0, 1, vcc_lo
	v_add_co_ci_u32_e32 v12, vcc_lo, 0, v12, vcc_lo
	s_delay_alu instid0(VALU_DEP_2)
	v_lshrrev_b32_e32 v147, v148, v147
; %bb.4521:                             ;   in Loop: Header=BB2_4380 Depth=3
	s_and_not1_saveexec_b32 s14, s14
; %bb.4522:                             ;   in Loop: Header=BB2_4380 Depth=3
	s_delay_alu instid0(VALU_DEP_1)
	v_bfe_u32 v12, v147, 23, 1
; %bb.4523:                             ;   in Loop: Header=BB2_4380 Depth=3
	s_or_b32 exec_lo, exec_lo, s14
	v_lshrrev_b32_e32 v147, 20, v147
	s_delay_alu instid0(VALU_DEP_2) | instskip(SKIP_2) | instid1(VALU_DEP_2)
	v_cmp_gt_i32_e32 vcc_lo, 16, v12
	v_lshrrev_b32_e32 v146, 24, v146
	v_min_i32_e32 v148, 15, v12
	v_dual_cndmask_b32 v147, 7, v147 :: v_dual_and_b32 v146, 0x80, v146
	s_delay_alu instid0(VALU_DEP_2) | instskip(NEXT) | instid1(VALU_DEP_2)
	v_lshlrev_b32_e32 v148, 3, v148
	v_or_b32_e32 v12, v12, v147
	s_delay_alu instid0(VALU_DEP_1) | instskip(SKIP_1) | instid1(VALU_DEP_1)
	v_cmp_ne_u32_e32 vcc_lo, 0, v12
	v_and_b32_e32 v149, 7, v147
	v_or3_b32 v146, v148, v146, v149
	s_delay_alu instid0(VALU_DEP_1)
	v_cndmask_b32_e32 v12, 0, v146, vcc_lo
.LBB2_4524:                             ;   in Loop: Header=BB2_4380 Depth=3
	s_or_b32 exec_lo, exec_lo, s34
.LBB2_4525:                             ;   in Loop: Header=BB2_4380 Depth=3
	s_delay_alu instid0(SALU_CYCLE_1)
	s_or_b32 exec_lo, exec_lo, s31
	v_lshrrev_b16 v147, 8, v13
	v_lshrrev_b16 v146, 8, v9
	s_and_b32 vcc_lo, exec_lo, s17
	s_cbranch_vccz .LBB2_4535
; %bb.4526:                             ;   in Loop: Header=BB2_4380 Depth=3
	s_mov_b32 s14, 0
	s_mov_b32 s34, exec_lo
                                        ; implicit-def: $sgpr31
	v_cmpx_lt_i16_e64 0x7f, v147
	s_xor_b32 s34, exec_lo, s34
	s_cbranch_execnz .LBB2_4922
; %bb.4527:                             ;   in Loop: Header=BB2_4380 Depth=3
	s_or_saveexec_b32 s34, s34
	v_mov_b32_e32 v148, s31
	s_xor_b32 exec_lo, exec_lo, s34
	s_cbranch_execnz .LBB2_4925
.LBB2_4528:                             ;   in Loop: Header=BB2_4380 Depth=3
	s_or_b32 exec_lo, exec_lo, s34
	s_and_saveexec_b32 s31, s14
	s_cbranch_execz .LBB2_4530
.LBB2_4529:                             ;   in Loop: Header=BB2_4380 Depth=3
	v_and_b32_e32 v148, 0xffff, v147
	s_delay_alu instid0(VALU_DEP_1) | instskip(NEXT) | instid1(VALU_DEP_1)
	v_and_b32_e32 v149, 7, v148
	v_clz_i32_u32_e32 v150, v149
	s_delay_alu instid0(VALU_DEP_1) | instskip(NEXT) | instid1(VALU_DEP_1)
	v_min_u32_e32 v150, 32, v150
	v_subrev_nc_u32_e32 v151, 28, v150
	v_sub_nc_u32_e32 v150, 29, v150
	s_delay_alu instid0(VALU_DEP_2) | instskip(SKIP_1) | instid1(VALU_DEP_2)
	v_lshlrev_b32_e32 v151, v151, v148
	v_bfe_u32 v148, v148, 3, 4
	v_and_b32_e32 v151, 7, v151
	s_delay_alu instid0(VALU_DEP_2) | instskip(SKIP_1) | instid1(VALU_DEP_3)
	v_cmp_eq_u32_e32 vcc_lo, 0, v148
	v_cndmask_b32_e32 v148, v148, v150, vcc_lo
	v_dual_cndmask_b32 v149, v149, v151 :: v_dual_lshlrev_b32 v160, 16, v13
	s_delay_alu instid0(VALU_DEP_2) | instskip(NEXT) | instid1(VALU_DEP_2)
	v_lshl_add_u32 v148, v148, 23, 0x3b800000
	v_and_b32_e32 v150, 0x80000000, v160
	s_delay_alu instid0(VALU_DEP_3) | instskip(NEXT) | instid1(VALU_DEP_1)
	v_lshlrev_b32_e32 v149, 20, v149
	v_or3_b32 v148, v150, v148, v149
.LBB2_4530:                             ;   in Loop: Header=BB2_4380 Depth=3
	s_or_b32 exec_lo, exec_lo, s31
	s_mov_b32 s14, 0
	s_mov_b32 s34, exec_lo
                                        ; implicit-def: $sgpr31
	v_cmpx_lt_i16_e64 0x7f, v146
	s_xor_b32 s34, exec_lo, s34
	s_cbranch_execnz .LBB2_4926
; %bb.4531:                             ;   in Loop: Header=BB2_4380 Depth=3
	s_or_saveexec_b32 s34, s34
	v_mov_b32_e32 v149, s31
	s_xor_b32 exec_lo, exec_lo, s34
	s_cbranch_execnz .LBB2_4929
.LBB2_4532:                             ;   in Loop: Header=BB2_4380 Depth=3
	s_or_b32 exec_lo, exec_lo, s34
	s_and_saveexec_b32 s31, s14
	s_cbranch_execz .LBB2_4534
.LBB2_4533:                             ;   in Loop: Header=BB2_4380 Depth=3
	v_and_b32_e32 v149, 0xffff, v146
	v_lshlrev_b32_e32 v161, 16, v9
	s_delay_alu instid0(VALU_DEP_2) | instskip(NEXT) | instid1(VALU_DEP_1)
	v_and_b32_e32 v150, 7, v149
	v_clz_i32_u32_e32 v151, v150
	s_delay_alu instid0(VALU_DEP_1) | instskip(NEXT) | instid1(VALU_DEP_1)
	v_min_u32_e32 v151, 32, v151
	v_subrev_nc_u32_e32 v160, 28, v151
	v_sub_nc_u32_e32 v151, 29, v151
	s_delay_alu instid0(VALU_DEP_2) | instskip(SKIP_1) | instid1(VALU_DEP_2)
	v_lshlrev_b32_e32 v160, v160, v149
	v_bfe_u32 v149, v149, 3, 4
	v_and_b32_e32 v160, 7, v160
	s_delay_alu instid0(VALU_DEP_2) | instskip(NEXT) | instid1(VALU_DEP_2)
	v_cmp_eq_u32_e32 vcc_lo, 0, v149
	v_dual_cndmask_b32 v149, v149, v151 :: v_dual_cndmask_b32 v150, v150, v160
	v_and_b32_e32 v151, 0x80000000, v161
	s_delay_alu instid0(VALU_DEP_2) | instskip(NEXT) | instid1(VALU_DEP_3)
	v_lshl_add_u32 v149, v149, 23, 0x3b800000
	v_lshlrev_b32_e32 v150, 20, v150
	s_delay_alu instid0(VALU_DEP_1)
	v_or3_b32 v149, v151, v149, v150
.LBB2_4534:                             ;   in Loop: Header=BB2_4380 Depth=3
	s_or_b32 exec_lo, exec_lo, s31
	s_delay_alu instid0(VALU_DEP_1) | instskip(SKIP_1) | instid1(VALU_DEP_1)
	v_dual_max_f32 v149, v149, v149 :: v_dual_max_f32 v148, v148, v148
	s_mov_b32 s14, 0
	v_max_f32_e32 v148, v148, v149
	s_branch .LBB2_4536
.LBB2_4535:                             ;   in Loop: Header=BB2_4380 Depth=3
	s_mov_b32 s14, -1
                                        ; implicit-def: $vgpr148
.LBB2_4536:                             ;   in Loop: Header=BB2_4380 Depth=3
	s_delay_alu instid0(SALU_CYCLE_1)
	s_and_b32 vcc_lo, exec_lo, s14
	s_cbranch_vccz .LBB2_4546
; %bb.4537:                             ;   in Loop: Header=BB2_4380 Depth=3
	s_mov_b32 s14, 0
	s_mov_b32 s34, exec_lo
                                        ; implicit-def: $sgpr31
	v_cmpx_lt_i16_e64 0x7f, v147
	s_xor_b32 s34, exec_lo, s34
	s_cbranch_execnz .LBB2_4930
; %bb.4538:                             ;   in Loop: Header=BB2_4380 Depth=3
	s_or_saveexec_b32 s34, s34
	v_mov_b32_e32 v148, s31
	s_xor_b32 exec_lo, exec_lo, s34
	s_cbranch_execnz .LBB2_4933
.LBB2_4539:                             ;   in Loop: Header=BB2_4380 Depth=3
	s_or_b32 exec_lo, exec_lo, s34
	s_and_saveexec_b32 s31, s14
	s_cbranch_execz .LBB2_4541
.LBB2_4540:                             ;   in Loop: Header=BB2_4380 Depth=3
	v_and_b32_e32 v147, 0xffff, v147
	v_lshlrev_b32_e32 v151, 16, v13
	s_delay_alu instid0(VALU_DEP_2) | instskip(NEXT) | instid1(VALU_DEP_1)
	v_and_b32_e32 v148, 7, v147
	v_clz_i32_u32_e32 v149, v148
	s_delay_alu instid0(VALU_DEP_1) | instskip(NEXT) | instid1(VALU_DEP_1)
	v_min_u32_e32 v149, 32, v149
	v_subrev_nc_u32_e32 v150, 28, v149
	v_sub_nc_u32_e32 v149, 29, v149
	s_delay_alu instid0(VALU_DEP_2) | instskip(SKIP_1) | instid1(VALU_DEP_2)
	v_lshlrev_b32_e32 v150, v150, v147
	v_bfe_u32 v147, v147, 3, 4
	v_and_b32_e32 v150, 7, v150
	s_delay_alu instid0(VALU_DEP_2) | instskip(NEXT) | instid1(VALU_DEP_2)
	v_cmp_eq_u32_e32 vcc_lo, 0, v147
	v_dual_cndmask_b32 v147, v147, v149 :: v_dual_cndmask_b32 v148, v148, v150
	v_and_b32_e32 v149, 0x80000000, v151
	s_delay_alu instid0(VALU_DEP_2) | instskip(NEXT) | instid1(VALU_DEP_3)
	v_lshl_add_u32 v147, v147, 23, 0x3b800000
	v_lshlrev_b32_e32 v148, 20, v148
	s_delay_alu instid0(VALU_DEP_1)
	v_or3_b32 v148, v149, v147, v148
.LBB2_4541:                             ;   in Loop: Header=BB2_4380 Depth=3
	s_or_b32 exec_lo, exec_lo, s31
	s_mov_b32 s14, 0
	s_mov_b32 s34, exec_lo
                                        ; implicit-def: $sgpr31
	v_cmpx_lt_i16_e64 0x7f, v146
	s_xor_b32 s34, exec_lo, s34
	s_cbranch_execnz .LBB2_4934
; %bb.4542:                             ;   in Loop: Header=BB2_4380 Depth=3
	s_or_saveexec_b32 s34, s34
	v_mov_b32_e32 v147, s31
	s_xor_b32 exec_lo, exec_lo, s34
	s_cbranch_execnz .LBB2_4937
.LBB2_4543:                             ;   in Loop: Header=BB2_4380 Depth=3
	s_or_b32 exec_lo, exec_lo, s34
	s_and_saveexec_b32 s31, s14
	s_cbranch_execz .LBB2_4545
.LBB2_4544:                             ;   in Loop: Header=BB2_4380 Depth=3
	v_and_b32_e32 v146, 0xffff, v146
	v_lshlrev_b32_e32 v151, 16, v9
	s_delay_alu instid0(VALU_DEP_2) | instskip(NEXT) | instid1(VALU_DEP_1)
	v_and_b32_e32 v147, 7, v146
	v_clz_i32_u32_e32 v149, v147
	s_delay_alu instid0(VALU_DEP_1) | instskip(NEXT) | instid1(VALU_DEP_1)
	v_min_u32_e32 v149, 32, v149
	v_subrev_nc_u32_e32 v150, 28, v149
	v_sub_nc_u32_e32 v149, 29, v149
	s_delay_alu instid0(VALU_DEP_2) | instskip(SKIP_1) | instid1(VALU_DEP_2)
	v_lshlrev_b32_e32 v150, v150, v146
	v_bfe_u32 v146, v146, 3, 4
	v_and_b32_e32 v150, 7, v150
	s_delay_alu instid0(VALU_DEP_2) | instskip(NEXT) | instid1(VALU_DEP_2)
	v_cmp_eq_u32_e32 vcc_lo, 0, v146
	v_dual_cndmask_b32 v146, v146, v149 :: v_dual_cndmask_b32 v147, v147, v150
	v_and_b32_e32 v149, 0x80000000, v151
	s_delay_alu instid0(VALU_DEP_2) | instskip(NEXT) | instid1(VALU_DEP_3)
	v_lshl_add_u32 v146, v146, 23, 0x3b800000
	v_lshlrev_b32_e32 v147, 20, v147
	s_delay_alu instid0(VALU_DEP_1)
	v_or3_b32 v147, v149, v146, v147
.LBB2_4545:                             ;   in Loop: Header=BB2_4380 Depth=3
	s_or_b32 exec_lo, exec_lo, s31
	s_delay_alu instid0(VALU_DEP_1) | instskip(NEXT) | instid1(VALU_DEP_1)
	v_dual_max_f32 v146, v147, v147 :: v_dual_max_f32 v147, v148, v148
	v_min_f32_e32 v148, v147, v146
.LBB2_4546:                             ;   in Loop: Header=BB2_4380 Depth=3
	s_delay_alu instid0(VALU_DEP_1) | instskip(NEXT) | instid1(VALU_DEP_1)
	v_and_b32_e32 v146, 0x7f800000, v148
	v_cmp_ne_u32_e32 vcc_lo, 0x7f800000, v146
	v_mov_b32_e32 v146, 0x80
	s_and_saveexec_b32 s31, vcc_lo
	s_cbranch_execz .LBB2_4554
; %bb.4547:                             ;   in Loop: Header=BB2_4380 Depth=3
	v_mov_b32_e32 v146, 0
	s_mov_b32 s34, exec_lo
	v_cmpx_ne_u32_e32 0, v148
	s_cbranch_execz .LBB2_4553
; %bb.4548:                             ;   in Loop: Header=BB2_4380 Depth=3
	v_bfe_u32 v146, v148, 23, 8
	v_and_b32_e32 v147, 0x7fffff, v148
	s_delay_alu instid0(VALU_DEP_2) | instskip(SKIP_1) | instid1(VALU_DEP_3)
	v_sub_nc_u32_e32 v149, 0x78, v146
	v_cmp_gt_u32_e32 vcc_lo, 0x79, v146
	v_or_b32_e32 v150, 0x800000, v147
	s_delay_alu instid0(VALU_DEP_3) | instskip(SKIP_2) | instid1(VALU_DEP_3)
	v_cndmask_b32_e32 v149, 0, v149, vcc_lo
	v_cmp_eq_u32_e32 vcc_lo, 0, v146
	v_add_nc_u32_e32 v146, 0xffffff89, v146
	v_cndmask_b32_e64 v149, v149, 0x77, vcc_lo
	v_cndmask_b32_e32 v147, v150, v147, vcc_lo
	s_delay_alu instid0(VALU_DEP_3) | instskip(NEXT) | instid1(VALU_DEP_3)
	v_cndmask_b32_e64 v146, v146, 0xffffff8a, vcc_lo
	v_lshl_add_u32 v150, 0x100000, v149, -1
	s_delay_alu instid0(VALU_DEP_3) | instskip(SKIP_1) | instid1(VALU_DEP_4)
	v_lshrrev_b32_e32 v151, v149, v147
	v_lshlrev_b32_e64 v161, v149, 0x80000
	v_add_nc_u32_e32 v149, v149, v146
	s_delay_alu instid0(VALU_DEP_4) | instskip(NEXT) | instid1(VALU_DEP_4)
	v_and_b32_e32 v147, v150, v147
	v_bfe_u32 v160, v151, 20, 1
	s_delay_alu instid0(VALU_DEP_2) | instskip(NEXT) | instid1(VALU_DEP_2)
	v_cmp_eq_u32_e64 s14, v147, v161
	v_add_nc_u32_e32 v150, -1, v160
	s_delay_alu instid0(VALU_DEP_1) | instskip(SKIP_2) | instid1(VALU_DEP_2)
	v_cndmask_b32_e64 v147, 0, v150, s14
	v_lshrrev_b32_e32 v150, 23, v151
	s_mov_b32 s14, exec_lo
	v_add_nc_u32_e32 v147, v147, v151
	s_delay_alu instid0(VALU_DEP_2) | instskip(NEXT) | instid1(VALU_DEP_2)
	v_xor_b32_e32 v150, 1, v150
	v_and_b32_e32 v146, 0xfffff, v147
	s_delay_alu instid0(VALU_DEP_1) | instskip(NEXT) | instid1(VALU_DEP_3)
	v_add_nc_u32_e32 v147, v146, v151
                                        ; implicit-def: $vgpr146
	v_cmpx_ne_u32_e64 v149, v150
	s_xor_b32 s14, exec_lo, s14
; %bb.4549:                             ;   in Loop: Header=BB2_4380 Depth=3
	s_delay_alu instid0(VALU_DEP_2) | instskip(SKIP_2) | instid1(VALU_DEP_2)
	v_cmp_lt_u32_e32 vcc_lo, 0xffffff, v147
	v_sub_nc_u32_e32 v146, v149, v150
	v_cndmask_b32_e64 v149, 0, 1, vcc_lo
	v_add_co_ci_u32_e32 v146, vcc_lo, 0, v146, vcc_lo
	s_delay_alu instid0(VALU_DEP_2)
	v_lshrrev_b32_e32 v147, v149, v147
; %bb.4550:                             ;   in Loop: Header=BB2_4380 Depth=3
	s_and_not1_saveexec_b32 s14, s14
; %bb.4551:                             ;   in Loop: Header=BB2_4380 Depth=3
	s_delay_alu instid0(VALU_DEP_1)
	v_bfe_u32 v146, v147, 23, 1
; %bb.4552:                             ;   in Loop: Header=BB2_4380 Depth=3
	s_or_b32 exec_lo, exec_lo, s14
	v_lshrrev_b32_e32 v147, 20, v147
	s_delay_alu instid0(VALU_DEP_2) | instskip(SKIP_2) | instid1(VALU_DEP_2)
	v_cmp_gt_i32_e32 vcc_lo, 16, v146
	v_lshrrev_b32_e32 v148, 24, v148
	v_min_i32_e32 v149, 15, v146
	v_dual_cndmask_b32 v147, 7, v147 :: v_dual_and_b32 v148, 0x80, v148
	s_delay_alu instid0(VALU_DEP_1) | instskip(SKIP_1) | instid1(VALU_DEP_2)
	v_or_b32_e32 v146, v146, v147
	v_and_b32_e32 v150, 7, v147
	v_cmp_ne_u32_e32 vcc_lo, 0, v146
	v_lshlrev_b32_e32 v149, 3, v149
	s_delay_alu instid0(VALU_DEP_1) | instskip(NEXT) | instid1(VALU_DEP_1)
	v_or3_b32 v147, v149, v148, v150
	v_cndmask_b32_e32 v146, 0, v147, vcc_lo
.LBB2_4553:                             ;   in Loop: Header=BB2_4380 Depth=3
	s_or_b32 exec_lo, exec_lo, s34
.LBB2_4554:                             ;   in Loop: Header=BB2_4380 Depth=3
	s_delay_alu instid0(SALU_CYCLE_1)
	s_or_b32 exec_lo, exec_lo, s31
	v_lshrrev_b32_e32 v148, 16, v13
	v_lshrrev_b32_e32 v147, 16, v9
	s_and_b32 vcc_lo, exec_lo, s17
	s_cbranch_vccz .LBB2_4564
; %bb.4555:                             ;   in Loop: Header=BB2_4380 Depth=3
	s_delay_alu instid0(VALU_DEP_2) | instskip(SKIP_2) | instid1(VALU_DEP_1)
	v_and_b32_e32 v150, 0xff, v148
	s_mov_b32 s14, 0
	s_mov_b32 s34, exec_lo
                                        ; implicit-def: $sgpr31
	v_cmpx_lt_i16_e64 0x7f, v150
	s_xor_b32 s34, exec_lo, s34
	s_cbranch_execnz .LBB2_4938
; %bb.4556:                             ;   in Loop: Header=BB2_4380 Depth=3
	s_or_saveexec_b32 s34, s34
	v_mov_b32_e32 v149, s31
	s_xor_b32 exec_lo, exec_lo, s34
	s_cbranch_execnz .LBB2_4941
.LBB2_4557:                             ;   in Loop: Header=BB2_4380 Depth=3
	s_or_b32 exec_lo, exec_lo, s34
	s_and_saveexec_b32 s31, s14
	s_cbranch_execz .LBB2_4559
.LBB2_4558:                             ;   in Loop: Header=BB2_4380 Depth=3
	v_bfe_u32 v149, v13, 16, 3
	v_bfe_u32 v160, v13, 19, 4
	v_lshlrev_b32_e32 v161, 24, v148
	s_delay_alu instid0(VALU_DEP_3) | instskip(NEXT) | instid1(VALU_DEP_3)
	v_clz_i32_u32_e32 v150, v149
	v_cmp_eq_u32_e32 vcc_lo, 0, v160
	s_delay_alu instid0(VALU_DEP_2) | instskip(NEXT) | instid1(VALU_DEP_1)
	v_min_u32_e32 v150, 32, v150
	v_subrev_nc_u32_e32 v151, 28, v150
	v_sub_nc_u32_e32 v150, 29, v150
	s_delay_alu instid0(VALU_DEP_1) | instskip(NEXT) | instid1(VALU_DEP_1)
	v_dual_cndmask_b32 v150, v160, v150 :: v_dual_lshlrev_b32 v151, v151, v148
	v_and_b32_e32 v151, 7, v151
	s_delay_alu instid0(VALU_DEP_2) | instskip(NEXT) | instid1(VALU_DEP_2)
	v_lshl_add_u32 v150, v150, 23, 0x3b800000
	v_cndmask_b32_e32 v149, v149, v151, vcc_lo
	v_and_b32_e32 v151, 0x80000000, v161
	s_delay_alu instid0(VALU_DEP_2) | instskip(NEXT) | instid1(VALU_DEP_1)
	v_lshlrev_b32_e32 v149, 20, v149
	v_or3_b32 v149, v151, v150, v149
.LBB2_4559:                             ;   in Loop: Header=BB2_4380 Depth=3
	s_or_b32 exec_lo, exec_lo, s31
	v_and_b32_e32 v151, 0xff, v147
	s_mov_b32 s14, 0
	s_mov_b32 s34, exec_lo
                                        ; implicit-def: $sgpr31
	s_delay_alu instid0(VALU_DEP_1)
	v_cmpx_lt_i16_e64 0x7f, v151
	s_xor_b32 s34, exec_lo, s34
	s_cbranch_execnz .LBB2_4942
; %bb.4560:                             ;   in Loop: Header=BB2_4380 Depth=3
	s_or_saveexec_b32 s34, s34
	v_mov_b32_e32 v150, s31
	s_xor_b32 exec_lo, exec_lo, s34
	s_cbranch_execnz .LBB2_4945
.LBB2_4561:                             ;   in Loop: Header=BB2_4380 Depth=3
	s_or_b32 exec_lo, exec_lo, s34
	s_and_saveexec_b32 s31, s14
	s_cbranch_execz .LBB2_4563
.LBB2_4562:                             ;   in Loop: Header=BB2_4380 Depth=3
	v_bfe_u32 v150, v9, 16, 3
	v_bfe_u32 v161, v9, 19, 4
	v_lshlrev_b32_e32 v162, 24, v147
	s_delay_alu instid0(VALU_DEP_3) | instskip(NEXT) | instid1(VALU_DEP_3)
	v_clz_i32_u32_e32 v151, v150
	v_cmp_eq_u32_e32 vcc_lo, 0, v161
	s_delay_alu instid0(VALU_DEP_2) | instskip(NEXT) | instid1(VALU_DEP_1)
	v_min_u32_e32 v151, 32, v151
	v_subrev_nc_u32_e32 v160, 28, v151
	v_sub_nc_u32_e32 v151, 29, v151
	s_delay_alu instid0(VALU_DEP_2) | instskip(NEXT) | instid1(VALU_DEP_1)
	v_lshlrev_b32_e32 v160, v160, v147
	v_dual_cndmask_b32 v151, v161, v151 :: v_dual_and_b32 v160, 7, v160
	s_delay_alu instid0(VALU_DEP_1) | instskip(NEXT) | instid1(VALU_DEP_2)
	v_lshl_add_u32 v151, v151, 23, 0x3b800000
	v_cndmask_b32_e32 v150, v150, v160, vcc_lo
	v_and_b32_e32 v160, 0x80000000, v162
	s_delay_alu instid0(VALU_DEP_2) | instskip(NEXT) | instid1(VALU_DEP_1)
	v_lshlrev_b32_e32 v150, 20, v150
	v_or3_b32 v150, v160, v151, v150
.LBB2_4563:                             ;   in Loop: Header=BB2_4380 Depth=3
	s_or_b32 exec_lo, exec_lo, s31
	s_delay_alu instid0(VALU_DEP_1) | instskip(SKIP_1) | instid1(VALU_DEP_1)
	v_dual_max_f32 v150, v150, v150 :: v_dual_max_f32 v149, v149, v149
	s_mov_b32 s14, 0
	v_max_f32_e32 v149, v149, v150
	s_branch .LBB2_4565
.LBB2_4564:                             ;   in Loop: Header=BB2_4380 Depth=3
	s_mov_b32 s14, -1
                                        ; implicit-def: $vgpr149
.LBB2_4565:                             ;   in Loop: Header=BB2_4380 Depth=3
	s_delay_alu instid0(SALU_CYCLE_1)
	s_and_b32 vcc_lo, exec_lo, s14
	s_cbranch_vccz .LBB2_4575
; %bb.4566:                             ;   in Loop: Header=BB2_4380 Depth=3
	v_and_b32_e32 v150, 0xff, v148
	s_mov_b32 s14, 0
	s_mov_b32 s34, exec_lo
                                        ; implicit-def: $sgpr31
	s_delay_alu instid0(VALU_DEP_1)
	v_cmpx_lt_i16_e64 0x7f, v150
	s_xor_b32 s34, exec_lo, s34
	s_cbranch_execnz .LBB2_4946
; %bb.4567:                             ;   in Loop: Header=BB2_4380 Depth=3
	s_or_saveexec_b32 s34, s34
	v_mov_b32_e32 v149, s31
	s_xor_b32 exec_lo, exec_lo, s34
	s_cbranch_execnz .LBB2_4949
.LBB2_4568:                             ;   in Loop: Header=BB2_4380 Depth=3
	s_or_b32 exec_lo, exec_lo, s34
	s_and_saveexec_b32 s31, s14
	s_cbranch_execz .LBB2_4570
.LBB2_4569:                             ;   in Loop: Header=BB2_4380 Depth=3
	v_bfe_u32 v149, v13, 16, 3
	v_bfe_u32 v160, v13, 19, 4
	s_delay_alu instid0(VALU_DEP_2) | instskip(NEXT) | instid1(VALU_DEP_2)
	v_clz_i32_u32_e32 v150, v149
	v_cmp_eq_u32_e32 vcc_lo, 0, v160
	s_delay_alu instid0(VALU_DEP_2) | instskip(NEXT) | instid1(VALU_DEP_1)
	v_min_u32_e32 v150, 32, v150
	v_subrev_nc_u32_e32 v151, 28, v150
	v_sub_nc_u32_e32 v150, 29, v150
	s_delay_alu instid0(VALU_DEP_1) | instskip(NEXT) | instid1(VALU_DEP_1)
	v_dual_cndmask_b32 v150, v160, v150 :: v_dual_lshlrev_b32 v151, v151, v148
	v_and_b32_e32 v151, 7, v151
	v_lshlrev_b32_e32 v148, 24, v148
	s_delay_alu instid0(VALU_DEP_3) | instskip(NEXT) | instid1(VALU_DEP_2)
	v_lshl_add_u32 v150, v150, 23, 0x3b800000
	v_dual_cndmask_b32 v149, v149, v151 :: v_dual_and_b32 v148, 0x80000000, v148
	s_delay_alu instid0(VALU_DEP_1) | instskip(NEXT) | instid1(VALU_DEP_1)
	v_lshlrev_b32_e32 v149, 20, v149
	v_or3_b32 v149, v148, v150, v149
.LBB2_4570:                             ;   in Loop: Header=BB2_4380 Depth=3
	s_or_b32 exec_lo, exec_lo, s31
	v_and_b32_e32 v150, 0xff, v147
	s_mov_b32 s14, 0
	s_mov_b32 s34, exec_lo
                                        ; implicit-def: $sgpr31
	s_delay_alu instid0(VALU_DEP_1)
	v_cmpx_lt_i16_e64 0x7f, v150
	s_xor_b32 s34, exec_lo, s34
	s_cbranch_execnz .LBB2_4950
; %bb.4571:                             ;   in Loop: Header=BB2_4380 Depth=3
	s_or_saveexec_b32 s34, s34
	v_mov_b32_e32 v148, s31
	s_xor_b32 exec_lo, exec_lo, s34
	s_cbranch_execnz .LBB2_4953
.LBB2_4572:                             ;   in Loop: Header=BB2_4380 Depth=3
	s_or_b32 exec_lo, exec_lo, s34
	s_and_saveexec_b32 s31, s14
	s_cbranch_execz .LBB2_4574
.LBB2_4573:                             ;   in Loop: Header=BB2_4380 Depth=3
	v_bfe_u32 v148, v9, 16, 3
	v_bfe_u32 v160, v9, 19, 4
	s_delay_alu instid0(VALU_DEP_2) | instskip(NEXT) | instid1(VALU_DEP_2)
	v_clz_i32_u32_e32 v150, v148
	v_cmp_eq_u32_e32 vcc_lo, 0, v160
	s_delay_alu instid0(VALU_DEP_2) | instskip(NEXT) | instid1(VALU_DEP_1)
	v_min_u32_e32 v150, 32, v150
	v_subrev_nc_u32_e32 v151, 28, v150
	v_sub_nc_u32_e32 v150, 29, v150
	s_delay_alu instid0(VALU_DEP_1) | instskip(SKIP_1) | instid1(VALU_DEP_2)
	v_dual_cndmask_b32 v150, v160, v150 :: v_dual_lshlrev_b32 v151, v151, v147
	v_lshlrev_b32_e32 v147, 24, v147
	v_and_b32_e32 v151, 7, v151
	s_delay_alu instid0(VALU_DEP_3) | instskip(NEXT) | instid1(VALU_DEP_3)
	v_lshl_add_u32 v150, v150, 23, 0x3b800000
	v_and_b32_e32 v147, 0x80000000, v147
	s_delay_alu instid0(VALU_DEP_3) | instskip(NEXT) | instid1(VALU_DEP_1)
	v_cndmask_b32_e32 v148, v148, v151, vcc_lo
	v_lshlrev_b32_e32 v148, 20, v148
	s_delay_alu instid0(VALU_DEP_1)
	v_or3_b32 v148, v147, v150, v148
.LBB2_4574:                             ;   in Loop: Header=BB2_4380 Depth=3
	s_or_b32 exec_lo, exec_lo, s31
	s_delay_alu instid0(VALU_DEP_1) | instskip(NEXT) | instid1(VALU_DEP_1)
	v_dual_max_f32 v147, v148, v148 :: v_dual_max_f32 v148, v149, v149
	v_min_f32_e32 v149, v148, v147
.LBB2_4575:                             ;   in Loop: Header=BB2_4380 Depth=3
	s_delay_alu instid0(VALU_DEP_1) | instskip(NEXT) | instid1(VALU_DEP_1)
	v_and_b32_e32 v147, 0x7f800000, v149
	v_cmp_ne_u32_e32 vcc_lo, 0x7f800000, v147
	v_mov_b32_e32 v147, 0x80
	s_and_saveexec_b32 s31, vcc_lo
	s_cbranch_execz .LBB2_4583
; %bb.4576:                             ;   in Loop: Header=BB2_4380 Depth=3
	v_mov_b32_e32 v147, 0
	s_mov_b32 s34, exec_lo
	v_cmpx_ne_u32_e32 0, v149
	s_cbranch_execz .LBB2_4582
; %bb.4577:                             ;   in Loop: Header=BB2_4380 Depth=3
	v_bfe_u32 v147, v149, 23, 8
	v_and_b32_e32 v148, 0x7fffff, v149
	s_delay_alu instid0(VALU_DEP_2) | instskip(SKIP_1) | instid1(VALU_DEP_3)
	v_sub_nc_u32_e32 v150, 0x78, v147
	v_cmp_gt_u32_e32 vcc_lo, 0x79, v147
	v_or_b32_e32 v151, 0x800000, v148
	s_delay_alu instid0(VALU_DEP_3) | instskip(SKIP_2) | instid1(VALU_DEP_3)
	v_cndmask_b32_e32 v150, 0, v150, vcc_lo
	v_cmp_eq_u32_e32 vcc_lo, 0, v147
	v_add_nc_u32_e32 v147, 0xffffff89, v147
	v_cndmask_b32_e64 v150, v150, 0x77, vcc_lo
	v_cndmask_b32_e32 v148, v151, v148, vcc_lo
	s_delay_alu instid0(VALU_DEP_3) | instskip(NEXT) | instid1(VALU_DEP_3)
	v_cndmask_b32_e64 v147, v147, 0xffffff8a, vcc_lo
	v_lshl_add_u32 v151, 0x100000, v150, -1
	s_delay_alu instid0(VALU_DEP_3) | instskip(SKIP_1) | instid1(VALU_DEP_4)
	v_lshrrev_b32_e32 v160, v150, v148
	v_lshlrev_b32_e64 v162, v150, 0x80000
	v_add_nc_u32_e32 v150, v150, v147
	s_delay_alu instid0(VALU_DEP_4) | instskip(NEXT) | instid1(VALU_DEP_4)
	v_and_b32_e32 v148, v151, v148
	v_bfe_u32 v161, v160, 20, 1
	s_delay_alu instid0(VALU_DEP_2) | instskip(NEXT) | instid1(VALU_DEP_2)
	v_cmp_eq_u32_e64 s14, v148, v162
	v_add_nc_u32_e32 v151, -1, v161
	s_delay_alu instid0(VALU_DEP_1) | instskip(SKIP_2) | instid1(VALU_DEP_2)
	v_cndmask_b32_e64 v148, 0, v151, s14
	v_lshrrev_b32_e32 v151, 23, v160
	s_mov_b32 s14, exec_lo
	v_add_nc_u32_e32 v148, v148, v160
	s_delay_alu instid0(VALU_DEP_2) | instskip(NEXT) | instid1(VALU_DEP_2)
	v_xor_b32_e32 v151, 1, v151
	v_and_b32_e32 v147, 0xfffff, v148
	s_delay_alu instid0(VALU_DEP_1) | instskip(NEXT) | instid1(VALU_DEP_3)
	v_add_nc_u32_e32 v148, v147, v160
                                        ; implicit-def: $vgpr147
	v_cmpx_ne_u32_e64 v150, v151
	s_xor_b32 s14, exec_lo, s14
; %bb.4578:                             ;   in Loop: Header=BB2_4380 Depth=3
	s_delay_alu instid0(VALU_DEP_2) | instskip(SKIP_2) | instid1(VALU_DEP_2)
	v_cmp_lt_u32_e32 vcc_lo, 0xffffff, v148
	v_sub_nc_u32_e32 v147, v150, v151
	v_cndmask_b32_e64 v150, 0, 1, vcc_lo
	v_add_co_ci_u32_e32 v147, vcc_lo, 0, v147, vcc_lo
	s_delay_alu instid0(VALU_DEP_2)
	v_lshrrev_b32_e32 v148, v150, v148
; %bb.4579:                             ;   in Loop: Header=BB2_4380 Depth=3
	s_and_not1_saveexec_b32 s14, s14
; %bb.4580:                             ;   in Loop: Header=BB2_4380 Depth=3
	s_delay_alu instid0(VALU_DEP_1)
	v_bfe_u32 v147, v148, 23, 1
; %bb.4581:                             ;   in Loop: Header=BB2_4380 Depth=3
	s_or_b32 exec_lo, exec_lo, s14
	v_lshrrev_b32_e32 v148, 20, v148
	s_delay_alu instid0(VALU_DEP_2) | instskip(SKIP_2) | instid1(VALU_DEP_2)
	v_cmp_gt_i32_e32 vcc_lo, 16, v147
	v_lshrrev_b32_e32 v149, 24, v149
	v_min_i32_e32 v150, 15, v147
	v_dual_cndmask_b32 v148, 7, v148 :: v_dual_and_b32 v149, 0x80, v149
	s_delay_alu instid0(VALU_DEP_1) | instskip(SKIP_1) | instid1(VALU_DEP_2)
	v_or_b32_e32 v147, v147, v148
	v_and_b32_e32 v151, 7, v148
	v_cmp_ne_u32_e32 vcc_lo, 0, v147
	v_lshlrev_b32_e32 v150, 3, v150
	s_delay_alu instid0(VALU_DEP_1) | instskip(NEXT) | instid1(VALU_DEP_1)
	v_and_b32_e32 v150, 0xf8, v150
	v_or3_b32 v148, v150, v149, v151
	s_delay_alu instid0(VALU_DEP_1)
	v_cndmask_b32_e32 v147, 0, v148, vcc_lo
.LBB2_4582:                             ;   in Loop: Header=BB2_4380 Depth=3
	s_or_b32 exec_lo, exec_lo, s34
.LBB2_4583:                             ;   in Loop: Header=BB2_4380 Depth=3
	s_delay_alu instid0(SALU_CYCLE_1)
	s_or_b32 exec_lo, exec_lo, s31
	v_lshrrev_b32_e32 v149, 24, v13
	v_lshrrev_b32_e32 v148, 24, v9
	s_and_b32 vcc_lo, exec_lo, s17
	s_cbranch_vccz .LBB2_4593
; %bb.4584:                             ;   in Loop: Header=BB2_4380 Depth=3
	s_mov_b32 s14, 0
	s_mov_b32 s34, exec_lo
                                        ; implicit-def: $sgpr31
	v_cmpx_lt_i16_e64 0x7f, v149
	s_xor_b32 s34, exec_lo, s34
	s_cbranch_execnz .LBB2_4954
; %bb.4585:                             ;   in Loop: Header=BB2_4380 Depth=3
	s_or_saveexec_b32 s34, s34
	v_mov_b32_e32 v150, s31
	s_xor_b32 exec_lo, exec_lo, s34
	s_cbranch_execnz .LBB2_4957
.LBB2_4586:                             ;   in Loop: Header=BB2_4380 Depth=3
	s_or_b32 exec_lo, exec_lo, s34
	s_and_saveexec_b32 s31, s14
	s_cbranch_execz .LBB2_4588
.LBB2_4587:                             ;   in Loop: Header=BB2_4380 Depth=3
	v_bfe_u32 v150, v13, 24, 3
	v_bfe_u32 v161, v13, 27, 4
	s_delay_alu instid0(VALU_DEP_2) | instskip(NEXT) | instid1(VALU_DEP_2)
	v_clz_i32_u32_e32 v151, v150
	v_cmp_eq_u32_e32 vcc_lo, 0, v161
	s_delay_alu instid0(VALU_DEP_2) | instskip(NEXT) | instid1(VALU_DEP_1)
	v_min_u32_e32 v151, 32, v151
	v_subrev_nc_u32_e32 v160, 28, v151
	v_sub_nc_u32_e32 v151, 29, v151
	s_delay_alu instid0(VALU_DEP_1) | instskip(NEXT) | instid1(VALU_DEP_1)
	v_dual_cndmask_b32 v151, v161, v151 :: v_dual_lshlrev_b32 v160, v160, v149
	v_and_b32_e32 v160, 7, v160
	s_delay_alu instid0(VALU_DEP_2) | instskip(NEXT) | instid1(VALU_DEP_2)
	v_lshl_add_u32 v151, v151, 23, 0x3b800000
	v_cndmask_b32_e32 v150, v150, v160, vcc_lo
	v_and_b32_e32 v160, 0x80000000, v13
	s_delay_alu instid0(VALU_DEP_2) | instskip(NEXT) | instid1(VALU_DEP_1)
	v_lshlrev_b32_e32 v150, 20, v150
	v_or3_b32 v150, v160, v151, v150
.LBB2_4588:                             ;   in Loop: Header=BB2_4380 Depth=3
	s_or_b32 exec_lo, exec_lo, s31
	s_mov_b32 s14, 0
	s_mov_b32 s34, exec_lo
                                        ; implicit-def: $sgpr31
	v_cmpx_lt_i16_e64 0x7f, v148
	s_xor_b32 s34, exec_lo, s34
	s_cbranch_execnz .LBB2_4958
; %bb.4589:                             ;   in Loop: Header=BB2_4380 Depth=3
	s_or_saveexec_b32 s34, s34
	v_mov_b32_e32 v151, s31
	s_xor_b32 exec_lo, exec_lo, s34
	s_cbranch_execnz .LBB2_4961
.LBB2_4590:                             ;   in Loop: Header=BB2_4380 Depth=3
	s_or_b32 exec_lo, exec_lo, s34
	s_and_saveexec_b32 s31, s14
	s_cbranch_execz .LBB2_4592
.LBB2_4591:                             ;   in Loop: Header=BB2_4380 Depth=3
	v_bfe_u32 v151, v9, 24, 3
	v_bfe_u32 v162, v9, 27, 4
	s_delay_alu instid0(VALU_DEP_2) | instskip(NEXT) | instid1(VALU_DEP_2)
	v_clz_i32_u32_e32 v160, v151
	v_cmp_eq_u32_e32 vcc_lo, 0, v162
	s_delay_alu instid0(VALU_DEP_2) | instskip(NEXT) | instid1(VALU_DEP_1)
	v_min_u32_e32 v160, 32, v160
	v_subrev_nc_u32_e32 v161, 28, v160
	v_sub_nc_u32_e32 v160, 29, v160
	s_delay_alu instid0(VALU_DEP_2) | instskip(NEXT) | instid1(VALU_DEP_1)
	v_lshlrev_b32_e32 v161, v161, v148
	v_dual_cndmask_b32 v160, v162, v160 :: v_dual_and_b32 v161, 7, v161
	s_delay_alu instid0(VALU_DEP_1) | instskip(NEXT) | instid1(VALU_DEP_2)
	v_lshl_add_u32 v160, v160, 23, 0x3b800000
	v_cndmask_b32_e32 v151, v151, v161, vcc_lo
	v_and_b32_e32 v161, 0x80000000, v9
	s_delay_alu instid0(VALU_DEP_2) | instskip(NEXT) | instid1(VALU_DEP_1)
	v_lshlrev_b32_e32 v151, 20, v151
	v_or3_b32 v151, v161, v160, v151
.LBB2_4592:                             ;   in Loop: Header=BB2_4380 Depth=3
	s_or_b32 exec_lo, exec_lo, s31
	s_delay_alu instid0(VALU_DEP_1) | instskip(SKIP_1) | instid1(VALU_DEP_1)
	v_dual_max_f32 v151, v151, v151 :: v_dual_max_f32 v150, v150, v150
	s_mov_b32 s14, 0
	v_max_f32_e32 v150, v150, v151
	s_branch .LBB2_4594
.LBB2_4593:                             ;   in Loop: Header=BB2_4380 Depth=3
	s_mov_b32 s14, -1
                                        ; implicit-def: $vgpr150
.LBB2_4594:                             ;   in Loop: Header=BB2_4380 Depth=3
	s_delay_alu instid0(SALU_CYCLE_1)
	s_and_b32 vcc_lo, exec_lo, s14
	s_cbranch_vccz .LBB2_4604
; %bb.4595:                             ;   in Loop: Header=BB2_4380 Depth=3
	s_mov_b32 s14, 0
	s_mov_b32 s34, exec_lo
                                        ; implicit-def: $sgpr31
	v_cmpx_lt_i16_e64 0x7f, v149
	s_xor_b32 s34, exec_lo, s34
	s_cbranch_execnz .LBB2_4962
; %bb.4596:                             ;   in Loop: Header=BB2_4380 Depth=3
	s_or_saveexec_b32 s34, s34
	v_mov_b32_e32 v150, s31
	s_xor_b32 exec_lo, exec_lo, s34
	s_cbranch_execnz .LBB2_4965
.LBB2_4597:                             ;   in Loop: Header=BB2_4380 Depth=3
	s_or_b32 exec_lo, exec_lo, s34
	s_and_saveexec_b32 s31, s14
	s_cbranch_execz .LBB2_4599
.LBB2_4598:                             ;   in Loop: Header=BB2_4380 Depth=3
	v_bfe_u32 v150, v13, 24, 3
	s_delay_alu instid0(VALU_DEP_1) | instskip(NEXT) | instid1(VALU_DEP_1)
	v_clz_i32_u32_e32 v151, v150
	v_min_u32_e32 v151, 32, v151
	s_delay_alu instid0(VALU_DEP_1) | instskip(SKIP_1) | instid1(VALU_DEP_2)
	v_subrev_nc_u32_e32 v160, 28, v151
	v_sub_nc_u32_e32 v151, 29, v151
	v_lshlrev_b32_e32 v149, v160, v149
	v_bfe_u32 v160, v13, 27, 4
	v_and_b32_e32 v13, 0x80000000, v13
	s_delay_alu instid0(VALU_DEP_3) | instskip(NEXT) | instid1(VALU_DEP_3)
	v_and_b32_e32 v149, 7, v149
	v_cmp_eq_u32_e32 vcc_lo, 0, v160
	v_cndmask_b32_e32 v151, v160, v151, vcc_lo
	s_delay_alu instid0(VALU_DEP_3) | instskip(NEXT) | instid1(VALU_DEP_2)
	v_cndmask_b32_e32 v149, v150, v149, vcc_lo
	v_lshl_add_u32 v150, v151, 23, 0x3b800000
	s_delay_alu instid0(VALU_DEP_2) | instskip(NEXT) | instid1(VALU_DEP_1)
	v_lshlrev_b32_e32 v149, 20, v149
	v_or3_b32 v150, v13, v150, v149
.LBB2_4599:                             ;   in Loop: Header=BB2_4380 Depth=3
	s_or_b32 exec_lo, exec_lo, s31
	s_mov_b32 s14, 0
	s_mov_b32 s34, exec_lo
                                        ; implicit-def: $sgpr31
	v_cmpx_lt_i16_e64 0x7f, v148
	s_xor_b32 s34, exec_lo, s34
	s_cbranch_execnz .LBB2_4966
; %bb.4600:                             ;   in Loop: Header=BB2_4380 Depth=3
	s_or_saveexec_b32 s34, s34
	v_mov_b32_e32 v13, s31
	s_xor_b32 exec_lo, exec_lo, s34
	s_cbranch_execnz .LBB2_4969
.LBB2_4601:                             ;   in Loop: Header=BB2_4380 Depth=3
	s_or_b32 exec_lo, exec_lo, s34
	s_and_saveexec_b32 s31, s14
	s_cbranch_execz .LBB2_4603
.LBB2_4602:                             ;   in Loop: Header=BB2_4380 Depth=3
	v_bfe_u32 v13, v9, 24, 3
	s_delay_alu instid0(VALU_DEP_1) | instskip(NEXT) | instid1(VALU_DEP_1)
	v_clz_i32_u32_e32 v149, v13
	v_min_u32_e32 v149, 32, v149
	s_delay_alu instid0(VALU_DEP_1) | instskip(SKIP_1) | instid1(VALU_DEP_2)
	v_subrev_nc_u32_e32 v151, 28, v149
	v_sub_nc_u32_e32 v149, 29, v149
	v_lshlrev_b32_e32 v148, v151, v148
	v_bfe_u32 v151, v9, 27, 4
	v_and_b32_e32 v9, 0x80000000, v9
	s_delay_alu instid0(VALU_DEP_2) | instskip(NEXT) | instid1(VALU_DEP_4)
	v_cmp_eq_u32_e32 vcc_lo, 0, v151
	v_dual_cndmask_b32 v149, v151, v149 :: v_dual_and_b32 v148, 7, v148
	s_delay_alu instid0(VALU_DEP_1) | instskip(NEXT) | instid1(VALU_DEP_2)
	v_cndmask_b32_e32 v13, v13, v148, vcc_lo
	v_lshl_add_u32 v148, v149, 23, 0x3b800000
	s_delay_alu instid0(VALU_DEP_2) | instskip(NEXT) | instid1(VALU_DEP_1)
	v_lshlrev_b32_e32 v13, 20, v13
	v_or3_b32 v13, v9, v148, v13
.LBB2_4603:                             ;   in Loop: Header=BB2_4380 Depth=3
	s_or_b32 exec_lo, exec_lo, s31
	s_delay_alu instid0(VALU_DEP_1) | instskip(SKIP_1) | instid1(VALU_DEP_1)
	v_max_f32_e32 v9, v13, v13
	v_max_f32_e32 v13, v150, v150
	v_min_f32_e32 v150, v13, v9
.LBB2_4604:                             ;   in Loop: Header=BB2_4380 Depth=3
	s_delay_alu instid0(VALU_DEP_1) | instskip(NEXT) | instid1(VALU_DEP_1)
	v_and_b32_e32 v9, 0x7f800000, v150
	v_cmp_ne_u32_e32 vcc_lo, 0x7f800000, v9
	v_mov_b32_e32 v9, 0x8000
	s_and_saveexec_b32 s31, vcc_lo
	s_cbranch_execz .LBB2_4612
; %bb.4605:                             ;   in Loop: Header=BB2_4380 Depth=3
	v_mov_b32_e32 v9, 0
	s_mov_b32 s34, exec_lo
	v_cmpx_ne_u32_e32 0, v150
	s_cbranch_execz .LBB2_4611
; %bb.4606:                             ;   in Loop: Header=BB2_4380 Depth=3
	v_bfe_u32 v9, v150, 23, 8
	s_delay_alu instid0(VALU_DEP_1) | instskip(SKIP_1) | instid1(VALU_DEP_2)
	v_sub_nc_u32_e32 v148, 0x78, v9
	v_cmp_gt_u32_e32 vcc_lo, 0x79, v9
	v_dual_cndmask_b32 v148, 0, v148 :: v_dual_and_b32 v13, 0x7fffff, v150
	s_delay_alu instid0(VALU_DEP_1) | instskip(SKIP_2) | instid1(VALU_DEP_4)
	v_or_b32_e32 v149, 0x800000, v13
	v_cmp_eq_u32_e32 vcc_lo, 0, v9
	v_add_nc_u32_e32 v9, 0xffffff89, v9
	v_cndmask_b32_e64 v148, v148, 0x77, vcc_lo
	s_delay_alu instid0(VALU_DEP_4) | instskip(NEXT) | instid1(VALU_DEP_3)
	v_cndmask_b32_e32 v13, v149, v13, vcc_lo
	v_cndmask_b32_e64 v9, v9, 0xffffff8a, vcc_lo
	s_delay_alu instid0(VALU_DEP_3) | instskip(NEXT) | instid1(VALU_DEP_3)
	v_lshl_add_u32 v149, 0x100000, v148, -1
	v_lshrrev_b32_e32 v151, v148, v13
	v_lshlrev_b32_e64 v161, v148, 0x80000
	s_delay_alu instid0(VALU_DEP_4) | instskip(NEXT) | instid1(VALU_DEP_4)
	v_add_nc_u32_e32 v148, v148, v9
	v_and_b32_e32 v13, v149, v13
	s_delay_alu instid0(VALU_DEP_4) | instskip(NEXT) | instid1(VALU_DEP_2)
	v_bfe_u32 v160, v151, 20, 1
	v_cmp_eq_u32_e64 s14, v13, v161
	s_delay_alu instid0(VALU_DEP_2) | instskip(NEXT) | instid1(VALU_DEP_1)
	v_add_nc_u32_e32 v149, -1, v160
	v_cndmask_b32_e64 v13, 0, v149, s14
	v_lshrrev_b32_e32 v149, 23, v151
	s_mov_b32 s14, exec_lo
	s_delay_alu instid0(VALU_DEP_2) | instskip(NEXT) | instid1(VALU_DEP_2)
	v_add_nc_u32_e32 v13, v13, v151
	v_xor_b32_e32 v149, 1, v149
	s_delay_alu instid0(VALU_DEP_2) | instskip(NEXT) | instid1(VALU_DEP_1)
	v_and_b32_e32 v9, 0xfffff, v13
	v_add_nc_u32_e32 v13, v9, v151
                                        ; implicit-def: $vgpr9
	s_delay_alu instid0(VALU_DEP_3)
	v_cmpx_ne_u32_e64 v148, v149
	s_xor_b32 s14, exec_lo, s14
; %bb.4607:                             ;   in Loop: Header=BB2_4380 Depth=3
	s_delay_alu instid0(VALU_DEP_2) | instskip(SKIP_2) | instid1(VALU_DEP_2)
	v_cmp_lt_u32_e32 vcc_lo, 0xffffff, v13
	v_sub_nc_u32_e32 v9, v148, v149
	v_cndmask_b32_e64 v148, 0, 1, vcc_lo
	v_add_co_ci_u32_e32 v9, vcc_lo, 0, v9, vcc_lo
	s_delay_alu instid0(VALU_DEP_2)
	v_lshrrev_b32_e32 v13, v148, v13
; %bb.4608:                             ;   in Loop: Header=BB2_4380 Depth=3
	s_and_not1_saveexec_b32 s14, s14
; %bb.4609:                             ;   in Loop: Header=BB2_4380 Depth=3
	s_delay_alu instid0(VALU_DEP_1)
	v_bfe_u32 v9, v13, 23, 1
; %bb.4610:                             ;   in Loop: Header=BB2_4380 Depth=3
	s_or_b32 exec_lo, exec_lo, s14
	v_lshrrev_b32_e32 v13, 20, v13
	s_delay_alu instid0(VALU_DEP_2) | instskip(SKIP_2) | instid1(VALU_DEP_2)
	v_cmp_gt_i32_e32 vcc_lo, 16, v9
	v_min_i32_e32 v148, 15, v9
	v_lshrrev_b32_e32 v149, 24, v150
	v_dual_cndmask_b32 v13, 7, v13 :: v_dual_lshlrev_b32 v148, 3, v148
	s_delay_alu instid0(VALU_DEP_2) | instskip(NEXT) | instid1(VALU_DEP_2)
	v_and_b32_e32 v149, 0x80, v149
	v_or_b32_e32 v9, v9, v13
	v_and_b32_e32 v150, 7, v13
	s_delay_alu instid0(VALU_DEP_2) | instskip(SKIP_1) | instid1(VALU_DEP_1)
	v_cmp_ne_u32_e32 vcc_lo, 0, v9
	v_and_b32_e32 v148, 0xf8, v148
	v_or3_b32 v148, v149, v148, v150
	s_delay_alu instid0(VALU_DEP_1) | instskip(NEXT) | instid1(VALU_DEP_1)
	v_lshlrev_b32_e32 v13, 8, v148
	v_cndmask_b32_e32 v9, 0, v13, vcc_lo
.LBB2_4611:                             ;   in Loop: Header=BB2_4380 Depth=3
	s_or_b32 exec_lo, exec_lo, s34
.LBB2_4612:                             ;   in Loop: Header=BB2_4380 Depth=3
	s_delay_alu instid0(SALU_CYCLE_1) | instskip(NEXT) | instid1(SALU_CYCLE_1)
	s_or_b32 exec_lo, exec_lo, s31
	s_and_b32 vcc_lo, exec_lo, s17
	s_cbranch_vccz .LBB2_4622
; %bb.4613:                             ;   in Loop: Header=BB2_4380 Depth=3
	v_and_b32_e32 v148, 0xff, v14
	s_mov_b32 s14, 0
	s_mov_b32 s34, exec_lo
                                        ; implicit-def: $sgpr31
	s_delay_alu instid0(VALU_DEP_1)
	v_cmpx_lt_i16_e64 0x7f, v148
	s_xor_b32 s34, exec_lo, s34
	s_cbranch_execnz .LBB2_4970
; %bb.4614:                             ;   in Loop: Header=BB2_4380 Depth=3
	s_or_saveexec_b32 s34, s34
	v_mov_b32_e32 v13, s31
	s_xor_b32 exec_lo, exec_lo, s34
	s_cbranch_execnz .LBB2_4973
.LBB2_4615:                             ;   in Loop: Header=BB2_4380 Depth=3
	s_or_b32 exec_lo, exec_lo, s34
	s_and_saveexec_b32 s31, s14
	s_cbranch_execz .LBB2_4617
.LBB2_4616:                             ;   in Loop: Header=BB2_4380 Depth=3
	v_bfe_u32 v150, v14, 3, 4
	v_lshlrev_b32_e32 v151, 24, v14
	s_delay_alu instid0(VALU_DEP_2) | instskip(SKIP_1) | instid1(VALU_DEP_1)
	v_cmp_eq_u32_e32 vcc_lo, 0, v150
	v_and_b32_e32 v13, 7, v14
	v_clz_i32_u32_e32 v148, v13
	s_delay_alu instid0(VALU_DEP_1) | instskip(NEXT) | instid1(VALU_DEP_1)
	v_min_u32_e32 v148, 32, v148
	v_subrev_nc_u32_e32 v149, 28, v148
	v_sub_nc_u32_e32 v148, 29, v148
	s_delay_alu instid0(VALU_DEP_1) | instskip(NEXT) | instid1(VALU_DEP_1)
	v_dual_cndmask_b32 v148, v150, v148 :: v_dual_lshlrev_b32 v149, v149, v14
	v_and_b32_e32 v149, 7, v149
	s_delay_alu instid0(VALU_DEP_2) | instskip(NEXT) | instid1(VALU_DEP_2)
	v_lshl_add_u32 v148, v148, 23, 0x3b800000
	v_cndmask_b32_e32 v13, v13, v149, vcc_lo
	v_and_b32_e32 v149, 0x80000000, v151
	s_delay_alu instid0(VALU_DEP_2) | instskip(NEXT) | instid1(VALU_DEP_1)
	v_lshlrev_b32_e32 v13, 20, v13
	v_or3_b32 v13, v149, v148, v13
.LBB2_4617:                             ;   in Loop: Header=BB2_4380 Depth=3
	s_or_b32 exec_lo, exec_lo, s31
	v_and_b32_e32 v149, 0xff, v10
	s_mov_b32 s14, 0
	s_mov_b32 s34, exec_lo
                                        ; implicit-def: $sgpr31
	s_delay_alu instid0(VALU_DEP_1)
	v_cmpx_lt_i16_e64 0x7f, v149
	s_xor_b32 s34, exec_lo, s34
	s_cbranch_execnz .LBB2_4974
; %bb.4618:                             ;   in Loop: Header=BB2_4380 Depth=3
	s_or_saveexec_b32 s34, s34
	v_mov_b32_e32 v148, s31
	s_xor_b32 exec_lo, exec_lo, s34
	s_cbranch_execnz .LBB2_4977
.LBB2_4619:                             ;   in Loop: Header=BB2_4380 Depth=3
	s_or_b32 exec_lo, exec_lo, s34
	s_and_saveexec_b32 s31, s14
	s_cbranch_execz .LBB2_4621
.LBB2_4620:                             ;   in Loop: Header=BB2_4380 Depth=3
	v_bfe_u32 v151, v10, 3, 4
	v_lshlrev_b32_e32 v160, 24, v10
	s_delay_alu instid0(VALU_DEP_2) | instskip(SKIP_1) | instid1(VALU_DEP_1)
	v_cmp_eq_u32_e32 vcc_lo, 0, v151
	v_and_b32_e32 v148, 7, v10
	v_clz_i32_u32_e32 v149, v148
	s_delay_alu instid0(VALU_DEP_1) | instskip(NEXT) | instid1(VALU_DEP_1)
	v_min_u32_e32 v149, 32, v149
	v_subrev_nc_u32_e32 v150, 28, v149
	v_sub_nc_u32_e32 v149, 29, v149
	s_delay_alu instid0(VALU_DEP_1) | instskip(NEXT) | instid1(VALU_DEP_1)
	v_dual_cndmask_b32 v149, v151, v149 :: v_dual_lshlrev_b32 v150, v150, v10
	v_and_b32_e32 v150, 7, v150
	s_delay_alu instid0(VALU_DEP_2) | instskip(NEXT) | instid1(VALU_DEP_2)
	v_lshl_add_u32 v149, v149, 23, 0x3b800000
	v_cndmask_b32_e32 v148, v148, v150, vcc_lo
	v_and_b32_e32 v150, 0x80000000, v160
	s_delay_alu instid0(VALU_DEP_2) | instskip(NEXT) | instid1(VALU_DEP_1)
	v_lshlrev_b32_e32 v148, 20, v148
	v_or3_b32 v148, v150, v149, v148
.LBB2_4621:                             ;   in Loop: Header=BB2_4380 Depth=3
	s_or_b32 exec_lo, exec_lo, s31
	s_delay_alu instid0(VALU_DEP_1) | instskip(SKIP_1) | instid1(VALU_DEP_1)
	v_dual_max_f32 v148, v148, v148 :: v_dual_max_f32 v13, v13, v13
	s_mov_b32 s14, 0
	v_max_f32_e32 v148, v13, v148
	s_branch .LBB2_4623
.LBB2_4622:                             ;   in Loop: Header=BB2_4380 Depth=3
	s_mov_b32 s14, -1
                                        ; implicit-def: $vgpr148
.LBB2_4623:                             ;   in Loop: Header=BB2_4380 Depth=3
	s_delay_alu instid0(SALU_CYCLE_1)
	s_and_b32 vcc_lo, exec_lo, s14
	s_cbranch_vccz .LBB2_4633
; %bb.4624:                             ;   in Loop: Header=BB2_4380 Depth=3
	v_and_b32_e32 v148, 0xff, v14
	s_mov_b32 s14, 0
	s_mov_b32 s34, exec_lo
                                        ; implicit-def: $sgpr31
	s_delay_alu instid0(VALU_DEP_1)
	v_cmpx_lt_i16_e64 0x7f, v148
	s_xor_b32 s34, exec_lo, s34
	s_cbranch_execnz .LBB2_4978
; %bb.4625:                             ;   in Loop: Header=BB2_4380 Depth=3
	s_or_saveexec_b32 s34, s34
	v_mov_b32_e32 v13, s31
	s_xor_b32 exec_lo, exec_lo, s34
	s_cbranch_execnz .LBB2_4981
.LBB2_4626:                             ;   in Loop: Header=BB2_4380 Depth=3
	s_or_b32 exec_lo, exec_lo, s34
	s_and_saveexec_b32 s31, s14
	s_cbranch_execz .LBB2_4628
.LBB2_4627:                             ;   in Loop: Header=BB2_4380 Depth=3
	v_bfe_u32 v150, v14, 3, 4
	v_lshlrev_b32_e32 v151, 24, v14
	s_delay_alu instid0(VALU_DEP_2) | instskip(SKIP_1) | instid1(VALU_DEP_1)
	v_cmp_eq_u32_e32 vcc_lo, 0, v150
	v_and_b32_e32 v13, 7, v14
	v_clz_i32_u32_e32 v148, v13
	s_delay_alu instid0(VALU_DEP_1) | instskip(NEXT) | instid1(VALU_DEP_1)
	v_min_u32_e32 v148, 32, v148
	v_subrev_nc_u32_e32 v149, 28, v148
	v_sub_nc_u32_e32 v148, 29, v148
	s_delay_alu instid0(VALU_DEP_1) | instskip(NEXT) | instid1(VALU_DEP_1)
	v_dual_cndmask_b32 v148, v150, v148 :: v_dual_lshlrev_b32 v149, v149, v14
	v_and_b32_e32 v149, 7, v149
	s_delay_alu instid0(VALU_DEP_2) | instskip(NEXT) | instid1(VALU_DEP_2)
	v_lshl_add_u32 v148, v148, 23, 0x3b800000
	v_cndmask_b32_e32 v13, v13, v149, vcc_lo
	v_and_b32_e32 v149, 0x80000000, v151
	s_delay_alu instid0(VALU_DEP_2) | instskip(NEXT) | instid1(VALU_DEP_1)
	v_lshlrev_b32_e32 v13, 20, v13
	v_or3_b32 v13, v149, v148, v13
.LBB2_4628:                             ;   in Loop: Header=BB2_4380 Depth=3
	s_or_b32 exec_lo, exec_lo, s31
	v_and_b32_e32 v149, 0xff, v10
	s_mov_b32 s14, 0
	s_mov_b32 s34, exec_lo
                                        ; implicit-def: $sgpr31
	s_delay_alu instid0(VALU_DEP_1)
	v_cmpx_lt_i16_e64 0x7f, v149
	s_xor_b32 s34, exec_lo, s34
	s_cbranch_execnz .LBB2_4982
; %bb.4629:                             ;   in Loop: Header=BB2_4380 Depth=3
	s_or_saveexec_b32 s34, s34
	v_mov_b32_e32 v148, s31
	s_xor_b32 exec_lo, exec_lo, s34
	s_cbranch_execnz .LBB2_4985
.LBB2_4630:                             ;   in Loop: Header=BB2_4380 Depth=3
	s_or_b32 exec_lo, exec_lo, s34
	s_and_saveexec_b32 s31, s14
	s_cbranch_execz .LBB2_4632
.LBB2_4631:                             ;   in Loop: Header=BB2_4380 Depth=3
	v_bfe_u32 v151, v10, 3, 4
	v_lshlrev_b32_e32 v160, 24, v10
	s_delay_alu instid0(VALU_DEP_2) | instskip(SKIP_1) | instid1(VALU_DEP_1)
	v_cmp_eq_u32_e32 vcc_lo, 0, v151
	v_and_b32_e32 v148, 7, v10
	v_clz_i32_u32_e32 v149, v148
	s_delay_alu instid0(VALU_DEP_1) | instskip(NEXT) | instid1(VALU_DEP_1)
	v_min_u32_e32 v149, 32, v149
	v_subrev_nc_u32_e32 v150, 28, v149
	v_sub_nc_u32_e32 v149, 29, v149
	s_delay_alu instid0(VALU_DEP_1) | instskip(NEXT) | instid1(VALU_DEP_1)
	v_dual_cndmask_b32 v149, v151, v149 :: v_dual_lshlrev_b32 v150, v150, v10
	v_and_b32_e32 v150, 7, v150
	s_delay_alu instid0(VALU_DEP_2) | instskip(NEXT) | instid1(VALU_DEP_2)
	v_lshl_add_u32 v149, v149, 23, 0x3b800000
	v_cndmask_b32_e32 v148, v148, v150, vcc_lo
	v_and_b32_e32 v150, 0x80000000, v160
	s_delay_alu instid0(VALU_DEP_2) | instskip(NEXT) | instid1(VALU_DEP_1)
	v_lshlrev_b32_e32 v148, 20, v148
	v_or3_b32 v148, v150, v149, v148
.LBB2_4632:                             ;   in Loop: Header=BB2_4380 Depth=3
	s_or_b32 exec_lo, exec_lo, s31
	s_delay_alu instid0(VALU_DEP_1) | instskip(NEXT) | instid1(VALU_DEP_1)
	v_dual_max_f32 v148, v148, v148 :: v_dual_max_f32 v13, v13, v13
	v_min_f32_e32 v148, v13, v148
.LBB2_4633:                             ;   in Loop: Header=BB2_4380 Depth=3
	s_delay_alu instid0(VALU_DEP_1) | instskip(NEXT) | instid1(VALU_DEP_1)
	v_and_b32_e32 v13, 0x7f800000, v148
	v_cmp_ne_u32_e32 vcc_lo, 0x7f800000, v13
	v_mov_b32_e32 v13, 0x80
	s_and_saveexec_b32 s31, vcc_lo
	s_cbranch_execz .LBB2_4641
; %bb.4634:                             ;   in Loop: Header=BB2_4380 Depth=3
	v_mov_b32_e32 v13, 0
	s_mov_b32 s34, exec_lo
	v_cmpx_ne_u32_e32 0, v148
	s_cbranch_execz .LBB2_4640
; %bb.4635:                             ;   in Loop: Header=BB2_4380 Depth=3
	v_bfe_u32 v13, v148, 23, 8
	s_delay_alu instid0(VALU_DEP_1) | instskip(SKIP_1) | instid1(VALU_DEP_2)
	v_sub_nc_u32_e32 v150, 0x78, v13
	v_cmp_gt_u32_e32 vcc_lo, 0x79, v13
	v_dual_cndmask_b32 v150, 0, v150 :: v_dual_and_b32 v149, 0x7fffff, v148
	s_delay_alu instid0(VALU_DEP_1) | instskip(SKIP_2) | instid1(VALU_DEP_4)
	v_or_b32_e32 v151, 0x800000, v149
	v_cmp_eq_u32_e32 vcc_lo, 0, v13
	v_add_nc_u32_e32 v13, 0xffffff89, v13
	v_cndmask_b32_e64 v150, v150, 0x77, vcc_lo
	s_delay_alu instid0(VALU_DEP_4) | instskip(NEXT) | instid1(VALU_DEP_3)
	v_cndmask_b32_e32 v149, v151, v149, vcc_lo
	v_cndmask_b32_e64 v13, v13, 0xffffff8a, vcc_lo
	s_delay_alu instid0(VALU_DEP_3) | instskip(NEXT) | instid1(VALU_DEP_3)
	v_lshl_add_u32 v151, 0x100000, v150, -1
	v_lshrrev_b32_e32 v160, v150, v149
	v_lshlrev_b32_e64 v162, v150, 0x80000
	s_delay_alu instid0(VALU_DEP_4) | instskip(NEXT) | instid1(VALU_DEP_4)
	v_add_nc_u32_e32 v150, v150, v13
	v_and_b32_e32 v149, v151, v149
	s_delay_alu instid0(VALU_DEP_4) | instskip(NEXT) | instid1(VALU_DEP_2)
	v_bfe_u32 v161, v160, 20, 1
	v_cmp_eq_u32_e64 s14, v149, v162
	s_delay_alu instid0(VALU_DEP_2) | instskip(NEXT) | instid1(VALU_DEP_1)
	v_add_nc_u32_e32 v151, -1, v161
	v_cndmask_b32_e64 v149, 0, v151, s14
	v_lshrrev_b32_e32 v151, 23, v160
	s_mov_b32 s14, exec_lo
	s_delay_alu instid0(VALU_DEP_2) | instskip(NEXT) | instid1(VALU_DEP_2)
	v_add_nc_u32_e32 v149, v149, v160
	v_xor_b32_e32 v151, 1, v151
	s_delay_alu instid0(VALU_DEP_2) | instskip(NEXT) | instid1(VALU_DEP_1)
	v_and_b32_e32 v13, 0xfffff, v149
	v_add_nc_u32_e32 v149, v13, v160
                                        ; implicit-def: $vgpr13
	s_delay_alu instid0(VALU_DEP_3)
	v_cmpx_ne_u32_e64 v150, v151
	s_xor_b32 s14, exec_lo, s14
; %bb.4636:                             ;   in Loop: Header=BB2_4380 Depth=3
	s_delay_alu instid0(VALU_DEP_2) | instskip(SKIP_2) | instid1(VALU_DEP_2)
	v_cmp_lt_u32_e32 vcc_lo, 0xffffff, v149
	v_sub_nc_u32_e32 v13, v150, v151
	v_cndmask_b32_e64 v150, 0, 1, vcc_lo
	v_add_co_ci_u32_e32 v13, vcc_lo, 0, v13, vcc_lo
	s_delay_alu instid0(VALU_DEP_2)
	v_lshrrev_b32_e32 v149, v150, v149
; %bb.4637:                             ;   in Loop: Header=BB2_4380 Depth=3
	s_and_not1_saveexec_b32 s14, s14
; %bb.4638:                             ;   in Loop: Header=BB2_4380 Depth=3
	s_delay_alu instid0(VALU_DEP_1)
	v_bfe_u32 v13, v149, 23, 1
; %bb.4639:                             ;   in Loop: Header=BB2_4380 Depth=3
	s_or_b32 exec_lo, exec_lo, s14
	v_lshrrev_b32_e32 v149, 20, v149
	s_delay_alu instid0(VALU_DEP_2) | instskip(SKIP_2) | instid1(VALU_DEP_2)
	v_cmp_gt_i32_e32 vcc_lo, 16, v13
	v_lshrrev_b32_e32 v148, 24, v148
	v_min_i32_e32 v150, 15, v13
	v_dual_cndmask_b32 v149, 7, v149 :: v_dual_and_b32 v148, 0x80, v148
	s_delay_alu instid0(VALU_DEP_1) | instskip(SKIP_1) | instid1(VALU_DEP_2)
	v_or_b32_e32 v13, v13, v149
	v_and_b32_e32 v151, 7, v149
	v_cmp_ne_u32_e32 vcc_lo, 0, v13
	v_lshlrev_b32_e32 v150, 3, v150
	s_delay_alu instid0(VALU_DEP_1) | instskip(NEXT) | instid1(VALU_DEP_1)
	v_or3_b32 v148, v150, v148, v151
	v_cndmask_b32_e32 v13, 0, v148, vcc_lo
.LBB2_4640:                             ;   in Loop: Header=BB2_4380 Depth=3
	s_or_b32 exec_lo, exec_lo, s34
.LBB2_4641:                             ;   in Loop: Header=BB2_4380 Depth=3
	s_delay_alu instid0(SALU_CYCLE_1)
	s_or_b32 exec_lo, exec_lo, s31
	v_lshrrev_b16 v149, 8, v14
	v_lshrrev_b16 v148, 8, v10
	s_and_b32 vcc_lo, exec_lo, s17
	s_cbranch_vccz .LBB2_4651
; %bb.4642:                             ;   in Loop: Header=BB2_4380 Depth=3
	s_mov_b32 s14, 0
	s_mov_b32 s34, exec_lo
                                        ; implicit-def: $sgpr31
	v_cmpx_lt_i16_e64 0x7f, v149
	s_xor_b32 s34, exec_lo, s34
	s_cbranch_execnz .LBB2_4986
; %bb.4643:                             ;   in Loop: Header=BB2_4380 Depth=3
	s_or_saveexec_b32 s34, s34
	v_mov_b32_e32 v150, s31
	s_xor_b32 exec_lo, exec_lo, s34
	s_cbranch_execnz .LBB2_4989
.LBB2_4644:                             ;   in Loop: Header=BB2_4380 Depth=3
	s_or_b32 exec_lo, exec_lo, s34
	s_and_saveexec_b32 s31, s14
	s_cbranch_execz .LBB2_4646
.LBB2_4645:                             ;   in Loop: Header=BB2_4380 Depth=3
	v_and_b32_e32 v150, 0xffff, v149
	s_delay_alu instid0(VALU_DEP_1) | instskip(NEXT) | instid1(VALU_DEP_1)
	v_and_b32_e32 v151, 7, v150
	v_clz_i32_u32_e32 v160, v151
	s_delay_alu instid0(VALU_DEP_1) | instskip(NEXT) | instid1(VALU_DEP_1)
	v_min_u32_e32 v160, 32, v160
	v_subrev_nc_u32_e32 v161, 28, v160
	v_sub_nc_u32_e32 v160, 29, v160
	s_delay_alu instid0(VALU_DEP_2) | instskip(SKIP_1) | instid1(VALU_DEP_2)
	v_lshlrev_b32_e32 v161, v161, v150
	v_bfe_u32 v150, v150, 3, 4
	v_and_b32_e32 v161, 7, v161
	s_delay_alu instid0(VALU_DEP_2) | instskip(SKIP_1) | instid1(VALU_DEP_3)
	v_cmp_eq_u32_e32 vcc_lo, 0, v150
	v_cndmask_b32_e32 v150, v150, v160, vcc_lo
	v_dual_cndmask_b32 v151, v151, v161 :: v_dual_lshlrev_b32 v162, 16, v14
	s_delay_alu instid0(VALU_DEP_2) | instskip(NEXT) | instid1(VALU_DEP_2)
	v_lshl_add_u32 v150, v150, 23, 0x3b800000
	v_and_b32_e32 v160, 0x80000000, v162
	s_delay_alu instid0(VALU_DEP_3) | instskip(NEXT) | instid1(VALU_DEP_1)
	v_lshlrev_b32_e32 v151, 20, v151
	v_or3_b32 v150, v160, v150, v151
.LBB2_4646:                             ;   in Loop: Header=BB2_4380 Depth=3
	s_or_b32 exec_lo, exec_lo, s31
	s_mov_b32 s14, 0
	s_mov_b32 s34, exec_lo
                                        ; implicit-def: $sgpr31
	v_cmpx_lt_i16_e64 0x7f, v148
	s_xor_b32 s34, exec_lo, s34
	s_cbranch_execnz .LBB2_4990
; %bb.4647:                             ;   in Loop: Header=BB2_4380 Depth=3
	s_or_saveexec_b32 s34, s34
	v_mov_b32_e32 v151, s31
	s_xor_b32 exec_lo, exec_lo, s34
	s_cbranch_execnz .LBB2_4993
.LBB2_4648:                             ;   in Loop: Header=BB2_4380 Depth=3
	s_or_b32 exec_lo, exec_lo, s34
	s_and_saveexec_b32 s31, s14
	s_cbranch_execz .LBB2_4650
.LBB2_4649:                             ;   in Loop: Header=BB2_4380 Depth=3
	v_and_b32_e32 v151, 0xffff, v148
	v_lshlrev_b32_e32 v163, 16, v10
	s_delay_alu instid0(VALU_DEP_2) | instskip(NEXT) | instid1(VALU_DEP_1)
	v_and_b32_e32 v160, 7, v151
	v_clz_i32_u32_e32 v161, v160
	s_delay_alu instid0(VALU_DEP_1) | instskip(NEXT) | instid1(VALU_DEP_1)
	v_min_u32_e32 v161, 32, v161
	v_subrev_nc_u32_e32 v162, 28, v161
	v_sub_nc_u32_e32 v161, 29, v161
	s_delay_alu instid0(VALU_DEP_2) | instskip(SKIP_1) | instid1(VALU_DEP_2)
	v_lshlrev_b32_e32 v162, v162, v151
	v_bfe_u32 v151, v151, 3, 4
	v_and_b32_e32 v162, 7, v162
	s_delay_alu instid0(VALU_DEP_2) | instskip(NEXT) | instid1(VALU_DEP_2)
	v_cmp_eq_u32_e32 vcc_lo, 0, v151
	v_dual_cndmask_b32 v151, v151, v161 :: v_dual_cndmask_b32 v160, v160, v162
	v_and_b32_e32 v161, 0x80000000, v163
	s_delay_alu instid0(VALU_DEP_2) | instskip(NEXT) | instid1(VALU_DEP_3)
	v_lshl_add_u32 v151, v151, 23, 0x3b800000
	v_lshlrev_b32_e32 v160, 20, v160
	s_delay_alu instid0(VALU_DEP_1)
	v_or3_b32 v151, v161, v151, v160
.LBB2_4650:                             ;   in Loop: Header=BB2_4380 Depth=3
	s_or_b32 exec_lo, exec_lo, s31
	s_delay_alu instid0(VALU_DEP_1) | instskip(SKIP_1) | instid1(VALU_DEP_1)
	v_dual_max_f32 v151, v151, v151 :: v_dual_max_f32 v150, v150, v150
	s_mov_b32 s14, 0
	v_max_f32_e32 v150, v150, v151
	s_branch .LBB2_4652
.LBB2_4651:                             ;   in Loop: Header=BB2_4380 Depth=3
	s_mov_b32 s14, -1
                                        ; implicit-def: $vgpr150
.LBB2_4652:                             ;   in Loop: Header=BB2_4380 Depth=3
	s_delay_alu instid0(SALU_CYCLE_1)
	s_and_b32 vcc_lo, exec_lo, s14
	s_cbranch_vccz .LBB2_4662
; %bb.4653:                             ;   in Loop: Header=BB2_4380 Depth=3
	s_mov_b32 s14, 0
	s_mov_b32 s34, exec_lo
                                        ; implicit-def: $sgpr31
	v_cmpx_lt_i16_e64 0x7f, v149
	s_xor_b32 s34, exec_lo, s34
	s_cbranch_execnz .LBB2_4994
; %bb.4654:                             ;   in Loop: Header=BB2_4380 Depth=3
	s_or_saveexec_b32 s34, s34
	v_mov_b32_e32 v150, s31
	s_xor_b32 exec_lo, exec_lo, s34
	s_cbranch_execnz .LBB2_4997
.LBB2_4655:                             ;   in Loop: Header=BB2_4380 Depth=3
	s_or_b32 exec_lo, exec_lo, s34
	s_and_saveexec_b32 s31, s14
	s_cbranch_execz .LBB2_4657
.LBB2_4656:                             ;   in Loop: Header=BB2_4380 Depth=3
	v_and_b32_e32 v149, 0xffff, v149
	v_lshlrev_b32_e32 v161, 16, v14
	s_delay_alu instid0(VALU_DEP_2) | instskip(NEXT) | instid1(VALU_DEP_1)
	v_and_b32_e32 v150, 7, v149
	v_clz_i32_u32_e32 v151, v150
	s_delay_alu instid0(VALU_DEP_1) | instskip(NEXT) | instid1(VALU_DEP_1)
	v_min_u32_e32 v151, 32, v151
	v_subrev_nc_u32_e32 v160, 28, v151
	v_sub_nc_u32_e32 v151, 29, v151
	s_delay_alu instid0(VALU_DEP_2) | instskip(SKIP_1) | instid1(VALU_DEP_2)
	v_lshlrev_b32_e32 v160, v160, v149
	v_bfe_u32 v149, v149, 3, 4
	v_and_b32_e32 v160, 7, v160
	s_delay_alu instid0(VALU_DEP_2) | instskip(NEXT) | instid1(VALU_DEP_2)
	v_cmp_eq_u32_e32 vcc_lo, 0, v149
	v_dual_cndmask_b32 v149, v149, v151 :: v_dual_cndmask_b32 v150, v150, v160
	v_and_b32_e32 v151, 0x80000000, v161
	s_delay_alu instid0(VALU_DEP_2) | instskip(NEXT) | instid1(VALU_DEP_3)
	v_lshl_add_u32 v149, v149, 23, 0x3b800000
	v_lshlrev_b32_e32 v150, 20, v150
	s_delay_alu instid0(VALU_DEP_1)
	v_or3_b32 v150, v151, v149, v150
.LBB2_4657:                             ;   in Loop: Header=BB2_4380 Depth=3
	s_or_b32 exec_lo, exec_lo, s31
	s_mov_b32 s14, 0
	s_mov_b32 s34, exec_lo
                                        ; implicit-def: $sgpr31
	v_cmpx_lt_i16_e64 0x7f, v148
	s_xor_b32 s34, exec_lo, s34
	s_cbranch_execnz .LBB2_4998
; %bb.4658:                             ;   in Loop: Header=BB2_4380 Depth=3
	s_or_saveexec_b32 s34, s34
	v_mov_b32_e32 v149, s31
	s_xor_b32 exec_lo, exec_lo, s34
	s_cbranch_execnz .LBB2_5001
.LBB2_4659:                             ;   in Loop: Header=BB2_4380 Depth=3
	s_or_b32 exec_lo, exec_lo, s34
	s_and_saveexec_b32 s31, s14
	s_cbranch_execz .LBB2_4661
.LBB2_4660:                             ;   in Loop: Header=BB2_4380 Depth=3
	v_and_b32_e32 v148, 0xffff, v148
	v_lshlrev_b32_e32 v161, 16, v10
	s_delay_alu instid0(VALU_DEP_2) | instskip(NEXT) | instid1(VALU_DEP_1)
	v_and_b32_e32 v149, 7, v148
	v_clz_i32_u32_e32 v151, v149
	s_delay_alu instid0(VALU_DEP_1) | instskip(NEXT) | instid1(VALU_DEP_1)
	v_min_u32_e32 v151, 32, v151
	v_subrev_nc_u32_e32 v160, 28, v151
	v_sub_nc_u32_e32 v151, 29, v151
	s_delay_alu instid0(VALU_DEP_2) | instskip(SKIP_1) | instid1(VALU_DEP_2)
	v_lshlrev_b32_e32 v160, v160, v148
	v_bfe_u32 v148, v148, 3, 4
	v_and_b32_e32 v160, 7, v160
	s_delay_alu instid0(VALU_DEP_2) | instskip(NEXT) | instid1(VALU_DEP_2)
	v_cmp_eq_u32_e32 vcc_lo, 0, v148
	v_dual_cndmask_b32 v148, v148, v151 :: v_dual_cndmask_b32 v149, v149, v160
	v_and_b32_e32 v151, 0x80000000, v161
	s_delay_alu instid0(VALU_DEP_2) | instskip(NEXT) | instid1(VALU_DEP_3)
	v_lshl_add_u32 v148, v148, 23, 0x3b800000
	v_lshlrev_b32_e32 v149, 20, v149
	s_delay_alu instid0(VALU_DEP_1)
	v_or3_b32 v149, v151, v148, v149
.LBB2_4661:                             ;   in Loop: Header=BB2_4380 Depth=3
	s_or_b32 exec_lo, exec_lo, s31
	s_delay_alu instid0(VALU_DEP_1) | instskip(NEXT) | instid1(VALU_DEP_1)
	v_dual_max_f32 v148, v149, v149 :: v_dual_max_f32 v149, v150, v150
	v_min_f32_e32 v150, v149, v148
.LBB2_4662:                             ;   in Loop: Header=BB2_4380 Depth=3
	s_delay_alu instid0(VALU_DEP_1) | instskip(NEXT) | instid1(VALU_DEP_1)
	v_and_b32_e32 v148, 0x7f800000, v150
	v_cmp_ne_u32_e32 vcc_lo, 0x7f800000, v148
	v_mov_b32_e32 v148, 0x80
	s_and_saveexec_b32 s31, vcc_lo
	s_cbranch_execz .LBB2_4670
; %bb.4663:                             ;   in Loop: Header=BB2_4380 Depth=3
	v_mov_b32_e32 v148, 0
	s_mov_b32 s34, exec_lo
	v_cmpx_ne_u32_e32 0, v150
	s_cbranch_execz .LBB2_4669
; %bb.4664:                             ;   in Loop: Header=BB2_4380 Depth=3
	v_bfe_u32 v148, v150, 23, 8
	v_and_b32_e32 v149, 0x7fffff, v150
	s_delay_alu instid0(VALU_DEP_2) | instskip(SKIP_1) | instid1(VALU_DEP_3)
	v_sub_nc_u32_e32 v151, 0x78, v148
	v_cmp_gt_u32_e32 vcc_lo, 0x79, v148
	v_or_b32_e32 v160, 0x800000, v149
	s_delay_alu instid0(VALU_DEP_3) | instskip(SKIP_2) | instid1(VALU_DEP_3)
	v_cndmask_b32_e32 v151, 0, v151, vcc_lo
	v_cmp_eq_u32_e32 vcc_lo, 0, v148
	v_add_nc_u32_e32 v148, 0xffffff89, v148
	v_cndmask_b32_e64 v151, v151, 0x77, vcc_lo
	v_cndmask_b32_e32 v149, v160, v149, vcc_lo
	s_delay_alu instid0(VALU_DEP_3) | instskip(NEXT) | instid1(VALU_DEP_3)
	v_cndmask_b32_e64 v148, v148, 0xffffff8a, vcc_lo
	v_lshl_add_u32 v160, 0x100000, v151, -1
	s_delay_alu instid0(VALU_DEP_3) | instskip(SKIP_1) | instid1(VALU_DEP_4)
	v_lshrrev_b32_e32 v161, v151, v149
	v_lshlrev_b32_e64 v163, v151, 0x80000
	v_add_nc_u32_e32 v151, v151, v148
	s_delay_alu instid0(VALU_DEP_4) | instskip(NEXT) | instid1(VALU_DEP_4)
	v_and_b32_e32 v149, v160, v149
	v_bfe_u32 v162, v161, 20, 1
	s_delay_alu instid0(VALU_DEP_2) | instskip(NEXT) | instid1(VALU_DEP_2)
	v_cmp_eq_u32_e64 s14, v149, v163
	v_add_nc_u32_e32 v160, -1, v162
	s_delay_alu instid0(VALU_DEP_1) | instskip(SKIP_2) | instid1(VALU_DEP_2)
	v_cndmask_b32_e64 v149, 0, v160, s14
	v_lshrrev_b32_e32 v160, 23, v161
	s_mov_b32 s14, exec_lo
	v_add_nc_u32_e32 v149, v149, v161
	s_delay_alu instid0(VALU_DEP_2) | instskip(NEXT) | instid1(VALU_DEP_2)
	v_xor_b32_e32 v160, 1, v160
	v_and_b32_e32 v148, 0xfffff, v149
	s_delay_alu instid0(VALU_DEP_1) | instskip(NEXT) | instid1(VALU_DEP_3)
	v_add_nc_u32_e32 v149, v148, v161
                                        ; implicit-def: $vgpr148
	v_cmpx_ne_u32_e64 v151, v160
	s_xor_b32 s14, exec_lo, s14
; %bb.4665:                             ;   in Loop: Header=BB2_4380 Depth=3
	s_delay_alu instid0(VALU_DEP_2) | instskip(SKIP_2) | instid1(VALU_DEP_2)
	v_cmp_lt_u32_e32 vcc_lo, 0xffffff, v149
	v_sub_nc_u32_e32 v148, v151, v160
	v_cndmask_b32_e64 v151, 0, 1, vcc_lo
	v_add_co_ci_u32_e32 v148, vcc_lo, 0, v148, vcc_lo
	s_delay_alu instid0(VALU_DEP_2)
	v_lshrrev_b32_e32 v149, v151, v149
; %bb.4666:                             ;   in Loop: Header=BB2_4380 Depth=3
	s_and_not1_saveexec_b32 s14, s14
; %bb.4667:                             ;   in Loop: Header=BB2_4380 Depth=3
	s_delay_alu instid0(VALU_DEP_1)
	v_bfe_u32 v148, v149, 23, 1
; %bb.4668:                             ;   in Loop: Header=BB2_4380 Depth=3
	s_or_b32 exec_lo, exec_lo, s14
	v_lshrrev_b32_e32 v149, 20, v149
	s_delay_alu instid0(VALU_DEP_2) | instskip(SKIP_2) | instid1(VALU_DEP_2)
	v_cmp_gt_i32_e32 vcc_lo, 16, v148
	v_lshrrev_b32_e32 v150, 24, v150
	v_min_i32_e32 v151, 15, v148
	v_dual_cndmask_b32 v149, 7, v149 :: v_dual_and_b32 v150, 0x80, v150
	s_delay_alu instid0(VALU_DEP_1) | instskip(SKIP_1) | instid1(VALU_DEP_2)
	v_or_b32_e32 v148, v148, v149
	v_and_b32_e32 v160, 7, v149
	v_cmp_ne_u32_e32 vcc_lo, 0, v148
	v_lshlrev_b32_e32 v151, 3, v151
	s_delay_alu instid0(VALU_DEP_1) | instskip(NEXT) | instid1(VALU_DEP_1)
	v_or3_b32 v149, v151, v150, v160
	v_cndmask_b32_e32 v148, 0, v149, vcc_lo
.LBB2_4669:                             ;   in Loop: Header=BB2_4380 Depth=3
	s_or_b32 exec_lo, exec_lo, s34
.LBB2_4670:                             ;   in Loop: Header=BB2_4380 Depth=3
	s_delay_alu instid0(SALU_CYCLE_1)
	s_or_b32 exec_lo, exec_lo, s31
	v_lshrrev_b32_e32 v150, 16, v14
	v_lshrrev_b32_e32 v149, 16, v10
	s_and_b32 vcc_lo, exec_lo, s17
	s_cbranch_vccz .LBB2_4680
; %bb.4671:                             ;   in Loop: Header=BB2_4380 Depth=3
	s_delay_alu instid0(VALU_DEP_2) | instskip(SKIP_2) | instid1(VALU_DEP_1)
	v_and_b32_e32 v160, 0xff, v150
	s_mov_b32 s14, 0
	s_mov_b32 s34, exec_lo
                                        ; implicit-def: $sgpr31
	v_cmpx_lt_i16_e64 0x7f, v160
	s_xor_b32 s34, exec_lo, s34
	s_cbranch_execnz .LBB2_5002
; %bb.4672:                             ;   in Loop: Header=BB2_4380 Depth=3
	s_or_saveexec_b32 s34, s34
	v_mov_b32_e32 v151, s31
	s_xor_b32 exec_lo, exec_lo, s34
	s_cbranch_execnz .LBB2_5005
.LBB2_4673:                             ;   in Loop: Header=BB2_4380 Depth=3
	s_or_b32 exec_lo, exec_lo, s34
	s_and_saveexec_b32 s31, s14
	s_cbranch_execz .LBB2_4675
.LBB2_4674:                             ;   in Loop: Header=BB2_4380 Depth=3
	v_bfe_u32 v151, v14, 16, 3
	v_bfe_u32 v162, v14, 19, 4
	v_lshlrev_b32_e32 v163, 24, v150
	s_delay_alu instid0(VALU_DEP_3) | instskip(NEXT) | instid1(VALU_DEP_3)
	v_clz_i32_u32_e32 v160, v151
	v_cmp_eq_u32_e32 vcc_lo, 0, v162
	s_delay_alu instid0(VALU_DEP_2) | instskip(NEXT) | instid1(VALU_DEP_1)
	v_min_u32_e32 v160, 32, v160
	v_subrev_nc_u32_e32 v161, 28, v160
	v_sub_nc_u32_e32 v160, 29, v160
	s_delay_alu instid0(VALU_DEP_1) | instskip(NEXT) | instid1(VALU_DEP_1)
	v_dual_cndmask_b32 v160, v162, v160 :: v_dual_lshlrev_b32 v161, v161, v150
	v_and_b32_e32 v161, 7, v161
	s_delay_alu instid0(VALU_DEP_2) | instskip(NEXT) | instid1(VALU_DEP_2)
	v_lshl_add_u32 v160, v160, 23, 0x3b800000
	v_cndmask_b32_e32 v151, v151, v161, vcc_lo
	v_and_b32_e32 v161, 0x80000000, v163
	s_delay_alu instid0(VALU_DEP_2) | instskip(NEXT) | instid1(VALU_DEP_1)
	v_lshlrev_b32_e32 v151, 20, v151
	v_or3_b32 v151, v161, v160, v151
.LBB2_4675:                             ;   in Loop: Header=BB2_4380 Depth=3
	s_or_b32 exec_lo, exec_lo, s31
	v_and_b32_e32 v161, 0xff, v149
	s_mov_b32 s14, 0
	s_mov_b32 s34, exec_lo
                                        ; implicit-def: $sgpr31
	s_delay_alu instid0(VALU_DEP_1)
	v_cmpx_lt_i16_e64 0x7f, v161
	s_xor_b32 s34, exec_lo, s34
	s_cbranch_execnz .LBB2_5006
; %bb.4676:                             ;   in Loop: Header=BB2_4380 Depth=3
	s_or_saveexec_b32 s34, s34
	v_mov_b32_e32 v160, s31
	s_xor_b32 exec_lo, exec_lo, s34
	s_cbranch_execnz .LBB2_5009
.LBB2_4677:                             ;   in Loop: Header=BB2_4380 Depth=3
	s_or_b32 exec_lo, exec_lo, s34
	s_and_saveexec_b32 s31, s14
	s_cbranch_execz .LBB2_4679
.LBB2_4678:                             ;   in Loop: Header=BB2_4380 Depth=3
	v_bfe_u32 v160, v10, 16, 3
	v_bfe_u32 v163, v10, 19, 4
	v_lshlrev_b32_e32 v164, 24, v149
	s_delay_alu instid0(VALU_DEP_3) | instskip(NEXT) | instid1(VALU_DEP_3)
	v_clz_i32_u32_e32 v161, v160
	v_cmp_eq_u32_e32 vcc_lo, 0, v163
	s_delay_alu instid0(VALU_DEP_2) | instskip(NEXT) | instid1(VALU_DEP_1)
	v_min_u32_e32 v161, 32, v161
	v_subrev_nc_u32_e32 v162, 28, v161
	v_sub_nc_u32_e32 v161, 29, v161
	s_delay_alu instid0(VALU_DEP_2) | instskip(NEXT) | instid1(VALU_DEP_1)
	v_lshlrev_b32_e32 v162, v162, v149
	v_dual_cndmask_b32 v161, v163, v161 :: v_dual_and_b32 v162, 7, v162
	s_delay_alu instid0(VALU_DEP_1) | instskip(NEXT) | instid1(VALU_DEP_2)
	v_lshl_add_u32 v161, v161, 23, 0x3b800000
	v_cndmask_b32_e32 v160, v160, v162, vcc_lo
	v_and_b32_e32 v162, 0x80000000, v164
	s_delay_alu instid0(VALU_DEP_2) | instskip(NEXT) | instid1(VALU_DEP_1)
	v_lshlrev_b32_e32 v160, 20, v160
	v_or3_b32 v160, v162, v161, v160
.LBB2_4679:                             ;   in Loop: Header=BB2_4380 Depth=3
	s_or_b32 exec_lo, exec_lo, s31
	s_delay_alu instid0(VALU_DEP_1) | instskip(SKIP_1) | instid1(VALU_DEP_1)
	v_dual_max_f32 v160, v160, v160 :: v_dual_max_f32 v151, v151, v151
	s_mov_b32 s14, 0
	v_max_f32_e32 v151, v151, v160
	s_branch .LBB2_4681
.LBB2_4680:                             ;   in Loop: Header=BB2_4380 Depth=3
	s_mov_b32 s14, -1
                                        ; implicit-def: $vgpr151
.LBB2_4681:                             ;   in Loop: Header=BB2_4380 Depth=3
	s_delay_alu instid0(SALU_CYCLE_1)
	s_and_b32 vcc_lo, exec_lo, s14
	s_cbranch_vccz .LBB2_4691
; %bb.4682:                             ;   in Loop: Header=BB2_4380 Depth=3
	v_and_b32_e32 v160, 0xff, v150
	s_mov_b32 s14, 0
	s_mov_b32 s34, exec_lo
                                        ; implicit-def: $sgpr31
	s_delay_alu instid0(VALU_DEP_1)
	v_cmpx_lt_i16_e64 0x7f, v160
	s_xor_b32 s34, exec_lo, s34
	s_cbranch_execnz .LBB2_5010
; %bb.4683:                             ;   in Loop: Header=BB2_4380 Depth=3
	s_or_saveexec_b32 s34, s34
	v_mov_b32_e32 v151, s31
	s_xor_b32 exec_lo, exec_lo, s34
	s_cbranch_execnz .LBB2_5013
.LBB2_4684:                             ;   in Loop: Header=BB2_4380 Depth=3
	s_or_b32 exec_lo, exec_lo, s34
	s_and_saveexec_b32 s31, s14
	s_cbranch_execz .LBB2_4686
.LBB2_4685:                             ;   in Loop: Header=BB2_4380 Depth=3
	v_bfe_u32 v151, v14, 16, 3
	v_bfe_u32 v162, v14, 19, 4
	s_delay_alu instid0(VALU_DEP_2) | instskip(NEXT) | instid1(VALU_DEP_2)
	v_clz_i32_u32_e32 v160, v151
	v_cmp_eq_u32_e32 vcc_lo, 0, v162
	s_delay_alu instid0(VALU_DEP_2) | instskip(NEXT) | instid1(VALU_DEP_1)
	v_min_u32_e32 v160, 32, v160
	v_subrev_nc_u32_e32 v161, 28, v160
	v_sub_nc_u32_e32 v160, 29, v160
	s_delay_alu instid0(VALU_DEP_1) | instskip(NEXT) | instid1(VALU_DEP_1)
	v_dual_cndmask_b32 v160, v162, v160 :: v_dual_lshlrev_b32 v161, v161, v150
	v_and_b32_e32 v161, 7, v161
	v_lshlrev_b32_e32 v150, 24, v150
	s_delay_alu instid0(VALU_DEP_3) | instskip(NEXT) | instid1(VALU_DEP_2)
	v_lshl_add_u32 v160, v160, 23, 0x3b800000
	v_dual_cndmask_b32 v151, v151, v161 :: v_dual_and_b32 v150, 0x80000000, v150
	s_delay_alu instid0(VALU_DEP_1) | instskip(NEXT) | instid1(VALU_DEP_1)
	v_lshlrev_b32_e32 v151, 20, v151
	v_or3_b32 v151, v150, v160, v151
.LBB2_4686:                             ;   in Loop: Header=BB2_4380 Depth=3
	s_or_b32 exec_lo, exec_lo, s31
	v_and_b32_e32 v160, 0xff, v149
	s_mov_b32 s14, 0
	s_mov_b32 s34, exec_lo
                                        ; implicit-def: $sgpr31
	s_delay_alu instid0(VALU_DEP_1)
	v_cmpx_lt_i16_e64 0x7f, v160
	s_xor_b32 s34, exec_lo, s34
	s_cbranch_execnz .LBB2_5014
; %bb.4687:                             ;   in Loop: Header=BB2_4380 Depth=3
	s_or_saveexec_b32 s34, s34
	v_mov_b32_e32 v150, s31
	s_xor_b32 exec_lo, exec_lo, s34
	s_cbranch_execnz .LBB2_5017
.LBB2_4688:                             ;   in Loop: Header=BB2_4380 Depth=3
	s_or_b32 exec_lo, exec_lo, s34
	s_and_saveexec_b32 s31, s14
	s_cbranch_execz .LBB2_4690
.LBB2_4689:                             ;   in Loop: Header=BB2_4380 Depth=3
	v_bfe_u32 v150, v10, 16, 3
	v_bfe_u32 v162, v10, 19, 4
	s_delay_alu instid0(VALU_DEP_2) | instskip(NEXT) | instid1(VALU_DEP_2)
	v_clz_i32_u32_e32 v160, v150
	v_cmp_eq_u32_e32 vcc_lo, 0, v162
	s_delay_alu instid0(VALU_DEP_2) | instskip(NEXT) | instid1(VALU_DEP_1)
	v_min_u32_e32 v160, 32, v160
	v_subrev_nc_u32_e32 v161, 28, v160
	v_sub_nc_u32_e32 v160, 29, v160
	s_delay_alu instid0(VALU_DEP_1) | instskip(SKIP_1) | instid1(VALU_DEP_2)
	v_dual_cndmask_b32 v160, v162, v160 :: v_dual_lshlrev_b32 v161, v161, v149
	v_lshlrev_b32_e32 v149, 24, v149
	v_and_b32_e32 v161, 7, v161
	s_delay_alu instid0(VALU_DEP_3) | instskip(NEXT) | instid1(VALU_DEP_3)
	v_lshl_add_u32 v160, v160, 23, 0x3b800000
	v_and_b32_e32 v149, 0x80000000, v149
	s_delay_alu instid0(VALU_DEP_3) | instskip(NEXT) | instid1(VALU_DEP_1)
	v_cndmask_b32_e32 v150, v150, v161, vcc_lo
	v_lshlrev_b32_e32 v150, 20, v150
	s_delay_alu instid0(VALU_DEP_1)
	v_or3_b32 v150, v149, v160, v150
.LBB2_4690:                             ;   in Loop: Header=BB2_4380 Depth=3
	s_or_b32 exec_lo, exec_lo, s31
	s_delay_alu instid0(VALU_DEP_1) | instskip(NEXT) | instid1(VALU_DEP_1)
	v_dual_max_f32 v149, v150, v150 :: v_dual_max_f32 v150, v151, v151
	v_min_f32_e32 v151, v150, v149
.LBB2_4691:                             ;   in Loop: Header=BB2_4380 Depth=3
	s_delay_alu instid0(VALU_DEP_1) | instskip(NEXT) | instid1(VALU_DEP_1)
	v_and_b32_e32 v149, 0x7f800000, v151
	v_cmp_ne_u32_e32 vcc_lo, 0x7f800000, v149
	v_mov_b32_e32 v149, 0x80
	s_and_saveexec_b32 s31, vcc_lo
	s_cbranch_execz .LBB2_4699
; %bb.4692:                             ;   in Loop: Header=BB2_4380 Depth=3
	v_mov_b32_e32 v149, 0
	s_mov_b32 s34, exec_lo
	v_cmpx_ne_u32_e32 0, v151
	s_cbranch_execz .LBB2_4698
; %bb.4693:                             ;   in Loop: Header=BB2_4380 Depth=3
	v_bfe_u32 v149, v151, 23, 8
	v_and_b32_e32 v150, 0x7fffff, v151
	s_delay_alu instid0(VALU_DEP_2) | instskip(SKIP_1) | instid1(VALU_DEP_3)
	v_sub_nc_u32_e32 v160, 0x78, v149
	v_cmp_gt_u32_e32 vcc_lo, 0x79, v149
	v_or_b32_e32 v161, 0x800000, v150
	s_delay_alu instid0(VALU_DEP_3) | instskip(SKIP_2) | instid1(VALU_DEP_3)
	v_cndmask_b32_e32 v160, 0, v160, vcc_lo
	v_cmp_eq_u32_e32 vcc_lo, 0, v149
	v_add_nc_u32_e32 v149, 0xffffff89, v149
	v_cndmask_b32_e64 v160, v160, 0x77, vcc_lo
	v_cndmask_b32_e32 v150, v161, v150, vcc_lo
	s_delay_alu instid0(VALU_DEP_3) | instskip(NEXT) | instid1(VALU_DEP_3)
	v_cndmask_b32_e64 v149, v149, 0xffffff8a, vcc_lo
	v_lshl_add_u32 v161, 0x100000, v160, -1
	s_delay_alu instid0(VALU_DEP_3) | instskip(SKIP_1) | instid1(VALU_DEP_4)
	v_lshrrev_b32_e32 v162, v160, v150
	v_lshlrev_b32_e64 v164, v160, 0x80000
	v_add_nc_u32_e32 v160, v160, v149
	s_delay_alu instid0(VALU_DEP_4) | instskip(NEXT) | instid1(VALU_DEP_4)
	v_and_b32_e32 v150, v161, v150
	v_bfe_u32 v163, v162, 20, 1
	s_delay_alu instid0(VALU_DEP_2) | instskip(NEXT) | instid1(VALU_DEP_2)
	v_cmp_eq_u32_e64 s14, v150, v164
	v_add_nc_u32_e32 v161, -1, v163
	s_delay_alu instid0(VALU_DEP_1) | instskip(SKIP_2) | instid1(VALU_DEP_2)
	v_cndmask_b32_e64 v150, 0, v161, s14
	v_lshrrev_b32_e32 v161, 23, v162
	s_mov_b32 s14, exec_lo
	v_add_nc_u32_e32 v150, v150, v162
	s_delay_alu instid0(VALU_DEP_2) | instskip(NEXT) | instid1(VALU_DEP_2)
	v_xor_b32_e32 v161, 1, v161
	v_and_b32_e32 v149, 0xfffff, v150
	s_delay_alu instid0(VALU_DEP_1) | instskip(NEXT) | instid1(VALU_DEP_3)
	v_add_nc_u32_e32 v150, v149, v162
                                        ; implicit-def: $vgpr149
	v_cmpx_ne_u32_e64 v160, v161
	s_xor_b32 s14, exec_lo, s14
; %bb.4694:                             ;   in Loop: Header=BB2_4380 Depth=3
	s_delay_alu instid0(VALU_DEP_2) | instskip(SKIP_2) | instid1(VALU_DEP_2)
	v_cmp_lt_u32_e32 vcc_lo, 0xffffff, v150
	v_sub_nc_u32_e32 v149, v160, v161
	v_cndmask_b32_e64 v160, 0, 1, vcc_lo
	v_add_co_ci_u32_e32 v149, vcc_lo, 0, v149, vcc_lo
	s_delay_alu instid0(VALU_DEP_2)
	v_lshrrev_b32_e32 v150, v160, v150
; %bb.4695:                             ;   in Loop: Header=BB2_4380 Depth=3
	s_and_not1_saveexec_b32 s14, s14
; %bb.4696:                             ;   in Loop: Header=BB2_4380 Depth=3
	s_delay_alu instid0(VALU_DEP_1)
	v_bfe_u32 v149, v150, 23, 1
; %bb.4697:                             ;   in Loop: Header=BB2_4380 Depth=3
	s_or_b32 exec_lo, exec_lo, s14
	v_lshrrev_b32_e32 v150, 20, v150
	s_delay_alu instid0(VALU_DEP_2) | instskip(SKIP_2) | instid1(VALU_DEP_2)
	v_cmp_gt_i32_e32 vcc_lo, 16, v149
	v_lshrrev_b32_e32 v151, 24, v151
	v_min_i32_e32 v160, 15, v149
	v_dual_cndmask_b32 v150, 7, v150 :: v_dual_and_b32 v151, 0x80, v151
	s_delay_alu instid0(VALU_DEP_1) | instskip(SKIP_1) | instid1(VALU_DEP_2)
	v_or_b32_e32 v149, v149, v150
	v_and_b32_e32 v161, 7, v150
	v_cmp_ne_u32_e32 vcc_lo, 0, v149
	v_lshlrev_b32_e32 v160, 3, v160
	s_delay_alu instid0(VALU_DEP_1) | instskip(NEXT) | instid1(VALU_DEP_1)
	v_or3_b32 v150, v160, v151, v161
	v_cndmask_b32_e32 v149, 0, v150, vcc_lo
.LBB2_4698:                             ;   in Loop: Header=BB2_4380 Depth=3
	s_or_b32 exec_lo, exec_lo, s34
.LBB2_4699:                             ;   in Loop: Header=BB2_4380 Depth=3
	s_delay_alu instid0(SALU_CYCLE_1)
	s_or_b32 exec_lo, exec_lo, s31
	v_lshrrev_b32_e32 v151, 24, v14
	v_lshrrev_b32_e32 v150, 24, v10
	s_and_b32 vcc_lo, exec_lo, s17
	s_cbranch_vccz .LBB2_4709
; %bb.4700:                             ;   in Loop: Header=BB2_4380 Depth=3
	s_mov_b32 s14, 0
	s_mov_b32 s34, exec_lo
                                        ; implicit-def: $sgpr31
	v_cmpx_lt_i16_e64 0x7f, v151
	s_xor_b32 s34, exec_lo, s34
	s_cbranch_execnz .LBB2_5018
; %bb.4701:                             ;   in Loop: Header=BB2_4380 Depth=3
	s_or_saveexec_b32 s34, s34
	v_mov_b32_e32 v160, s31
	s_xor_b32 exec_lo, exec_lo, s34
	s_cbranch_execnz .LBB2_5021
.LBB2_4702:                             ;   in Loop: Header=BB2_4380 Depth=3
	s_or_b32 exec_lo, exec_lo, s34
	s_and_saveexec_b32 s31, s14
	s_cbranch_execz .LBB2_4704
.LBB2_4703:                             ;   in Loop: Header=BB2_4380 Depth=3
	v_bfe_u32 v160, v14, 24, 3
	v_bfe_u32 v163, v14, 27, 4
	s_delay_alu instid0(VALU_DEP_2) | instskip(NEXT) | instid1(VALU_DEP_2)
	v_clz_i32_u32_e32 v161, v160
	v_cmp_eq_u32_e32 vcc_lo, 0, v163
	s_delay_alu instid0(VALU_DEP_2) | instskip(NEXT) | instid1(VALU_DEP_1)
	v_min_u32_e32 v161, 32, v161
	v_subrev_nc_u32_e32 v162, 28, v161
	v_sub_nc_u32_e32 v161, 29, v161
	s_delay_alu instid0(VALU_DEP_1) | instskip(NEXT) | instid1(VALU_DEP_1)
	v_dual_cndmask_b32 v161, v163, v161 :: v_dual_lshlrev_b32 v162, v162, v151
	v_and_b32_e32 v162, 7, v162
	s_delay_alu instid0(VALU_DEP_2) | instskip(NEXT) | instid1(VALU_DEP_2)
	v_lshl_add_u32 v161, v161, 23, 0x3b800000
	v_cndmask_b32_e32 v160, v160, v162, vcc_lo
	v_and_b32_e32 v162, 0x80000000, v14
	s_delay_alu instid0(VALU_DEP_2) | instskip(NEXT) | instid1(VALU_DEP_1)
	v_lshlrev_b32_e32 v160, 20, v160
	v_or3_b32 v160, v162, v161, v160
.LBB2_4704:                             ;   in Loop: Header=BB2_4380 Depth=3
	s_or_b32 exec_lo, exec_lo, s31
	s_mov_b32 s14, 0
	s_mov_b32 s34, exec_lo
                                        ; implicit-def: $sgpr31
	v_cmpx_lt_i16_e64 0x7f, v150
	s_xor_b32 s34, exec_lo, s34
	s_cbranch_execnz .LBB2_5022
; %bb.4705:                             ;   in Loop: Header=BB2_4380 Depth=3
	s_or_saveexec_b32 s34, s34
	v_mov_b32_e32 v161, s31
	s_xor_b32 exec_lo, exec_lo, s34
	s_cbranch_execnz .LBB2_5025
.LBB2_4706:                             ;   in Loop: Header=BB2_4380 Depth=3
	s_or_b32 exec_lo, exec_lo, s34
	s_and_saveexec_b32 s31, s14
	s_cbranch_execz .LBB2_4708
.LBB2_4707:                             ;   in Loop: Header=BB2_4380 Depth=3
	v_bfe_u32 v161, v10, 24, 3
	v_bfe_u32 v164, v10, 27, 4
	s_delay_alu instid0(VALU_DEP_2) | instskip(NEXT) | instid1(VALU_DEP_2)
	v_clz_i32_u32_e32 v162, v161
	v_cmp_eq_u32_e32 vcc_lo, 0, v164
	s_delay_alu instid0(VALU_DEP_2) | instskip(NEXT) | instid1(VALU_DEP_1)
	v_min_u32_e32 v162, 32, v162
	v_subrev_nc_u32_e32 v163, 28, v162
	v_sub_nc_u32_e32 v162, 29, v162
	s_delay_alu instid0(VALU_DEP_2) | instskip(NEXT) | instid1(VALU_DEP_1)
	v_lshlrev_b32_e32 v163, v163, v150
	v_dual_cndmask_b32 v162, v164, v162 :: v_dual_and_b32 v163, 7, v163
	s_delay_alu instid0(VALU_DEP_1) | instskip(NEXT) | instid1(VALU_DEP_2)
	v_lshl_add_u32 v162, v162, 23, 0x3b800000
	v_cndmask_b32_e32 v161, v161, v163, vcc_lo
	v_and_b32_e32 v163, 0x80000000, v10
	s_delay_alu instid0(VALU_DEP_2) | instskip(NEXT) | instid1(VALU_DEP_1)
	v_lshlrev_b32_e32 v161, 20, v161
	v_or3_b32 v161, v163, v162, v161
.LBB2_4708:                             ;   in Loop: Header=BB2_4380 Depth=3
	s_or_b32 exec_lo, exec_lo, s31
	s_delay_alu instid0(VALU_DEP_1) | instskip(SKIP_1) | instid1(VALU_DEP_1)
	v_dual_max_f32 v161, v161, v161 :: v_dual_max_f32 v160, v160, v160
	s_mov_b32 s14, 0
	v_max_f32_e32 v160, v160, v161
	s_branch .LBB2_4710
.LBB2_4709:                             ;   in Loop: Header=BB2_4380 Depth=3
	s_mov_b32 s14, -1
                                        ; implicit-def: $vgpr160
.LBB2_4710:                             ;   in Loop: Header=BB2_4380 Depth=3
	s_delay_alu instid0(SALU_CYCLE_1)
	s_and_b32 vcc_lo, exec_lo, s14
	s_cbranch_vccz .LBB2_4720
; %bb.4711:                             ;   in Loop: Header=BB2_4380 Depth=3
	s_mov_b32 s14, 0
	s_mov_b32 s34, exec_lo
                                        ; implicit-def: $sgpr31
	v_cmpx_lt_i16_e64 0x7f, v151
	s_xor_b32 s34, exec_lo, s34
	s_cbranch_execnz .LBB2_5026
; %bb.4712:                             ;   in Loop: Header=BB2_4380 Depth=3
	s_or_saveexec_b32 s34, s34
	v_mov_b32_e32 v160, s31
	s_xor_b32 exec_lo, exec_lo, s34
	s_cbranch_execnz .LBB2_5029
.LBB2_4713:                             ;   in Loop: Header=BB2_4380 Depth=3
	s_or_b32 exec_lo, exec_lo, s34
	s_and_saveexec_b32 s31, s14
	s_cbranch_execz .LBB2_4715
.LBB2_4714:                             ;   in Loop: Header=BB2_4380 Depth=3
	v_bfe_u32 v160, v14, 24, 3
	s_delay_alu instid0(VALU_DEP_1) | instskip(NEXT) | instid1(VALU_DEP_1)
	v_clz_i32_u32_e32 v161, v160
	v_min_u32_e32 v161, 32, v161
	s_delay_alu instid0(VALU_DEP_1) | instskip(SKIP_1) | instid1(VALU_DEP_2)
	v_subrev_nc_u32_e32 v162, 28, v161
	v_sub_nc_u32_e32 v161, 29, v161
	v_lshlrev_b32_e32 v151, v162, v151
	v_bfe_u32 v162, v14, 27, 4
	v_and_b32_e32 v14, 0x80000000, v14
	s_delay_alu instid0(VALU_DEP_3) | instskip(NEXT) | instid1(VALU_DEP_3)
	v_and_b32_e32 v151, 7, v151
	v_cmp_eq_u32_e32 vcc_lo, 0, v162
	v_cndmask_b32_e32 v161, v162, v161, vcc_lo
	s_delay_alu instid0(VALU_DEP_3) | instskip(NEXT) | instid1(VALU_DEP_2)
	v_cndmask_b32_e32 v151, v160, v151, vcc_lo
	v_lshl_add_u32 v160, v161, 23, 0x3b800000
	s_delay_alu instid0(VALU_DEP_2) | instskip(NEXT) | instid1(VALU_DEP_1)
	v_lshlrev_b32_e32 v151, 20, v151
	v_or3_b32 v160, v14, v160, v151
.LBB2_4715:                             ;   in Loop: Header=BB2_4380 Depth=3
	s_or_b32 exec_lo, exec_lo, s31
	s_mov_b32 s14, 0
	s_mov_b32 s34, exec_lo
                                        ; implicit-def: $sgpr31
	v_cmpx_lt_i16_e64 0x7f, v150
	s_xor_b32 s34, exec_lo, s34
	s_cbranch_execnz .LBB2_5030
; %bb.4716:                             ;   in Loop: Header=BB2_4380 Depth=3
	s_or_saveexec_b32 s34, s34
	v_mov_b32_e32 v14, s31
	s_xor_b32 exec_lo, exec_lo, s34
	s_cbranch_execnz .LBB2_5033
.LBB2_4717:                             ;   in Loop: Header=BB2_4380 Depth=3
	s_or_b32 exec_lo, exec_lo, s34
	s_and_saveexec_b32 s31, s14
	s_cbranch_execz .LBB2_4719
.LBB2_4718:                             ;   in Loop: Header=BB2_4380 Depth=3
	v_bfe_u32 v14, v10, 24, 3
	s_delay_alu instid0(VALU_DEP_1) | instskip(NEXT) | instid1(VALU_DEP_1)
	v_clz_i32_u32_e32 v151, v14
	v_min_u32_e32 v151, 32, v151
	s_delay_alu instid0(VALU_DEP_1) | instskip(SKIP_1) | instid1(VALU_DEP_2)
	v_subrev_nc_u32_e32 v161, 28, v151
	v_sub_nc_u32_e32 v151, 29, v151
	v_lshlrev_b32_e32 v150, v161, v150
	v_bfe_u32 v161, v10, 27, 4
	v_and_b32_e32 v10, 0x80000000, v10
	s_delay_alu instid0(VALU_DEP_2) | instskip(NEXT) | instid1(VALU_DEP_4)
	v_cmp_eq_u32_e32 vcc_lo, 0, v161
	v_dual_cndmask_b32 v151, v161, v151 :: v_dual_and_b32 v150, 7, v150
	s_delay_alu instid0(VALU_DEP_1) | instskip(NEXT) | instid1(VALU_DEP_2)
	v_cndmask_b32_e32 v14, v14, v150, vcc_lo
	v_lshl_add_u32 v150, v151, 23, 0x3b800000
	s_delay_alu instid0(VALU_DEP_2) | instskip(NEXT) | instid1(VALU_DEP_1)
	v_lshlrev_b32_e32 v14, 20, v14
	v_or3_b32 v14, v10, v150, v14
.LBB2_4719:                             ;   in Loop: Header=BB2_4380 Depth=3
	s_or_b32 exec_lo, exec_lo, s31
	s_delay_alu instid0(VALU_DEP_1) | instskip(SKIP_1) | instid1(VALU_DEP_1)
	v_max_f32_e32 v10, v14, v14
	v_max_f32_e32 v14, v160, v160
	v_min_f32_e32 v160, v14, v10
.LBB2_4720:                             ;   in Loop: Header=BB2_4380 Depth=3
	s_delay_alu instid0(VALU_DEP_1) | instskip(NEXT) | instid1(VALU_DEP_1)
	v_and_b32_e32 v10, 0x7f800000, v160
	v_cmp_ne_u32_e32 vcc_lo, 0x7f800000, v10
	v_mov_b32_e32 v10, 0x80
	s_and_saveexec_b32 s31, vcc_lo
	s_cbranch_execz .LBB2_4728
; %bb.4721:                             ;   in Loop: Header=BB2_4380 Depth=3
	v_mov_b32_e32 v10, 0
	s_mov_b32 s34, exec_lo
	v_cmpx_ne_u32_e32 0, v160
	s_cbranch_execz .LBB2_4727
; %bb.4722:                             ;   in Loop: Header=BB2_4380 Depth=3
	v_bfe_u32 v10, v160, 23, 8
	v_and_b32_e32 v14, 0x7fffff, v160
	s_delay_alu instid0(VALU_DEP_2) | instskip(SKIP_1) | instid1(VALU_DEP_3)
	v_sub_nc_u32_e32 v150, 0x78, v10
	v_cmp_gt_u32_e32 vcc_lo, 0x79, v10
	v_or_b32_e32 v151, 0x800000, v14
	s_delay_alu instid0(VALU_DEP_3) | instskip(SKIP_2) | instid1(VALU_DEP_3)
	v_cndmask_b32_e32 v150, 0, v150, vcc_lo
	v_cmp_eq_u32_e32 vcc_lo, 0, v10
	v_add_nc_u32_e32 v10, 0xffffff89, v10
	v_cndmask_b32_e64 v150, v150, 0x77, vcc_lo
	v_cndmask_b32_e32 v14, v151, v14, vcc_lo
	s_delay_alu instid0(VALU_DEP_3) | instskip(NEXT) | instid1(VALU_DEP_3)
	v_cndmask_b32_e64 v10, v10, 0xffffff8a, vcc_lo
	v_lshl_add_u32 v151, 0x100000, v150, -1
	s_delay_alu instid0(VALU_DEP_3) | instskip(SKIP_1) | instid1(VALU_DEP_4)
	v_lshrrev_b32_e32 v161, v150, v14
	v_lshlrev_b32_e64 v163, v150, 0x80000
	v_add_nc_u32_e32 v150, v150, v10
	s_delay_alu instid0(VALU_DEP_4) | instskip(NEXT) | instid1(VALU_DEP_4)
	v_and_b32_e32 v14, v151, v14
	v_bfe_u32 v162, v161, 20, 1
	s_delay_alu instid0(VALU_DEP_2) | instskip(NEXT) | instid1(VALU_DEP_2)
	v_cmp_eq_u32_e64 s14, v14, v163
	v_add_nc_u32_e32 v151, -1, v162
	s_delay_alu instid0(VALU_DEP_1) | instskip(SKIP_2) | instid1(VALU_DEP_2)
	v_cndmask_b32_e64 v14, 0, v151, s14
	v_lshrrev_b32_e32 v151, 23, v161
	s_mov_b32 s14, exec_lo
	v_add_nc_u32_e32 v14, v14, v161
	s_delay_alu instid0(VALU_DEP_2) | instskip(NEXT) | instid1(VALU_DEP_2)
	v_xor_b32_e32 v151, 1, v151
	v_and_b32_e32 v10, 0xfffff, v14
	s_delay_alu instid0(VALU_DEP_1) | instskip(NEXT) | instid1(VALU_DEP_3)
	v_add_nc_u32_e32 v14, v10, v161
                                        ; implicit-def: $vgpr10
	v_cmpx_ne_u32_e64 v150, v151
	s_xor_b32 s14, exec_lo, s14
; %bb.4723:                             ;   in Loop: Header=BB2_4380 Depth=3
	s_delay_alu instid0(VALU_DEP_2) | instskip(SKIP_2) | instid1(VALU_DEP_2)
	v_cmp_lt_u32_e32 vcc_lo, 0xffffff, v14
	v_sub_nc_u32_e32 v10, v150, v151
	v_cndmask_b32_e64 v150, 0, 1, vcc_lo
	v_add_co_ci_u32_e32 v10, vcc_lo, 0, v10, vcc_lo
	s_delay_alu instid0(VALU_DEP_2)
	v_lshrrev_b32_e32 v14, v150, v14
; %bb.4724:                             ;   in Loop: Header=BB2_4380 Depth=3
	s_and_not1_saveexec_b32 s14, s14
; %bb.4725:                             ;   in Loop: Header=BB2_4380 Depth=3
	s_delay_alu instid0(VALU_DEP_1)
	v_bfe_u32 v10, v14, 23, 1
; %bb.4726:                             ;   in Loop: Header=BB2_4380 Depth=3
	s_or_b32 exec_lo, exec_lo, s14
	v_lshrrev_b32_e32 v14, 20, v14
	s_delay_alu instid0(VALU_DEP_2) | instskip(SKIP_2) | instid1(VALU_DEP_4)
	v_cmp_gt_i32_e32 vcc_lo, 16, v10
	v_lshrrev_b32_e32 v150, 24, v160
	v_min_i32_e32 v151, 15, v10
	v_cndmask_b32_e32 v14, 7, v14, vcc_lo
	s_delay_alu instid0(VALU_DEP_3) | instskip(NEXT) | instid1(VALU_DEP_3)
	v_and_b32_e32 v150, 0x80, v150
	v_lshlrev_b32_e32 v151, 3, v151
	s_delay_alu instid0(VALU_DEP_3) | instskip(SKIP_1) | instid1(VALU_DEP_2)
	v_and_b32_e32 v160, 7, v14
	v_or_b32_e32 v10, v10, v14
	v_or3_b32 v14, v151, v150, v160
	s_delay_alu instid0(VALU_DEP_2) | instskip(NEXT) | instid1(VALU_DEP_2)
	v_cmp_ne_u32_e32 vcc_lo, 0, v10
	v_cndmask_b32_e32 v10, 0, v14, vcc_lo
.LBB2_4727:                             ;   in Loop: Header=BB2_4380 Depth=3
	s_or_b32 exec_lo, exec_lo, s34
.LBB2_4728:                             ;   in Loop: Header=BB2_4380 Depth=3
	s_delay_alu instid0(SALU_CYCLE_1) | instskip(NEXT) | instid1(SALU_CYCLE_1)
	s_or_b32 exec_lo, exec_lo, s31
	s_and_b32 vcc_lo, exec_lo, s17
	s_cbranch_vccz .LBB2_4738
; %bb.4729:                             ;   in Loop: Header=BB2_4380 Depth=3
	v_and_b32_e32 v150, 0xff, v15
	s_mov_b32 s14, 0
	s_mov_b32 s34, exec_lo
                                        ; implicit-def: $sgpr31
	s_delay_alu instid0(VALU_DEP_1)
	v_cmpx_lt_i16_e64 0x7f, v150
	s_xor_b32 s34, exec_lo, s34
	s_cbranch_execnz .LBB2_5034
; %bb.4730:                             ;   in Loop: Header=BB2_4380 Depth=3
	s_or_saveexec_b32 s34, s34
	v_mov_b32_e32 v14, s31
	s_xor_b32 exec_lo, exec_lo, s34
	s_cbranch_execnz .LBB2_5037
.LBB2_4731:                             ;   in Loop: Header=BB2_4380 Depth=3
	s_or_b32 exec_lo, exec_lo, s34
	s_and_saveexec_b32 s31, s14
	s_cbranch_execz .LBB2_4733
.LBB2_4732:                             ;   in Loop: Header=BB2_4380 Depth=3
	v_and_b32_e32 v14, 7, v15
	v_bfe_u32 v160, v15, 3, 4
	v_lshlrev_b32_e32 v161, 24, v15
	s_delay_alu instid0(VALU_DEP_3) | instskip(NEXT) | instid1(VALU_DEP_3)
	v_clz_i32_u32_e32 v150, v14
	v_cmp_eq_u32_e32 vcc_lo, 0, v160
	s_delay_alu instid0(VALU_DEP_2) | instskip(NEXT) | instid1(VALU_DEP_1)
	v_min_u32_e32 v150, 32, v150
	v_subrev_nc_u32_e32 v151, 28, v150
	v_sub_nc_u32_e32 v150, 29, v150
	s_delay_alu instid0(VALU_DEP_1) | instskip(NEXT) | instid1(VALU_DEP_1)
	v_dual_cndmask_b32 v150, v160, v150 :: v_dual_lshlrev_b32 v151, v151, v15
	v_and_b32_e32 v151, 7, v151
	s_delay_alu instid0(VALU_DEP_2) | instskip(NEXT) | instid1(VALU_DEP_2)
	v_lshl_add_u32 v150, v150, 23, 0x3b800000
	v_dual_cndmask_b32 v14, v14, v151 :: v_dual_and_b32 v151, 0x80000000, v161
	s_delay_alu instid0(VALU_DEP_1) | instskip(NEXT) | instid1(VALU_DEP_1)
	v_lshlrev_b32_e32 v14, 20, v14
	v_or3_b32 v14, v151, v150, v14
.LBB2_4733:                             ;   in Loop: Header=BB2_4380 Depth=3
	s_or_b32 exec_lo, exec_lo, s31
	v_and_b32_e32 v151, 0xff, v11
	s_mov_b32 s14, 0
	s_mov_b32 s34, exec_lo
                                        ; implicit-def: $sgpr31
	s_delay_alu instid0(VALU_DEP_1)
	v_cmpx_lt_i16_e64 0x7f, v151
	s_xor_b32 s34, exec_lo, s34
	s_cbranch_execnz .LBB2_5038
; %bb.4734:                             ;   in Loop: Header=BB2_4380 Depth=3
	s_or_saveexec_b32 s34, s34
	v_mov_b32_e32 v150, s31
	s_xor_b32 exec_lo, exec_lo, s34
	s_cbranch_execnz .LBB2_5041
.LBB2_4735:                             ;   in Loop: Header=BB2_4380 Depth=3
	s_or_b32 exec_lo, exec_lo, s34
	s_and_saveexec_b32 s31, s14
	s_cbranch_execz .LBB2_4737
.LBB2_4736:                             ;   in Loop: Header=BB2_4380 Depth=3
	v_and_b32_e32 v150, 7, v11
	v_bfe_u32 v161, v11, 3, 4
	v_lshlrev_b32_e32 v162, 24, v11
	s_delay_alu instid0(VALU_DEP_3) | instskip(NEXT) | instid1(VALU_DEP_3)
	v_clz_i32_u32_e32 v151, v150
	v_cmp_eq_u32_e32 vcc_lo, 0, v161
	s_delay_alu instid0(VALU_DEP_2) | instskip(NEXT) | instid1(VALU_DEP_1)
	v_min_u32_e32 v151, 32, v151
	v_subrev_nc_u32_e32 v160, 28, v151
	v_sub_nc_u32_e32 v151, 29, v151
	s_delay_alu instid0(VALU_DEP_2) | instskip(NEXT) | instid1(VALU_DEP_1)
	v_lshlrev_b32_e32 v160, v160, v11
	v_dual_cndmask_b32 v151, v161, v151 :: v_dual_and_b32 v160, 7, v160
	s_delay_alu instid0(VALU_DEP_1) | instskip(NEXT) | instid1(VALU_DEP_2)
	v_lshl_add_u32 v151, v151, 23, 0x3b800000
	v_cndmask_b32_e32 v150, v150, v160, vcc_lo
	v_and_b32_e32 v160, 0x80000000, v162
	s_delay_alu instid0(VALU_DEP_2) | instskip(NEXT) | instid1(VALU_DEP_1)
	v_lshlrev_b32_e32 v150, 20, v150
	v_or3_b32 v150, v160, v151, v150
.LBB2_4737:                             ;   in Loop: Header=BB2_4380 Depth=3
	s_or_b32 exec_lo, exec_lo, s31
	s_delay_alu instid0(VALU_DEP_1) | instskip(SKIP_2) | instid1(VALU_DEP_1)
	v_max_f32_e32 v150, v150, v150
	v_max_f32_e32 v14, v14, v14
	s_mov_b32 s14, 0
	v_max_f32_e32 v150, v14, v150
	s_branch .LBB2_4739
.LBB2_4738:                             ;   in Loop: Header=BB2_4380 Depth=3
	s_mov_b32 s14, -1
                                        ; implicit-def: $vgpr150
.LBB2_4739:                             ;   in Loop: Header=BB2_4380 Depth=3
	s_delay_alu instid0(SALU_CYCLE_1)
	s_and_b32 vcc_lo, exec_lo, s14
	s_cbranch_vccz .LBB2_4749
; %bb.4740:                             ;   in Loop: Header=BB2_4380 Depth=3
	v_and_b32_e32 v150, 0xff, v15
	s_mov_b32 s14, 0
	s_mov_b32 s34, exec_lo
                                        ; implicit-def: $sgpr31
	s_delay_alu instid0(VALU_DEP_1)
	v_cmpx_lt_i16_e64 0x7f, v150
	s_xor_b32 s34, exec_lo, s34
	s_cbranch_execnz .LBB2_5042
; %bb.4741:                             ;   in Loop: Header=BB2_4380 Depth=3
	s_or_saveexec_b32 s34, s34
	v_mov_b32_e32 v14, s31
	s_xor_b32 exec_lo, exec_lo, s34
	s_cbranch_execnz .LBB2_5045
.LBB2_4742:                             ;   in Loop: Header=BB2_4380 Depth=3
	s_or_b32 exec_lo, exec_lo, s34
	s_and_saveexec_b32 s31, s14
	s_cbranch_execz .LBB2_4744
.LBB2_4743:                             ;   in Loop: Header=BB2_4380 Depth=3
	v_and_b32_e32 v14, 7, v15
	v_bfe_u32 v160, v15, 3, 4
	v_lshlrev_b32_e32 v161, 24, v15
	s_delay_alu instid0(VALU_DEP_3) | instskip(NEXT) | instid1(VALU_DEP_3)
	v_clz_i32_u32_e32 v150, v14
	v_cmp_eq_u32_e32 vcc_lo, 0, v160
	s_delay_alu instid0(VALU_DEP_2) | instskip(NEXT) | instid1(VALU_DEP_1)
	v_min_u32_e32 v150, 32, v150
	v_subrev_nc_u32_e32 v151, 28, v150
	v_sub_nc_u32_e32 v150, 29, v150
	s_delay_alu instid0(VALU_DEP_1) | instskip(NEXT) | instid1(VALU_DEP_1)
	v_dual_cndmask_b32 v150, v160, v150 :: v_dual_lshlrev_b32 v151, v151, v15
	v_and_b32_e32 v151, 7, v151
	s_delay_alu instid0(VALU_DEP_2) | instskip(NEXT) | instid1(VALU_DEP_2)
	v_lshl_add_u32 v150, v150, 23, 0x3b800000
	v_dual_cndmask_b32 v14, v14, v151 :: v_dual_and_b32 v151, 0x80000000, v161
	s_delay_alu instid0(VALU_DEP_1) | instskip(NEXT) | instid1(VALU_DEP_1)
	v_lshlrev_b32_e32 v14, 20, v14
	v_or3_b32 v14, v151, v150, v14
.LBB2_4744:                             ;   in Loop: Header=BB2_4380 Depth=3
	s_or_b32 exec_lo, exec_lo, s31
	v_and_b32_e32 v151, 0xff, v11
	s_mov_b32 s14, 0
	s_mov_b32 s34, exec_lo
                                        ; implicit-def: $sgpr31
	s_delay_alu instid0(VALU_DEP_1)
	v_cmpx_lt_i16_e64 0x7f, v151
	s_xor_b32 s34, exec_lo, s34
	s_cbranch_execnz .LBB2_5046
; %bb.4745:                             ;   in Loop: Header=BB2_4380 Depth=3
	s_or_saveexec_b32 s34, s34
	v_mov_b32_e32 v150, s31
	s_xor_b32 exec_lo, exec_lo, s34
	s_cbranch_execnz .LBB2_5049
.LBB2_4746:                             ;   in Loop: Header=BB2_4380 Depth=3
	s_or_b32 exec_lo, exec_lo, s34
	s_and_saveexec_b32 s31, s14
	s_cbranch_execz .LBB2_4748
.LBB2_4747:                             ;   in Loop: Header=BB2_4380 Depth=3
	v_and_b32_e32 v150, 7, v11
	v_bfe_u32 v161, v11, 3, 4
	v_lshlrev_b32_e32 v162, 24, v11
	s_delay_alu instid0(VALU_DEP_3) | instskip(NEXT) | instid1(VALU_DEP_3)
	v_clz_i32_u32_e32 v151, v150
	v_cmp_eq_u32_e32 vcc_lo, 0, v161
	s_delay_alu instid0(VALU_DEP_2) | instskip(NEXT) | instid1(VALU_DEP_1)
	v_min_u32_e32 v151, 32, v151
	v_subrev_nc_u32_e32 v160, 28, v151
	v_sub_nc_u32_e32 v151, 29, v151
	s_delay_alu instid0(VALU_DEP_2) | instskip(NEXT) | instid1(VALU_DEP_1)
	v_lshlrev_b32_e32 v160, v160, v11
	v_dual_cndmask_b32 v151, v161, v151 :: v_dual_and_b32 v160, 7, v160
	s_delay_alu instid0(VALU_DEP_1) | instskip(NEXT) | instid1(VALU_DEP_2)
	v_lshl_add_u32 v151, v151, 23, 0x3b800000
	v_cndmask_b32_e32 v150, v150, v160, vcc_lo
	v_and_b32_e32 v160, 0x80000000, v162
	s_delay_alu instid0(VALU_DEP_2) | instskip(NEXT) | instid1(VALU_DEP_1)
	v_lshlrev_b32_e32 v150, 20, v150
	v_or3_b32 v150, v160, v151, v150
.LBB2_4748:                             ;   in Loop: Header=BB2_4380 Depth=3
	s_or_b32 exec_lo, exec_lo, s31
	s_delay_alu instid0(VALU_DEP_1) | instskip(SKIP_1) | instid1(VALU_DEP_1)
	v_max_f32_e32 v150, v150, v150
	v_max_f32_e32 v14, v14, v14
	v_min_f32_e32 v150, v14, v150
.LBB2_4749:                             ;   in Loop: Header=BB2_4380 Depth=3
	s_delay_alu instid0(VALU_DEP_1) | instskip(NEXT) | instid1(VALU_DEP_1)
	v_and_b32_e32 v14, 0x7f800000, v150
	v_cmp_ne_u32_e32 vcc_lo, 0x7f800000, v14
	v_mov_b32_e32 v14, 0x80
	s_and_saveexec_b32 s31, vcc_lo
	s_cbranch_execz .LBB2_4757
; %bb.4750:                             ;   in Loop: Header=BB2_4380 Depth=3
	v_mov_b32_e32 v14, 0
	s_mov_b32 s34, exec_lo
	v_cmpx_ne_u32_e32 0, v150
	s_cbranch_execz .LBB2_4756
; %bb.4751:                             ;   in Loop: Header=BB2_4380 Depth=3
	v_bfe_u32 v14, v150, 23, 8
	s_delay_alu instid0(VALU_DEP_1) | instskip(SKIP_1) | instid1(VALU_DEP_2)
	v_sub_nc_u32_e32 v160, 0x78, v14
	v_cmp_gt_u32_e32 vcc_lo, 0x79, v14
	v_dual_cndmask_b32 v160, 0, v160 :: v_dual_and_b32 v151, 0x7fffff, v150
	s_delay_alu instid0(VALU_DEP_1) | instskip(SKIP_2) | instid1(VALU_DEP_4)
	v_or_b32_e32 v161, 0x800000, v151
	v_cmp_eq_u32_e32 vcc_lo, 0, v14
	v_add_nc_u32_e32 v14, 0xffffff89, v14
	v_cndmask_b32_e64 v160, v160, 0x77, vcc_lo
	s_delay_alu instid0(VALU_DEP_4) | instskip(NEXT) | instid1(VALU_DEP_3)
	v_cndmask_b32_e32 v151, v161, v151, vcc_lo
	v_cndmask_b32_e64 v14, v14, 0xffffff8a, vcc_lo
	s_delay_alu instid0(VALU_DEP_3) | instskip(NEXT) | instid1(VALU_DEP_3)
	v_lshl_add_u32 v161, 0x100000, v160, -1
	v_lshrrev_b32_e32 v162, v160, v151
	v_lshlrev_b32_e64 v164, v160, 0x80000
	s_delay_alu instid0(VALU_DEP_4) | instskip(NEXT) | instid1(VALU_DEP_4)
	v_add_nc_u32_e32 v160, v160, v14
	v_and_b32_e32 v151, v161, v151
	s_delay_alu instid0(VALU_DEP_4) | instskip(NEXT) | instid1(VALU_DEP_2)
	v_bfe_u32 v163, v162, 20, 1
	v_cmp_eq_u32_e64 s14, v151, v164
	s_delay_alu instid0(VALU_DEP_2) | instskip(NEXT) | instid1(VALU_DEP_1)
	v_add_nc_u32_e32 v161, -1, v163
	v_cndmask_b32_e64 v151, 0, v161, s14
	v_lshrrev_b32_e32 v161, 23, v162
	s_mov_b32 s14, exec_lo
	s_delay_alu instid0(VALU_DEP_2) | instskip(NEXT) | instid1(VALU_DEP_2)
	v_add_nc_u32_e32 v151, v151, v162
	v_xor_b32_e32 v161, 1, v161
	s_delay_alu instid0(VALU_DEP_2) | instskip(NEXT) | instid1(VALU_DEP_1)
	v_and_b32_e32 v14, 0xfffff, v151
	v_add_nc_u32_e32 v151, v14, v162
                                        ; implicit-def: $vgpr14
	s_delay_alu instid0(VALU_DEP_3)
	v_cmpx_ne_u32_e64 v160, v161
	s_xor_b32 s14, exec_lo, s14
; %bb.4752:                             ;   in Loop: Header=BB2_4380 Depth=3
	s_delay_alu instid0(VALU_DEP_2) | instskip(SKIP_2) | instid1(VALU_DEP_2)
	v_cmp_lt_u32_e32 vcc_lo, 0xffffff, v151
	v_sub_nc_u32_e32 v14, v160, v161
	v_cndmask_b32_e64 v160, 0, 1, vcc_lo
	v_add_co_ci_u32_e32 v14, vcc_lo, 0, v14, vcc_lo
	s_delay_alu instid0(VALU_DEP_2)
	v_lshrrev_b32_e32 v151, v160, v151
; %bb.4753:                             ;   in Loop: Header=BB2_4380 Depth=3
	s_and_not1_saveexec_b32 s14, s14
; %bb.4754:                             ;   in Loop: Header=BB2_4380 Depth=3
	s_delay_alu instid0(VALU_DEP_1)
	v_bfe_u32 v14, v151, 23, 1
; %bb.4755:                             ;   in Loop: Header=BB2_4380 Depth=3
	s_or_b32 exec_lo, exec_lo, s14
	v_lshrrev_b32_e32 v151, 20, v151
	s_delay_alu instid0(VALU_DEP_2) | instskip(SKIP_2) | instid1(VALU_DEP_2)
	v_cmp_gt_i32_e32 vcc_lo, 16, v14
	v_lshrrev_b32_e32 v150, 24, v150
	v_min_i32_e32 v160, 15, v14
	v_dual_cndmask_b32 v151, 7, v151 :: v_dual_and_b32 v150, 0x80, v150
	s_delay_alu instid0(VALU_DEP_2) | instskip(NEXT) | instid1(VALU_DEP_2)
	v_lshlrev_b32_e32 v160, 3, v160
	v_or_b32_e32 v14, v14, v151
	s_delay_alu instid0(VALU_DEP_1) | instskip(SKIP_1) | instid1(VALU_DEP_1)
	v_cmp_ne_u32_e32 vcc_lo, 0, v14
	v_and_b32_e32 v161, 7, v151
	v_or3_b32 v150, v160, v150, v161
	s_delay_alu instid0(VALU_DEP_1)
	v_cndmask_b32_e32 v14, 0, v150, vcc_lo
.LBB2_4756:                             ;   in Loop: Header=BB2_4380 Depth=3
	s_or_b32 exec_lo, exec_lo, s34
.LBB2_4757:                             ;   in Loop: Header=BB2_4380 Depth=3
	s_delay_alu instid0(SALU_CYCLE_1)
	s_or_b32 exec_lo, exec_lo, s31
	v_lshrrev_b16 v151, 8, v15
	v_lshrrev_b16 v150, 8, v11
	s_and_b32 vcc_lo, exec_lo, s17
	s_cbranch_vccz .LBB2_4767
; %bb.4758:                             ;   in Loop: Header=BB2_4380 Depth=3
	s_mov_b32 s14, 0
	s_mov_b32 s34, exec_lo
                                        ; implicit-def: $sgpr31
	v_cmpx_lt_i16_e64 0x7f, v151
	s_xor_b32 s34, exec_lo, s34
	s_cbranch_execnz .LBB2_5050
; %bb.4759:                             ;   in Loop: Header=BB2_4380 Depth=3
	s_or_saveexec_b32 s34, s34
	v_mov_b32_e32 v160, s31
	s_xor_b32 exec_lo, exec_lo, s34
	s_cbranch_execnz .LBB2_5053
.LBB2_4760:                             ;   in Loop: Header=BB2_4380 Depth=3
	s_or_b32 exec_lo, exec_lo, s34
	s_and_saveexec_b32 s31, s14
	s_cbranch_execz .LBB2_4762
.LBB2_4761:                             ;   in Loop: Header=BB2_4380 Depth=3
	v_and_b32_e32 v160, 0xffff, v151
	v_lshlrev_b32_e32 v164, 16, v15
	s_delay_alu instid0(VALU_DEP_2) | instskip(NEXT) | instid1(VALU_DEP_1)
	v_and_b32_e32 v161, 7, v160
	v_clz_i32_u32_e32 v162, v161
	s_delay_alu instid0(VALU_DEP_1) | instskip(NEXT) | instid1(VALU_DEP_1)
	v_min_u32_e32 v162, 32, v162
	v_subrev_nc_u32_e32 v163, 28, v162
	v_sub_nc_u32_e32 v162, 29, v162
	s_delay_alu instid0(VALU_DEP_2) | instskip(SKIP_1) | instid1(VALU_DEP_2)
	v_lshlrev_b32_e32 v163, v163, v160
	v_bfe_u32 v160, v160, 3, 4
	v_and_b32_e32 v163, 7, v163
	s_delay_alu instid0(VALU_DEP_2) | instskip(NEXT) | instid1(VALU_DEP_2)
	v_cmp_eq_u32_e32 vcc_lo, 0, v160
	v_dual_cndmask_b32 v160, v160, v162 :: v_dual_cndmask_b32 v161, v161, v163
	v_and_b32_e32 v162, 0x80000000, v164
	s_delay_alu instid0(VALU_DEP_2) | instskip(NEXT) | instid1(VALU_DEP_3)
	v_lshl_add_u32 v160, v160, 23, 0x3b800000
	v_lshlrev_b32_e32 v161, 20, v161
	s_delay_alu instid0(VALU_DEP_1)
	v_or3_b32 v160, v162, v160, v161
.LBB2_4762:                             ;   in Loop: Header=BB2_4380 Depth=3
	s_or_b32 exec_lo, exec_lo, s31
	s_mov_b32 s14, 0
	s_mov_b32 s34, exec_lo
                                        ; implicit-def: $sgpr31
	v_cmpx_lt_i16_e64 0x7f, v150
	s_xor_b32 s34, exec_lo, s34
	s_cbranch_execnz .LBB2_5054
; %bb.4763:                             ;   in Loop: Header=BB2_4380 Depth=3
	s_or_saveexec_b32 s34, s34
	v_mov_b32_e32 v161, s31
	s_xor_b32 exec_lo, exec_lo, s34
	s_cbranch_execnz .LBB2_5057
.LBB2_4764:                             ;   in Loop: Header=BB2_4380 Depth=3
	s_or_b32 exec_lo, exec_lo, s34
	s_and_saveexec_b32 s31, s14
	s_cbranch_execz .LBB2_4766
.LBB2_4765:                             ;   in Loop: Header=BB2_4380 Depth=3
	v_and_b32_e32 v161, 0xffff, v150
	v_lshlrev_b32_e32 v165, 16, v11
	s_delay_alu instid0(VALU_DEP_2) | instskip(NEXT) | instid1(VALU_DEP_1)
	v_and_b32_e32 v162, 7, v161
	v_clz_i32_u32_e32 v163, v162
	s_delay_alu instid0(VALU_DEP_1) | instskip(NEXT) | instid1(VALU_DEP_1)
	v_min_u32_e32 v163, 32, v163
	v_subrev_nc_u32_e32 v164, 28, v163
	v_sub_nc_u32_e32 v163, 29, v163
	s_delay_alu instid0(VALU_DEP_2) | instskip(SKIP_1) | instid1(VALU_DEP_2)
	v_lshlrev_b32_e32 v164, v164, v161
	v_bfe_u32 v161, v161, 3, 4
	v_and_b32_e32 v164, 7, v164
	s_delay_alu instid0(VALU_DEP_2) | instskip(NEXT) | instid1(VALU_DEP_2)
	v_cmp_eq_u32_e32 vcc_lo, 0, v161
	v_dual_cndmask_b32 v161, v161, v163 :: v_dual_cndmask_b32 v162, v162, v164
	v_and_b32_e32 v163, 0x80000000, v165
	s_delay_alu instid0(VALU_DEP_2) | instskip(NEXT) | instid1(VALU_DEP_3)
	v_lshl_add_u32 v161, v161, 23, 0x3b800000
	v_lshlrev_b32_e32 v162, 20, v162
	s_delay_alu instid0(VALU_DEP_1)
	v_or3_b32 v161, v163, v161, v162
.LBB2_4766:                             ;   in Loop: Header=BB2_4380 Depth=3
	s_or_b32 exec_lo, exec_lo, s31
	s_delay_alu instid0(VALU_DEP_1) | instskip(SKIP_1) | instid1(VALU_DEP_1)
	v_dual_max_f32 v161, v161, v161 :: v_dual_max_f32 v160, v160, v160
	s_mov_b32 s14, 0
	v_max_f32_e32 v160, v160, v161
	s_branch .LBB2_4768
.LBB2_4767:                             ;   in Loop: Header=BB2_4380 Depth=3
	s_mov_b32 s14, -1
                                        ; implicit-def: $vgpr160
.LBB2_4768:                             ;   in Loop: Header=BB2_4380 Depth=3
	s_delay_alu instid0(SALU_CYCLE_1)
	s_and_b32 vcc_lo, exec_lo, s14
	s_cbranch_vccz .LBB2_4778
; %bb.4769:                             ;   in Loop: Header=BB2_4380 Depth=3
	s_mov_b32 s14, 0
	s_mov_b32 s34, exec_lo
                                        ; implicit-def: $sgpr31
	v_cmpx_lt_i16_e64 0x7f, v151
	s_xor_b32 s34, exec_lo, s34
	s_cbranch_execnz .LBB2_5058
; %bb.4770:                             ;   in Loop: Header=BB2_4380 Depth=3
	s_or_saveexec_b32 s34, s34
	v_mov_b32_e32 v160, s31
	s_xor_b32 exec_lo, exec_lo, s34
	s_cbranch_execnz .LBB2_5061
.LBB2_4771:                             ;   in Loop: Header=BB2_4380 Depth=3
	s_or_b32 exec_lo, exec_lo, s34
	s_and_saveexec_b32 s31, s14
	s_cbranch_execz .LBB2_4773
.LBB2_4772:                             ;   in Loop: Header=BB2_4380 Depth=3
	v_and_b32_e32 v151, 0xffff, v151
	v_lshlrev_b32_e32 v163, 16, v15
	s_delay_alu instid0(VALU_DEP_2) | instskip(NEXT) | instid1(VALU_DEP_1)
	v_and_b32_e32 v160, 7, v151
	v_clz_i32_u32_e32 v161, v160
	s_delay_alu instid0(VALU_DEP_1) | instskip(NEXT) | instid1(VALU_DEP_1)
	v_min_u32_e32 v161, 32, v161
	v_subrev_nc_u32_e32 v162, 28, v161
	v_sub_nc_u32_e32 v161, 29, v161
	s_delay_alu instid0(VALU_DEP_2) | instskip(SKIP_1) | instid1(VALU_DEP_2)
	v_lshlrev_b32_e32 v162, v162, v151
	v_bfe_u32 v151, v151, 3, 4
	v_and_b32_e32 v162, 7, v162
	s_delay_alu instid0(VALU_DEP_2) | instskip(NEXT) | instid1(VALU_DEP_2)
	v_cmp_eq_u32_e32 vcc_lo, 0, v151
	v_dual_cndmask_b32 v151, v151, v161 :: v_dual_cndmask_b32 v160, v160, v162
	v_and_b32_e32 v161, 0x80000000, v163
	s_delay_alu instid0(VALU_DEP_2) | instskip(NEXT) | instid1(VALU_DEP_3)
	v_lshl_add_u32 v151, v151, 23, 0x3b800000
	v_lshlrev_b32_e32 v160, 20, v160
	s_delay_alu instid0(VALU_DEP_1)
	v_or3_b32 v160, v161, v151, v160
.LBB2_4773:                             ;   in Loop: Header=BB2_4380 Depth=3
	s_or_b32 exec_lo, exec_lo, s31
	s_mov_b32 s14, 0
	s_mov_b32 s34, exec_lo
                                        ; implicit-def: $sgpr31
	v_cmpx_lt_i16_e64 0x7f, v150
	s_xor_b32 s34, exec_lo, s34
	s_cbranch_execnz .LBB2_5062
; %bb.4774:                             ;   in Loop: Header=BB2_4380 Depth=3
	s_or_saveexec_b32 s34, s34
	v_mov_b32_e32 v151, s31
	s_xor_b32 exec_lo, exec_lo, s34
	s_cbranch_execnz .LBB2_5065
.LBB2_4775:                             ;   in Loop: Header=BB2_4380 Depth=3
	s_or_b32 exec_lo, exec_lo, s34
	s_and_saveexec_b32 s31, s14
	s_cbranch_execz .LBB2_4777
.LBB2_4776:                             ;   in Loop: Header=BB2_4380 Depth=3
	v_and_b32_e32 v150, 0xffff, v150
	v_lshlrev_b32_e32 v163, 16, v11
	s_delay_alu instid0(VALU_DEP_2) | instskip(NEXT) | instid1(VALU_DEP_1)
	v_and_b32_e32 v151, 7, v150
	v_clz_i32_u32_e32 v161, v151
	s_delay_alu instid0(VALU_DEP_1) | instskip(NEXT) | instid1(VALU_DEP_1)
	v_min_u32_e32 v161, 32, v161
	v_subrev_nc_u32_e32 v162, 28, v161
	v_sub_nc_u32_e32 v161, 29, v161
	s_delay_alu instid0(VALU_DEP_2) | instskip(SKIP_1) | instid1(VALU_DEP_2)
	v_lshlrev_b32_e32 v162, v162, v150
	v_bfe_u32 v150, v150, 3, 4
	v_and_b32_e32 v162, 7, v162
	s_delay_alu instid0(VALU_DEP_2) | instskip(NEXT) | instid1(VALU_DEP_2)
	v_cmp_eq_u32_e32 vcc_lo, 0, v150
	v_dual_cndmask_b32 v150, v150, v161 :: v_dual_cndmask_b32 v151, v151, v162
	v_and_b32_e32 v161, 0x80000000, v163
	s_delay_alu instid0(VALU_DEP_2) | instskip(NEXT) | instid1(VALU_DEP_3)
	v_lshl_add_u32 v150, v150, 23, 0x3b800000
	v_lshlrev_b32_e32 v151, 20, v151
	s_delay_alu instid0(VALU_DEP_1)
	v_or3_b32 v151, v161, v150, v151
.LBB2_4777:                             ;   in Loop: Header=BB2_4380 Depth=3
	s_or_b32 exec_lo, exec_lo, s31
	s_delay_alu instid0(VALU_DEP_1) | instskip(NEXT) | instid1(VALU_DEP_1)
	v_dual_max_f32 v150, v151, v151 :: v_dual_max_f32 v151, v160, v160
	v_min_f32_e32 v160, v151, v150
.LBB2_4778:                             ;   in Loop: Header=BB2_4380 Depth=3
	s_delay_alu instid0(VALU_DEP_1) | instskip(NEXT) | instid1(VALU_DEP_1)
	v_and_b32_e32 v150, 0x7f800000, v160
	v_cmp_ne_u32_e32 vcc_lo, 0x7f800000, v150
	v_mov_b32_e32 v150, 0x80
	s_and_saveexec_b32 s31, vcc_lo
	s_cbranch_execz .LBB2_4786
; %bb.4779:                             ;   in Loop: Header=BB2_4380 Depth=3
	v_mov_b32_e32 v150, 0
	s_mov_b32 s34, exec_lo
	v_cmpx_ne_u32_e32 0, v160
	s_cbranch_execz .LBB2_4785
; %bb.4780:                             ;   in Loop: Header=BB2_4380 Depth=3
	v_bfe_u32 v150, v160, 23, 8
	v_and_b32_e32 v151, 0x7fffff, v160
	s_delay_alu instid0(VALU_DEP_2) | instskip(SKIP_1) | instid1(VALU_DEP_3)
	v_sub_nc_u32_e32 v161, 0x78, v150
	v_cmp_gt_u32_e32 vcc_lo, 0x79, v150
	v_or_b32_e32 v162, 0x800000, v151
	s_delay_alu instid0(VALU_DEP_3) | instskip(SKIP_2) | instid1(VALU_DEP_3)
	v_cndmask_b32_e32 v161, 0, v161, vcc_lo
	v_cmp_eq_u32_e32 vcc_lo, 0, v150
	v_add_nc_u32_e32 v150, 0xffffff89, v150
	v_cndmask_b32_e64 v161, v161, 0x77, vcc_lo
	v_cndmask_b32_e32 v151, v162, v151, vcc_lo
	s_delay_alu instid0(VALU_DEP_3) | instskip(NEXT) | instid1(VALU_DEP_3)
	v_cndmask_b32_e64 v150, v150, 0xffffff8a, vcc_lo
	v_lshl_add_u32 v162, 0x100000, v161, -1
	s_delay_alu instid0(VALU_DEP_3) | instskip(SKIP_1) | instid1(VALU_DEP_4)
	v_lshrrev_b32_e32 v163, v161, v151
	v_lshlrev_b32_e64 v165, v161, 0x80000
	v_add_nc_u32_e32 v161, v161, v150
	s_delay_alu instid0(VALU_DEP_4) | instskip(NEXT) | instid1(VALU_DEP_4)
	v_and_b32_e32 v151, v162, v151
	v_bfe_u32 v164, v163, 20, 1
	s_delay_alu instid0(VALU_DEP_2) | instskip(NEXT) | instid1(VALU_DEP_2)
	v_cmp_eq_u32_e64 s14, v151, v165
	v_add_nc_u32_e32 v162, -1, v164
	s_delay_alu instid0(VALU_DEP_1) | instskip(SKIP_2) | instid1(VALU_DEP_2)
	v_cndmask_b32_e64 v151, 0, v162, s14
	v_lshrrev_b32_e32 v162, 23, v163
	s_mov_b32 s14, exec_lo
	v_add_nc_u32_e32 v151, v151, v163
	s_delay_alu instid0(VALU_DEP_2) | instskip(NEXT) | instid1(VALU_DEP_2)
	v_xor_b32_e32 v162, 1, v162
	v_and_b32_e32 v150, 0xfffff, v151
	s_delay_alu instid0(VALU_DEP_1) | instskip(NEXT) | instid1(VALU_DEP_3)
	v_add_nc_u32_e32 v151, v150, v163
                                        ; implicit-def: $vgpr150
	v_cmpx_ne_u32_e64 v161, v162
	s_xor_b32 s14, exec_lo, s14
; %bb.4781:                             ;   in Loop: Header=BB2_4380 Depth=3
	s_delay_alu instid0(VALU_DEP_2) | instskip(SKIP_2) | instid1(VALU_DEP_2)
	v_cmp_lt_u32_e32 vcc_lo, 0xffffff, v151
	v_sub_nc_u32_e32 v150, v161, v162
	v_cndmask_b32_e64 v161, 0, 1, vcc_lo
	v_add_co_ci_u32_e32 v150, vcc_lo, 0, v150, vcc_lo
	s_delay_alu instid0(VALU_DEP_2)
	v_lshrrev_b32_e32 v151, v161, v151
; %bb.4782:                             ;   in Loop: Header=BB2_4380 Depth=3
	s_and_not1_saveexec_b32 s14, s14
; %bb.4783:                             ;   in Loop: Header=BB2_4380 Depth=3
	s_delay_alu instid0(VALU_DEP_1)
	v_bfe_u32 v150, v151, 23, 1
; %bb.4784:                             ;   in Loop: Header=BB2_4380 Depth=3
	s_or_b32 exec_lo, exec_lo, s14
	v_lshrrev_b32_e32 v151, 20, v151
	s_delay_alu instid0(VALU_DEP_2) | instskip(SKIP_2) | instid1(VALU_DEP_2)
	v_cmp_gt_i32_e32 vcc_lo, 16, v150
	v_lshrrev_b32_e32 v160, 24, v160
	v_min_i32_e32 v161, 15, v150
	v_dual_cndmask_b32 v151, 7, v151 :: v_dual_and_b32 v160, 0x80, v160
	s_delay_alu instid0(VALU_DEP_1) | instskip(SKIP_1) | instid1(VALU_DEP_2)
	v_or_b32_e32 v150, v150, v151
	v_and_b32_e32 v162, 7, v151
	v_cmp_ne_u32_e32 vcc_lo, 0, v150
	v_lshlrev_b32_e32 v161, 3, v161
	s_delay_alu instid0(VALU_DEP_1) | instskip(NEXT) | instid1(VALU_DEP_1)
	v_or3_b32 v151, v161, v160, v162
	v_cndmask_b32_e32 v150, 0, v151, vcc_lo
.LBB2_4785:                             ;   in Loop: Header=BB2_4380 Depth=3
	s_or_b32 exec_lo, exec_lo, s34
.LBB2_4786:                             ;   in Loop: Header=BB2_4380 Depth=3
	s_delay_alu instid0(SALU_CYCLE_1)
	s_or_b32 exec_lo, exec_lo, s31
	v_lshrrev_b32_e32 v160, 16, v15
	v_lshrrev_b32_e32 v151, 16, v11
	s_and_b32 vcc_lo, exec_lo, s17
	s_cbranch_vccz .LBB2_4796
; %bb.4787:                             ;   in Loop: Header=BB2_4380 Depth=3
	s_delay_alu instid0(VALU_DEP_2) | instskip(SKIP_2) | instid1(VALU_DEP_1)
	v_and_b32_e32 v162, 0xff, v160
	s_mov_b32 s14, 0
	s_mov_b32 s34, exec_lo
                                        ; implicit-def: $sgpr31
	v_cmpx_lt_i16_e64 0x7f, v162
	s_xor_b32 s34, exec_lo, s34
	s_cbranch_execnz .LBB2_5066
; %bb.4788:                             ;   in Loop: Header=BB2_4380 Depth=3
	s_or_saveexec_b32 s34, s34
	v_mov_b32_e32 v161, s31
	s_xor_b32 exec_lo, exec_lo, s34
	s_cbranch_execnz .LBB2_5069
.LBB2_4789:                             ;   in Loop: Header=BB2_4380 Depth=3
	s_or_b32 exec_lo, exec_lo, s34
	s_and_saveexec_b32 s31, s14
	s_cbranch_execz .LBB2_4791
.LBB2_4790:                             ;   in Loop: Header=BB2_4380 Depth=3
	v_bfe_u32 v161, v15, 16, 3
	v_bfe_u32 v164, v15, 19, 4
	v_lshlrev_b32_e32 v165, 24, v160
	s_delay_alu instid0(VALU_DEP_3) | instskip(NEXT) | instid1(VALU_DEP_3)
	v_clz_i32_u32_e32 v162, v161
	v_cmp_eq_u32_e32 vcc_lo, 0, v164
	s_delay_alu instid0(VALU_DEP_2) | instskip(NEXT) | instid1(VALU_DEP_1)
	v_min_u32_e32 v162, 32, v162
	v_subrev_nc_u32_e32 v163, 28, v162
	v_sub_nc_u32_e32 v162, 29, v162
	s_delay_alu instid0(VALU_DEP_1) | instskip(NEXT) | instid1(VALU_DEP_1)
	v_dual_cndmask_b32 v162, v164, v162 :: v_dual_lshlrev_b32 v163, v163, v160
	v_and_b32_e32 v163, 7, v163
	s_delay_alu instid0(VALU_DEP_2) | instskip(NEXT) | instid1(VALU_DEP_2)
	v_lshl_add_u32 v162, v162, 23, 0x3b800000
	v_cndmask_b32_e32 v161, v161, v163, vcc_lo
	v_and_b32_e32 v163, 0x80000000, v165
	s_delay_alu instid0(VALU_DEP_2) | instskip(NEXT) | instid1(VALU_DEP_1)
	v_lshlrev_b32_e32 v161, 20, v161
	v_or3_b32 v161, v163, v162, v161
.LBB2_4791:                             ;   in Loop: Header=BB2_4380 Depth=3
	s_or_b32 exec_lo, exec_lo, s31
	v_and_b32_e32 v163, 0xff, v151
	s_mov_b32 s14, 0
	s_mov_b32 s34, exec_lo
                                        ; implicit-def: $sgpr31
	s_delay_alu instid0(VALU_DEP_1)
	v_cmpx_lt_i16_e64 0x7f, v163
	s_xor_b32 s34, exec_lo, s34
	s_cbranch_execnz .LBB2_5070
; %bb.4792:                             ;   in Loop: Header=BB2_4380 Depth=3
	s_or_saveexec_b32 s34, s34
	v_mov_b32_e32 v162, s31
	s_xor_b32 exec_lo, exec_lo, s34
	s_cbranch_execnz .LBB2_5073
.LBB2_4793:                             ;   in Loop: Header=BB2_4380 Depth=3
	s_or_b32 exec_lo, exec_lo, s34
	s_and_saveexec_b32 s31, s14
	s_cbranch_execz .LBB2_4795
.LBB2_4794:                             ;   in Loop: Header=BB2_4380 Depth=3
	v_bfe_u32 v162, v11, 16, 3
	v_bfe_u32 v165, v11, 19, 4
	v_lshlrev_b32_e32 v166, 24, v151
	s_delay_alu instid0(VALU_DEP_3) | instskip(NEXT) | instid1(VALU_DEP_3)
	v_clz_i32_u32_e32 v163, v162
	v_cmp_eq_u32_e32 vcc_lo, 0, v165
	s_delay_alu instid0(VALU_DEP_2) | instskip(NEXT) | instid1(VALU_DEP_1)
	v_min_u32_e32 v163, 32, v163
	v_subrev_nc_u32_e32 v164, 28, v163
	v_sub_nc_u32_e32 v163, 29, v163
	s_delay_alu instid0(VALU_DEP_2) | instskip(NEXT) | instid1(VALU_DEP_1)
	v_lshlrev_b32_e32 v164, v164, v151
	v_dual_cndmask_b32 v163, v165, v163 :: v_dual_and_b32 v164, 7, v164
	s_delay_alu instid0(VALU_DEP_1) | instskip(NEXT) | instid1(VALU_DEP_2)
	v_lshl_add_u32 v163, v163, 23, 0x3b800000
	v_cndmask_b32_e32 v162, v162, v164, vcc_lo
	v_and_b32_e32 v164, 0x80000000, v166
	s_delay_alu instid0(VALU_DEP_2) | instskip(NEXT) | instid1(VALU_DEP_1)
	v_lshlrev_b32_e32 v162, 20, v162
	v_or3_b32 v162, v164, v163, v162
.LBB2_4795:                             ;   in Loop: Header=BB2_4380 Depth=3
	s_or_b32 exec_lo, exec_lo, s31
	s_delay_alu instid0(VALU_DEP_1) | instskip(SKIP_1) | instid1(VALU_DEP_1)
	v_dual_max_f32 v162, v162, v162 :: v_dual_max_f32 v161, v161, v161
	s_mov_b32 s14, 0
	v_max_f32_e32 v161, v161, v162
	s_branch .LBB2_4797
.LBB2_4796:                             ;   in Loop: Header=BB2_4380 Depth=3
	s_mov_b32 s14, -1
                                        ; implicit-def: $vgpr161
.LBB2_4797:                             ;   in Loop: Header=BB2_4380 Depth=3
	s_delay_alu instid0(SALU_CYCLE_1)
	s_and_b32 vcc_lo, exec_lo, s14
	s_cbranch_vccz .LBB2_4807
; %bb.4798:                             ;   in Loop: Header=BB2_4380 Depth=3
	v_and_b32_e32 v162, 0xff, v160
	s_mov_b32 s14, 0
	s_mov_b32 s34, exec_lo
                                        ; implicit-def: $sgpr31
	s_delay_alu instid0(VALU_DEP_1)
	v_cmpx_lt_i16_e64 0x7f, v162
	s_xor_b32 s34, exec_lo, s34
	s_cbranch_execnz .LBB2_5074
; %bb.4799:                             ;   in Loop: Header=BB2_4380 Depth=3
	s_or_saveexec_b32 s34, s34
	v_mov_b32_e32 v161, s31
	s_xor_b32 exec_lo, exec_lo, s34
	s_cbranch_execnz .LBB2_5077
.LBB2_4800:                             ;   in Loop: Header=BB2_4380 Depth=3
	s_or_b32 exec_lo, exec_lo, s34
	s_and_saveexec_b32 s31, s14
	s_cbranch_execz .LBB2_4802
.LBB2_4801:                             ;   in Loop: Header=BB2_4380 Depth=3
	v_bfe_u32 v161, v15, 16, 3
	v_bfe_u32 v164, v15, 19, 4
	s_delay_alu instid0(VALU_DEP_2) | instskip(NEXT) | instid1(VALU_DEP_2)
	v_clz_i32_u32_e32 v162, v161
	v_cmp_eq_u32_e32 vcc_lo, 0, v164
	s_delay_alu instid0(VALU_DEP_2) | instskip(NEXT) | instid1(VALU_DEP_1)
	v_min_u32_e32 v162, 32, v162
	v_subrev_nc_u32_e32 v163, 28, v162
	v_sub_nc_u32_e32 v162, 29, v162
	s_delay_alu instid0(VALU_DEP_1) | instskip(NEXT) | instid1(VALU_DEP_1)
	v_dual_cndmask_b32 v162, v164, v162 :: v_dual_lshlrev_b32 v163, v163, v160
	v_and_b32_e32 v163, 7, v163
	v_lshlrev_b32_e32 v160, 24, v160
	s_delay_alu instid0(VALU_DEP_3) | instskip(NEXT) | instid1(VALU_DEP_2)
	v_lshl_add_u32 v162, v162, 23, 0x3b800000
	v_dual_cndmask_b32 v161, v161, v163 :: v_dual_and_b32 v160, 0x80000000, v160
	s_delay_alu instid0(VALU_DEP_1) | instskip(NEXT) | instid1(VALU_DEP_1)
	v_lshlrev_b32_e32 v161, 20, v161
	v_or3_b32 v161, v160, v162, v161
.LBB2_4802:                             ;   in Loop: Header=BB2_4380 Depth=3
	s_or_b32 exec_lo, exec_lo, s31
	v_and_b32_e32 v162, 0xff, v151
	s_mov_b32 s14, 0
	s_mov_b32 s34, exec_lo
                                        ; implicit-def: $sgpr31
	s_delay_alu instid0(VALU_DEP_1)
	v_cmpx_lt_i16_e64 0x7f, v162
	s_xor_b32 s34, exec_lo, s34
	s_cbranch_execnz .LBB2_5078
; %bb.4803:                             ;   in Loop: Header=BB2_4380 Depth=3
	s_or_saveexec_b32 s34, s34
	v_mov_b32_e32 v160, s31
	s_xor_b32 exec_lo, exec_lo, s34
	s_cbranch_execnz .LBB2_5081
.LBB2_4804:                             ;   in Loop: Header=BB2_4380 Depth=3
	s_or_b32 exec_lo, exec_lo, s34
	s_and_saveexec_b32 s31, s14
	s_cbranch_execz .LBB2_4806
.LBB2_4805:                             ;   in Loop: Header=BB2_4380 Depth=3
	v_bfe_u32 v160, v11, 16, 3
	v_bfe_u32 v164, v11, 19, 4
	s_delay_alu instid0(VALU_DEP_2) | instskip(NEXT) | instid1(VALU_DEP_2)
	v_clz_i32_u32_e32 v162, v160
	v_cmp_eq_u32_e32 vcc_lo, 0, v164
	s_delay_alu instid0(VALU_DEP_2) | instskip(NEXT) | instid1(VALU_DEP_1)
	v_min_u32_e32 v162, 32, v162
	v_subrev_nc_u32_e32 v163, 28, v162
	v_sub_nc_u32_e32 v162, 29, v162
	s_delay_alu instid0(VALU_DEP_1) | instskip(SKIP_1) | instid1(VALU_DEP_2)
	v_dual_cndmask_b32 v162, v164, v162 :: v_dual_lshlrev_b32 v163, v163, v151
	v_lshlrev_b32_e32 v151, 24, v151
	v_and_b32_e32 v163, 7, v163
	s_delay_alu instid0(VALU_DEP_3) | instskip(NEXT) | instid1(VALU_DEP_3)
	v_lshl_add_u32 v162, v162, 23, 0x3b800000
	v_and_b32_e32 v151, 0x80000000, v151
	s_delay_alu instid0(VALU_DEP_3) | instskip(NEXT) | instid1(VALU_DEP_1)
	v_cndmask_b32_e32 v160, v160, v163, vcc_lo
	v_lshlrev_b32_e32 v160, 20, v160
	s_delay_alu instid0(VALU_DEP_1)
	v_or3_b32 v160, v151, v162, v160
.LBB2_4806:                             ;   in Loop: Header=BB2_4380 Depth=3
	s_or_b32 exec_lo, exec_lo, s31
	s_delay_alu instid0(VALU_DEP_1) | instskip(NEXT) | instid1(VALU_DEP_1)
	v_dual_max_f32 v151, v160, v160 :: v_dual_max_f32 v160, v161, v161
	v_min_f32_e32 v161, v160, v151
.LBB2_4807:                             ;   in Loop: Header=BB2_4380 Depth=3
	s_delay_alu instid0(VALU_DEP_1) | instskip(NEXT) | instid1(VALU_DEP_1)
	v_and_b32_e32 v151, 0x7f800000, v161
	v_cmp_ne_u32_e32 vcc_lo, 0x7f800000, v151
	v_mov_b32_e32 v151, 0x80
	s_and_saveexec_b32 s31, vcc_lo
	s_cbranch_execz .LBB2_4815
; %bb.4808:                             ;   in Loop: Header=BB2_4380 Depth=3
	v_mov_b32_e32 v151, 0
	s_mov_b32 s34, exec_lo
	v_cmpx_ne_u32_e32 0, v161
	s_cbranch_execz .LBB2_4814
; %bb.4809:                             ;   in Loop: Header=BB2_4380 Depth=3
	v_bfe_u32 v151, v161, 23, 8
	v_and_b32_e32 v160, 0x7fffff, v161
	s_delay_alu instid0(VALU_DEP_2) | instskip(SKIP_1) | instid1(VALU_DEP_3)
	v_sub_nc_u32_e32 v162, 0x78, v151
	v_cmp_gt_u32_e32 vcc_lo, 0x79, v151
	v_or_b32_e32 v163, 0x800000, v160
	s_delay_alu instid0(VALU_DEP_3) | instskip(SKIP_2) | instid1(VALU_DEP_3)
	v_cndmask_b32_e32 v162, 0, v162, vcc_lo
	v_cmp_eq_u32_e32 vcc_lo, 0, v151
	v_add_nc_u32_e32 v151, 0xffffff89, v151
	v_cndmask_b32_e64 v162, v162, 0x77, vcc_lo
	v_cndmask_b32_e32 v160, v163, v160, vcc_lo
	s_delay_alu instid0(VALU_DEP_3) | instskip(NEXT) | instid1(VALU_DEP_3)
	v_cndmask_b32_e64 v151, v151, 0xffffff8a, vcc_lo
	v_lshl_add_u32 v163, 0x100000, v162, -1
	s_delay_alu instid0(VALU_DEP_3) | instskip(SKIP_1) | instid1(VALU_DEP_4)
	v_lshrrev_b32_e32 v164, v162, v160
	v_lshlrev_b32_e64 v166, v162, 0x80000
	v_add_nc_u32_e32 v162, v162, v151
	s_delay_alu instid0(VALU_DEP_4) | instskip(NEXT) | instid1(VALU_DEP_4)
	v_and_b32_e32 v160, v163, v160
	v_bfe_u32 v165, v164, 20, 1
	s_delay_alu instid0(VALU_DEP_2) | instskip(NEXT) | instid1(VALU_DEP_2)
	v_cmp_eq_u32_e64 s14, v160, v166
	v_add_nc_u32_e32 v163, -1, v165
	s_delay_alu instid0(VALU_DEP_1) | instskip(SKIP_2) | instid1(VALU_DEP_2)
	v_cndmask_b32_e64 v160, 0, v163, s14
	v_lshrrev_b32_e32 v163, 23, v164
	s_mov_b32 s14, exec_lo
	v_add_nc_u32_e32 v160, v160, v164
	s_delay_alu instid0(VALU_DEP_2) | instskip(NEXT) | instid1(VALU_DEP_2)
	v_xor_b32_e32 v163, 1, v163
	v_and_b32_e32 v151, 0xfffff, v160
	s_delay_alu instid0(VALU_DEP_1) | instskip(NEXT) | instid1(VALU_DEP_3)
	v_add_nc_u32_e32 v160, v151, v164
                                        ; implicit-def: $vgpr151
	v_cmpx_ne_u32_e64 v162, v163
	s_xor_b32 s14, exec_lo, s14
; %bb.4810:                             ;   in Loop: Header=BB2_4380 Depth=3
	s_delay_alu instid0(VALU_DEP_2) | instskip(SKIP_2) | instid1(VALU_DEP_2)
	v_cmp_lt_u32_e32 vcc_lo, 0xffffff, v160
	v_sub_nc_u32_e32 v151, v162, v163
	v_cndmask_b32_e64 v162, 0, 1, vcc_lo
	v_add_co_ci_u32_e32 v151, vcc_lo, 0, v151, vcc_lo
	s_delay_alu instid0(VALU_DEP_2)
	v_lshrrev_b32_e32 v160, v162, v160
; %bb.4811:                             ;   in Loop: Header=BB2_4380 Depth=3
	s_and_not1_saveexec_b32 s14, s14
; %bb.4812:                             ;   in Loop: Header=BB2_4380 Depth=3
	s_delay_alu instid0(VALU_DEP_1)
	v_bfe_u32 v151, v160, 23, 1
; %bb.4813:                             ;   in Loop: Header=BB2_4380 Depth=3
	s_or_b32 exec_lo, exec_lo, s14
	v_lshrrev_b32_e32 v160, 20, v160
	s_delay_alu instid0(VALU_DEP_2) | instskip(SKIP_2) | instid1(VALU_DEP_2)
	v_cmp_gt_i32_e32 vcc_lo, 16, v151
	v_lshrrev_b32_e32 v161, 24, v161
	v_min_i32_e32 v162, 15, v151
	v_dual_cndmask_b32 v160, 7, v160 :: v_dual_and_b32 v161, 0x80, v161
	s_delay_alu instid0(VALU_DEP_1) | instskip(SKIP_1) | instid1(VALU_DEP_2)
	v_or_b32_e32 v151, v151, v160
	v_and_b32_e32 v163, 7, v160
	v_cmp_ne_u32_e32 vcc_lo, 0, v151
	v_lshlrev_b32_e32 v162, 3, v162
	s_delay_alu instid0(VALU_DEP_1) | instskip(NEXT) | instid1(VALU_DEP_1)
	v_and_b32_e32 v162, 0xf8, v162
	v_or3_b32 v160, v162, v161, v163
	s_delay_alu instid0(VALU_DEP_1)
	v_cndmask_b32_e32 v151, 0, v160, vcc_lo
.LBB2_4814:                             ;   in Loop: Header=BB2_4380 Depth=3
	s_or_b32 exec_lo, exec_lo, s34
.LBB2_4815:                             ;   in Loop: Header=BB2_4380 Depth=3
	s_delay_alu instid0(SALU_CYCLE_1)
	s_or_b32 exec_lo, exec_lo, s31
	v_lshrrev_b32_e32 v161, 24, v15
	v_lshrrev_b32_e32 v160, 24, v11
	s_and_b32 vcc_lo, exec_lo, s17
	s_cbranch_vccz .LBB2_4825
; %bb.4816:                             ;   in Loop: Header=BB2_4380 Depth=3
	s_mov_b32 s14, 0
	s_mov_b32 s34, exec_lo
                                        ; implicit-def: $sgpr31
	v_cmpx_lt_i16_e64 0x7f, v161
	s_xor_b32 s34, exec_lo, s34
	s_cbranch_execnz .LBB2_5082
; %bb.4817:                             ;   in Loop: Header=BB2_4380 Depth=3
	s_or_saveexec_b32 s34, s34
	v_mov_b32_e32 v162, s31
	s_xor_b32 exec_lo, exec_lo, s34
	s_cbranch_execnz .LBB2_5085
.LBB2_4818:                             ;   in Loop: Header=BB2_4380 Depth=3
	s_or_b32 exec_lo, exec_lo, s34
	s_and_saveexec_b32 s31, s14
	s_cbranch_execz .LBB2_4820
.LBB2_4819:                             ;   in Loop: Header=BB2_4380 Depth=3
	v_bfe_u32 v162, v15, 24, 3
	v_bfe_u32 v165, v15, 27, 4
	s_delay_alu instid0(VALU_DEP_2) | instskip(NEXT) | instid1(VALU_DEP_2)
	v_clz_i32_u32_e32 v163, v162
	v_cmp_eq_u32_e32 vcc_lo, 0, v165
	s_delay_alu instid0(VALU_DEP_2) | instskip(NEXT) | instid1(VALU_DEP_1)
	v_min_u32_e32 v163, 32, v163
	v_subrev_nc_u32_e32 v164, 28, v163
	v_sub_nc_u32_e32 v163, 29, v163
	s_delay_alu instid0(VALU_DEP_1) | instskip(NEXT) | instid1(VALU_DEP_1)
	v_dual_cndmask_b32 v163, v165, v163 :: v_dual_lshlrev_b32 v164, v164, v161
	v_and_b32_e32 v164, 7, v164
	s_delay_alu instid0(VALU_DEP_2) | instskip(NEXT) | instid1(VALU_DEP_2)
	v_lshl_add_u32 v163, v163, 23, 0x3b800000
	v_cndmask_b32_e32 v162, v162, v164, vcc_lo
	v_and_b32_e32 v164, 0x80000000, v15
	s_delay_alu instid0(VALU_DEP_2) | instskip(NEXT) | instid1(VALU_DEP_1)
	v_lshlrev_b32_e32 v162, 20, v162
	v_or3_b32 v162, v164, v163, v162
.LBB2_4820:                             ;   in Loop: Header=BB2_4380 Depth=3
	s_or_b32 exec_lo, exec_lo, s31
	s_mov_b32 s14, 0
	s_mov_b32 s34, exec_lo
                                        ; implicit-def: $sgpr31
	v_cmpx_lt_i16_e64 0x7f, v160
	s_xor_b32 s34, exec_lo, s34
	s_cbranch_execnz .LBB2_5086
; %bb.4821:                             ;   in Loop: Header=BB2_4380 Depth=3
	s_or_saveexec_b32 s34, s34
	v_mov_b32_e32 v163, s31
	s_xor_b32 exec_lo, exec_lo, s34
	s_cbranch_execnz .LBB2_5089
.LBB2_4822:                             ;   in Loop: Header=BB2_4380 Depth=3
	s_or_b32 exec_lo, exec_lo, s34
	s_and_saveexec_b32 s31, s14
	s_cbranch_execz .LBB2_4824
.LBB2_4823:                             ;   in Loop: Header=BB2_4380 Depth=3
	v_bfe_u32 v163, v11, 24, 3
	v_bfe_u32 v166, v11, 27, 4
	s_delay_alu instid0(VALU_DEP_2) | instskip(NEXT) | instid1(VALU_DEP_2)
	v_clz_i32_u32_e32 v164, v163
	v_cmp_eq_u32_e32 vcc_lo, 0, v166
	s_delay_alu instid0(VALU_DEP_2) | instskip(NEXT) | instid1(VALU_DEP_1)
	v_min_u32_e32 v164, 32, v164
	v_subrev_nc_u32_e32 v165, 28, v164
	v_sub_nc_u32_e32 v164, 29, v164
	s_delay_alu instid0(VALU_DEP_2) | instskip(NEXT) | instid1(VALU_DEP_1)
	v_lshlrev_b32_e32 v165, v165, v160
	v_dual_cndmask_b32 v164, v166, v164 :: v_dual_and_b32 v165, 7, v165
	s_delay_alu instid0(VALU_DEP_1) | instskip(NEXT) | instid1(VALU_DEP_2)
	v_lshl_add_u32 v164, v164, 23, 0x3b800000
	v_cndmask_b32_e32 v163, v163, v165, vcc_lo
	v_and_b32_e32 v165, 0x80000000, v11
	s_delay_alu instid0(VALU_DEP_2) | instskip(NEXT) | instid1(VALU_DEP_1)
	v_lshlrev_b32_e32 v163, 20, v163
	v_or3_b32 v163, v165, v164, v163
.LBB2_4824:                             ;   in Loop: Header=BB2_4380 Depth=3
	s_or_b32 exec_lo, exec_lo, s31
	s_delay_alu instid0(VALU_DEP_1) | instskip(SKIP_1) | instid1(VALU_DEP_1)
	v_dual_max_f32 v163, v163, v163 :: v_dual_max_f32 v162, v162, v162
	s_mov_b32 s14, 0
	v_max_f32_e32 v162, v162, v163
	s_branch .LBB2_4826
.LBB2_4825:                             ;   in Loop: Header=BB2_4380 Depth=3
	s_mov_b32 s14, -1
                                        ; implicit-def: $vgpr162
.LBB2_4826:                             ;   in Loop: Header=BB2_4380 Depth=3
	s_delay_alu instid0(SALU_CYCLE_1)
	s_and_b32 vcc_lo, exec_lo, s14
	s_cbranch_vccz .LBB2_4836
; %bb.4827:                             ;   in Loop: Header=BB2_4380 Depth=3
	s_mov_b32 s14, 0
	s_mov_b32 s34, exec_lo
                                        ; implicit-def: $sgpr31
	v_cmpx_lt_i16_e64 0x7f, v161
	s_xor_b32 s34, exec_lo, s34
	s_cbranch_execnz .LBB2_5090
; %bb.4828:                             ;   in Loop: Header=BB2_4380 Depth=3
	s_or_saveexec_b32 s34, s34
	v_mov_b32_e32 v162, s31
	s_xor_b32 exec_lo, exec_lo, s34
	s_cbranch_execnz .LBB2_5093
.LBB2_4829:                             ;   in Loop: Header=BB2_4380 Depth=3
	s_or_b32 exec_lo, exec_lo, s34
	s_and_saveexec_b32 s31, s14
	s_cbranch_execz .LBB2_4831
.LBB2_4830:                             ;   in Loop: Header=BB2_4380 Depth=3
	v_bfe_u32 v162, v15, 24, 3
	s_delay_alu instid0(VALU_DEP_1) | instskip(NEXT) | instid1(VALU_DEP_1)
	v_clz_i32_u32_e32 v163, v162
	v_min_u32_e32 v163, 32, v163
	s_delay_alu instid0(VALU_DEP_1) | instskip(SKIP_1) | instid1(VALU_DEP_2)
	v_subrev_nc_u32_e32 v164, 28, v163
	v_sub_nc_u32_e32 v163, 29, v163
	v_lshlrev_b32_e32 v161, v164, v161
	v_bfe_u32 v164, v15, 27, 4
	v_and_b32_e32 v15, 0x80000000, v15
	s_delay_alu instid0(VALU_DEP_3) | instskip(NEXT) | instid1(VALU_DEP_3)
	v_and_b32_e32 v161, 7, v161
	v_cmp_eq_u32_e32 vcc_lo, 0, v164
	v_cndmask_b32_e32 v163, v164, v163, vcc_lo
	s_delay_alu instid0(VALU_DEP_3) | instskip(NEXT) | instid1(VALU_DEP_2)
	v_cndmask_b32_e32 v161, v162, v161, vcc_lo
	v_lshl_add_u32 v162, v163, 23, 0x3b800000
	s_delay_alu instid0(VALU_DEP_2) | instskip(NEXT) | instid1(VALU_DEP_1)
	v_lshlrev_b32_e32 v161, 20, v161
	v_or3_b32 v162, v15, v162, v161
.LBB2_4831:                             ;   in Loop: Header=BB2_4380 Depth=3
	s_or_b32 exec_lo, exec_lo, s31
	s_mov_b32 s14, 0
	s_mov_b32 s34, exec_lo
                                        ; implicit-def: $sgpr31
	v_cmpx_lt_i16_e64 0x7f, v160
	s_xor_b32 s34, exec_lo, s34
	s_cbranch_execnz .LBB2_5094
; %bb.4832:                             ;   in Loop: Header=BB2_4380 Depth=3
	s_or_saveexec_b32 s34, s34
	v_mov_b32_e32 v15, s31
	s_xor_b32 exec_lo, exec_lo, s34
	s_cbranch_execnz .LBB2_5097
.LBB2_4833:                             ;   in Loop: Header=BB2_4380 Depth=3
	s_or_b32 exec_lo, exec_lo, s34
	s_and_saveexec_b32 s31, s14
	s_cbranch_execz .LBB2_4835
.LBB2_4834:                             ;   in Loop: Header=BB2_4380 Depth=3
	v_bfe_u32 v15, v11, 24, 3
	s_delay_alu instid0(VALU_DEP_1) | instskip(NEXT) | instid1(VALU_DEP_1)
	v_clz_i32_u32_e32 v161, v15
	v_min_u32_e32 v161, 32, v161
	s_delay_alu instid0(VALU_DEP_1) | instskip(SKIP_1) | instid1(VALU_DEP_2)
	v_subrev_nc_u32_e32 v163, 28, v161
	v_sub_nc_u32_e32 v161, 29, v161
	v_lshlrev_b32_e32 v160, v163, v160
	v_bfe_u32 v163, v11, 27, 4
	v_and_b32_e32 v11, 0x80000000, v11
	s_delay_alu instid0(VALU_DEP_2) | instskip(NEXT) | instid1(VALU_DEP_4)
	v_cmp_eq_u32_e32 vcc_lo, 0, v163
	v_dual_cndmask_b32 v161, v163, v161 :: v_dual_and_b32 v160, 7, v160
	s_delay_alu instid0(VALU_DEP_1) | instskip(NEXT) | instid1(VALU_DEP_2)
	v_cndmask_b32_e32 v15, v15, v160, vcc_lo
	v_lshl_add_u32 v160, v161, 23, 0x3b800000
	s_delay_alu instid0(VALU_DEP_2) | instskip(NEXT) | instid1(VALU_DEP_1)
	v_lshlrev_b32_e32 v15, 20, v15
	v_or3_b32 v15, v11, v160, v15
.LBB2_4835:                             ;   in Loop: Header=BB2_4380 Depth=3
	s_or_b32 exec_lo, exec_lo, s31
	s_delay_alu instid0(VALU_DEP_1) | instskip(SKIP_1) | instid1(VALU_DEP_1)
	v_max_f32_e32 v11, v15, v15
	v_max_f32_e32 v15, v162, v162
	v_min_f32_e32 v162, v15, v11
.LBB2_4836:                             ;   in Loop: Header=BB2_4380 Depth=3
	s_delay_alu instid0(VALU_DEP_1) | instskip(NEXT) | instid1(VALU_DEP_1)
	v_and_b32_e32 v11, 0x7f800000, v162
	v_cmp_ne_u32_e32 vcc_lo, 0x7f800000, v11
	v_mov_b32_e32 v11, 0x8000
	s_and_saveexec_b32 s31, vcc_lo
	s_cbranch_execz .LBB2_4379
; %bb.4837:                             ;   in Loop: Header=BB2_4380 Depth=3
	v_mov_b32_e32 v11, 0
	s_mov_b32 s34, exec_lo
	v_cmpx_ne_u32_e32 0, v162
	s_cbranch_execz .LBB2_4378
; %bb.4838:                             ;   in Loop: Header=BB2_4380 Depth=3
	v_bfe_u32 v11, v162, 23, 8
	s_delay_alu instid0(VALU_DEP_1) | instskip(SKIP_1) | instid1(VALU_DEP_2)
	v_sub_nc_u32_e32 v160, 0x78, v11
	v_cmp_gt_u32_e32 vcc_lo, 0x79, v11
	v_dual_cndmask_b32 v160, 0, v160 :: v_dual_and_b32 v15, 0x7fffff, v162
	s_delay_alu instid0(VALU_DEP_1) | instskip(SKIP_2) | instid1(VALU_DEP_4)
	v_or_b32_e32 v161, 0x800000, v15
	v_cmp_eq_u32_e32 vcc_lo, 0, v11
	v_add_nc_u32_e32 v11, 0xffffff89, v11
	v_cndmask_b32_e64 v160, v160, 0x77, vcc_lo
	s_delay_alu instid0(VALU_DEP_4) | instskip(NEXT) | instid1(VALU_DEP_3)
	v_cndmask_b32_e32 v15, v161, v15, vcc_lo
	v_cndmask_b32_e64 v11, v11, 0xffffff8a, vcc_lo
	s_delay_alu instid0(VALU_DEP_3) | instskip(NEXT) | instid1(VALU_DEP_3)
	v_lshl_add_u32 v161, 0x100000, v160, -1
	v_lshrrev_b32_e32 v163, v160, v15
	v_lshlrev_b32_e64 v165, v160, 0x80000
	s_delay_alu instid0(VALU_DEP_4) | instskip(NEXT) | instid1(VALU_DEP_4)
	v_add_nc_u32_e32 v160, v160, v11
	v_and_b32_e32 v15, v161, v15
	s_delay_alu instid0(VALU_DEP_4) | instskip(NEXT) | instid1(VALU_DEP_2)
	v_bfe_u32 v164, v163, 20, 1
	v_cmp_eq_u32_e64 s14, v15, v165
	s_delay_alu instid0(VALU_DEP_2) | instskip(NEXT) | instid1(VALU_DEP_1)
	v_add_nc_u32_e32 v161, -1, v164
	v_cndmask_b32_e64 v15, 0, v161, s14
	v_lshrrev_b32_e32 v161, 23, v163
	s_mov_b32 s14, exec_lo
	s_delay_alu instid0(VALU_DEP_2) | instskip(NEXT) | instid1(VALU_DEP_2)
	v_add_nc_u32_e32 v15, v15, v163
	v_xor_b32_e32 v161, 1, v161
	s_delay_alu instid0(VALU_DEP_2) | instskip(NEXT) | instid1(VALU_DEP_1)
	v_and_b32_e32 v11, 0xfffff, v15
	v_add_nc_u32_e32 v15, v11, v163
                                        ; implicit-def: $vgpr11
	s_delay_alu instid0(VALU_DEP_3)
	v_cmpx_ne_u32_e64 v160, v161
	s_xor_b32 s14, exec_lo, s14
; %bb.4839:                             ;   in Loop: Header=BB2_4380 Depth=3
	s_delay_alu instid0(VALU_DEP_2) | instskip(SKIP_2) | instid1(VALU_DEP_2)
	v_cmp_lt_u32_e32 vcc_lo, 0xffffff, v15
	v_sub_nc_u32_e32 v11, v160, v161
	v_cndmask_b32_e64 v160, 0, 1, vcc_lo
	v_add_co_ci_u32_e32 v11, vcc_lo, 0, v11, vcc_lo
	s_delay_alu instid0(VALU_DEP_2)
	v_lshrrev_b32_e32 v15, v160, v15
; %bb.4840:                             ;   in Loop: Header=BB2_4380 Depth=3
	s_and_not1_saveexec_b32 s14, s14
	s_cbranch_execz .LBB2_4377
; %bb.4841:                             ;   in Loop: Header=BB2_4380 Depth=3
	s_delay_alu instid0(VALU_DEP_1)
	v_bfe_u32 v11, v15, 23, 1
	s_branch .LBB2_4377
.LBB2_4842:                             ;   in Loop: Header=BB2_4380 Depth=3
	s_mov_b32 s14, -1
	s_mov_b32 s35, exec_lo
                                        ; implicit-def: $sgpr31
	v_cmpx_eq_u16_e64 0x80, v144
; %bb.4843:                             ;   in Loop: Header=BB2_4380 Depth=3
	s_mov_b32 s31, 0x7f800001
	s_xor_b32 s14, exec_lo, -1
; %bb.4844:                             ;   in Loop: Header=BB2_4380 Depth=3
	s_or_b32 exec_lo, exec_lo, s35
	s_delay_alu instid0(SALU_CYCLE_1)
	s_and_b32 s14, s14, exec_lo
                                        ; implicit-def: $vgpr144
	s_or_saveexec_b32 s34, s34
	v_mov_b32_e32 v135, s31
	s_xor_b32 exec_lo, exec_lo, s34
	s_cbranch_execz .LBB2_4383
.LBB2_4845:                             ;   in Loop: Header=BB2_4380 Depth=3
	v_cmp_ne_u16_e64 vcc_lo, 0, v144
	v_mov_b32_e32 v135, 0
	s_and_not1_b32 s14, s14, exec_lo
	s_delay_alu instid0(VALU_DEP_2) | instskip(NEXT) | instid1(SALU_CYCLE_1)
	s_and_b32 vcc_lo, vcc_lo, exec_lo
	s_or_b32 s14, s14, vcc_lo
	s_or_b32 exec_lo, exec_lo, s34
	s_and_saveexec_b32 s31, s14
	s_cbranch_execnz .LBB2_4384
	s_branch .LBB2_4385
.LBB2_4846:                             ;   in Loop: Header=BB2_4380 Depth=3
	s_mov_b32 s14, -1
	s_mov_b32 s35, exec_lo
                                        ; implicit-def: $sgpr31
	v_cmpx_eq_u16_e64 0x80, v145
; %bb.4847:                             ;   in Loop: Header=BB2_4380 Depth=3
	s_mov_b32 s31, 0x7f800001
	s_xor_b32 s14, exec_lo, -1
; %bb.4848:                             ;   in Loop: Header=BB2_4380 Depth=3
	s_or_b32 exec_lo, exec_lo, s35
	s_delay_alu instid0(SALU_CYCLE_1)
	s_and_b32 s14, s14, exec_lo
                                        ; implicit-def: $vgpr145
	s_or_saveexec_b32 s34, s34
	v_mov_b32_e32 v144, s31
	s_xor_b32 exec_lo, exec_lo, s34
	s_cbranch_execz .LBB2_4387
.LBB2_4849:                             ;   in Loop: Header=BB2_4380 Depth=3
	v_cmp_ne_u16_e64 vcc_lo, 0, v145
	v_mov_b32_e32 v144, 0
	s_and_not1_b32 s14, s14, exec_lo
	s_delay_alu instid0(VALU_DEP_2) | instskip(NEXT) | instid1(SALU_CYCLE_1)
	s_and_b32 vcc_lo, vcc_lo, exec_lo
	s_or_b32 s14, s14, vcc_lo
	s_or_b32 exec_lo, exec_lo, s34
	s_and_saveexec_b32 s31, s14
	s_cbranch_execnz .LBB2_4388
	s_branch .LBB2_4389
.LBB2_4850:                             ;   in Loop: Header=BB2_4380 Depth=3
	s_mov_b32 s14, -1
	s_mov_b32 s35, exec_lo
                                        ; implicit-def: $sgpr31
	v_cmpx_eq_u16_e64 0x80, v144
; %bb.4851:                             ;   in Loop: Header=BB2_4380 Depth=3
	s_mov_b32 s31, 0x7f800001
	s_xor_b32 s14, exec_lo, -1
; %bb.4852:                             ;   in Loop: Header=BB2_4380 Depth=3
	s_or_b32 exec_lo, exec_lo, s35
	s_delay_alu instid0(SALU_CYCLE_1)
	s_and_b32 s14, s14, exec_lo
                                        ; implicit-def: $vgpr144
	s_or_saveexec_b32 s34, s34
	v_mov_b32_e32 v135, s31
	s_xor_b32 exec_lo, exec_lo, s34
	s_cbranch_execz .LBB2_4394
.LBB2_4853:                             ;   in Loop: Header=BB2_4380 Depth=3
	v_cmp_ne_u16_e64 vcc_lo, 0, v144
	v_mov_b32_e32 v135, 0
	s_and_not1_b32 s14, s14, exec_lo
	s_delay_alu instid0(VALU_DEP_2) | instskip(NEXT) | instid1(SALU_CYCLE_1)
	s_and_b32 vcc_lo, vcc_lo, exec_lo
	s_or_b32 s14, s14, vcc_lo
	s_or_b32 exec_lo, exec_lo, s34
	s_and_saveexec_b32 s31, s14
	s_cbranch_execnz .LBB2_4395
	s_branch .LBB2_4396
.LBB2_4854:                             ;   in Loop: Header=BB2_4380 Depth=3
	s_mov_b32 s14, -1
	s_mov_b32 s35, exec_lo
                                        ; implicit-def: $sgpr31
	v_cmpx_eq_u16_e64 0x80, v145
; %bb.4855:                             ;   in Loop: Header=BB2_4380 Depth=3
	s_mov_b32 s31, 0x7f800001
	s_xor_b32 s14, exec_lo, -1
; %bb.4856:                             ;   in Loop: Header=BB2_4380 Depth=3
	s_or_b32 exec_lo, exec_lo, s35
	s_delay_alu instid0(SALU_CYCLE_1)
	s_and_b32 s14, s14, exec_lo
                                        ; implicit-def: $vgpr145
	s_or_saveexec_b32 s34, s34
	v_mov_b32_e32 v144, s31
	s_xor_b32 exec_lo, exec_lo, s34
	s_cbranch_execz .LBB2_4398
.LBB2_4857:                             ;   in Loop: Header=BB2_4380 Depth=3
	v_cmp_ne_u16_e64 vcc_lo, 0, v145
	v_mov_b32_e32 v144, 0
	s_and_not1_b32 s14, s14, exec_lo
	s_delay_alu instid0(VALU_DEP_2) | instskip(NEXT) | instid1(SALU_CYCLE_1)
	s_and_b32 vcc_lo, vcc_lo, exec_lo
	s_or_b32 s14, s14, vcc_lo
	s_or_b32 exec_lo, exec_lo, s34
	s_and_saveexec_b32 s31, s14
	s_cbranch_execnz .LBB2_4399
	s_branch .LBB2_4400
.LBB2_4858:                             ;   in Loop: Header=BB2_4380 Depth=3
	s_mov_b32 s14, -1
	s_mov_b32 s35, exec_lo
                                        ; implicit-def: $sgpr31
	v_cmpx_eq_u16_e64 0x80, v145
; %bb.4859:                             ;   in Loop: Header=BB2_4380 Depth=3
	s_mov_b32 s31, 0x7f800001
	s_xor_b32 s14, exec_lo, -1
; %bb.4860:                             ;   in Loop: Header=BB2_4380 Depth=3
	s_or_b32 exec_lo, exec_lo, s35
	s_delay_alu instid0(SALU_CYCLE_1)
	s_and_b32 s14, s14, exec_lo
	s_or_saveexec_b32 s34, s34
	v_mov_b32_e32 v146, s31
	s_xor_b32 exec_lo, exec_lo, s34
	s_cbranch_execz .LBB2_4412
.LBB2_4861:                             ;   in Loop: Header=BB2_4380 Depth=3
	v_cmp_ne_u16_e64 vcc_lo, 0, v145
	v_mov_b32_e32 v146, 0
	s_and_not1_b32 s14, s14, exec_lo
	s_delay_alu instid0(VALU_DEP_2) | instskip(NEXT) | instid1(SALU_CYCLE_1)
	s_and_b32 vcc_lo, vcc_lo, exec_lo
	s_or_b32 s14, s14, vcc_lo
	s_or_b32 exec_lo, exec_lo, s34
	s_and_saveexec_b32 s31, s14
	s_cbranch_execnz .LBB2_4413
	s_branch .LBB2_4414
.LBB2_4862:                             ;   in Loop: Header=BB2_4380 Depth=3
	s_mov_b32 s14, -1
	s_mov_b32 s35, exec_lo
                                        ; implicit-def: $sgpr31
	v_cmpx_eq_u16_e64 0x80, v144
; %bb.4863:                             ;   in Loop: Header=BB2_4380 Depth=3
	s_mov_b32 s31, 0x7f800001
	s_xor_b32 s14, exec_lo, -1
; %bb.4864:                             ;   in Loop: Header=BB2_4380 Depth=3
	s_or_b32 exec_lo, exec_lo, s35
	s_delay_alu instid0(SALU_CYCLE_1)
	s_and_b32 s14, s14, exec_lo
	s_or_saveexec_b32 s34, s34
	v_mov_b32_e32 v147, s31
	s_xor_b32 exec_lo, exec_lo, s34
	s_cbranch_execz .LBB2_4416
.LBB2_4865:                             ;   in Loop: Header=BB2_4380 Depth=3
	v_cmp_ne_u16_e64 vcc_lo, 0, v144
	v_mov_b32_e32 v147, 0
	s_and_not1_b32 s14, s14, exec_lo
	s_delay_alu instid0(VALU_DEP_2) | instskip(NEXT) | instid1(SALU_CYCLE_1)
	s_and_b32 vcc_lo, vcc_lo, exec_lo
	s_or_b32 s14, s14, vcc_lo
	s_or_b32 exec_lo, exec_lo, s34
	s_and_saveexec_b32 s31, s14
	s_cbranch_execnz .LBB2_4417
	s_branch .LBB2_4418
.LBB2_4866:                             ;   in Loop: Header=BB2_4380 Depth=3
	s_mov_b32 s14, -1
	s_mov_b32 s35, exec_lo
                                        ; implicit-def: $sgpr31
	v_cmpx_eq_u16_e64 0x80, v145
; %bb.4867:                             ;   in Loop: Header=BB2_4380 Depth=3
	s_mov_b32 s31, 0x7f800001
	s_xor_b32 s14, exec_lo, -1
; %bb.4868:                             ;   in Loop: Header=BB2_4380 Depth=3
	s_or_b32 exec_lo, exec_lo, s35
	s_delay_alu instid0(SALU_CYCLE_1)
	s_and_b32 s14, s14, exec_lo
	s_or_saveexec_b32 s34, s34
	v_mov_b32_e32 v146, s31
	s_xor_b32 exec_lo, exec_lo, s34
	s_cbranch_execz .LBB2_4423
.LBB2_4869:                             ;   in Loop: Header=BB2_4380 Depth=3
	v_cmp_ne_u16_e64 vcc_lo, 0, v145
	v_mov_b32_e32 v146, 0
	s_and_not1_b32 s14, s14, exec_lo
	s_delay_alu instid0(VALU_DEP_2) | instskip(NEXT) | instid1(SALU_CYCLE_1)
	s_and_b32 vcc_lo, vcc_lo, exec_lo
	s_or_b32 s14, s14, vcc_lo
	s_or_b32 exec_lo, exec_lo, s34
	s_and_saveexec_b32 s31, s14
	s_cbranch_execnz .LBB2_4424
	s_branch .LBB2_4425
.LBB2_4870:                             ;   in Loop: Header=BB2_4380 Depth=3
	s_mov_b32 s14, -1
	s_mov_b32 s35, exec_lo
                                        ; implicit-def: $sgpr31
	v_cmpx_eq_u16_e64 0x80, v144
; %bb.4871:                             ;   in Loop: Header=BB2_4380 Depth=3
	s_mov_b32 s31, 0x7f800001
	s_xor_b32 s14, exec_lo, -1
; %bb.4872:                             ;   in Loop: Header=BB2_4380 Depth=3
	s_or_b32 exec_lo, exec_lo, s35
	s_delay_alu instid0(SALU_CYCLE_1)
	s_and_b32 s14, s14, exec_lo
	s_or_saveexec_b32 s34, s34
	v_mov_b32_e32 v145, s31
	s_xor_b32 exec_lo, exec_lo, s34
	s_cbranch_execz .LBB2_4427
.LBB2_4873:                             ;   in Loop: Header=BB2_4380 Depth=3
	v_cmp_ne_u16_e64 vcc_lo, 0, v144
	v_mov_b32_e32 v145, 0
	s_and_not1_b32 s14, s14, exec_lo
	s_delay_alu instid0(VALU_DEP_2) | instskip(NEXT) | instid1(SALU_CYCLE_1)
	s_and_b32 vcc_lo, vcc_lo, exec_lo
	s_or_b32 s14, s14, vcc_lo
	s_or_b32 exec_lo, exec_lo, s34
	s_and_saveexec_b32 s31, s14
	s_cbranch_execnz .LBB2_4428
	s_branch .LBB2_4429
.LBB2_4874:                             ;   in Loop: Header=BB2_4380 Depth=3
	s_mov_b32 s14, -1
	s_mov_b32 s35, exec_lo
                                        ; implicit-def: $sgpr31
	v_cmpx_eq_u16_e64 0x80, v148
; %bb.4875:                             ;   in Loop: Header=BB2_4380 Depth=3
	s_mov_b32 s31, 0x7f800001
	s_xor_b32 s14, exec_lo, -1
; %bb.4876:                             ;   in Loop: Header=BB2_4380 Depth=3
	s_or_b32 exec_lo, exec_lo, s35
	s_delay_alu instid0(SALU_CYCLE_1)
	s_and_b32 s14, s14, exec_lo
                                        ; implicit-def: $vgpr148
	s_or_saveexec_b32 s34, s34
	v_mov_b32_e32 v147, s31
	s_xor_b32 exec_lo, exec_lo, s34
	s_cbranch_execz .LBB2_4441
.LBB2_4877:                             ;   in Loop: Header=BB2_4380 Depth=3
	v_cmp_ne_u16_e64 vcc_lo, 0, v148
	v_mov_b32_e32 v147, 0
	s_and_not1_b32 s14, s14, exec_lo
	s_delay_alu instid0(VALU_DEP_2) | instskip(NEXT) | instid1(SALU_CYCLE_1)
	s_and_b32 vcc_lo, vcc_lo, exec_lo
	s_or_b32 s14, s14, vcc_lo
	s_or_b32 exec_lo, exec_lo, s34
	s_and_saveexec_b32 s31, s14
	s_cbranch_execnz .LBB2_4442
	s_branch .LBB2_4443
.LBB2_4878:                             ;   in Loop: Header=BB2_4380 Depth=3
	s_mov_b32 s14, -1
	s_mov_b32 s35, exec_lo
                                        ; implicit-def: $sgpr31
	v_cmpx_eq_u16_e64 0x80, v149
; %bb.4879:                             ;   in Loop: Header=BB2_4380 Depth=3
	s_mov_b32 s31, 0x7f800001
	s_xor_b32 s14, exec_lo, -1
; %bb.4880:                             ;   in Loop: Header=BB2_4380 Depth=3
	s_or_b32 exec_lo, exec_lo, s35
	s_delay_alu instid0(SALU_CYCLE_1)
	s_and_b32 s14, s14, exec_lo
                                        ; implicit-def: $vgpr149
	s_or_saveexec_b32 s34, s34
	v_mov_b32_e32 v148, s31
	s_xor_b32 exec_lo, exec_lo, s34
	s_cbranch_execz .LBB2_4445
.LBB2_4881:                             ;   in Loop: Header=BB2_4380 Depth=3
	v_cmp_ne_u16_e64 vcc_lo, 0, v149
	v_mov_b32_e32 v148, 0
	s_and_not1_b32 s14, s14, exec_lo
	s_delay_alu instid0(VALU_DEP_2) | instskip(NEXT) | instid1(SALU_CYCLE_1)
	s_and_b32 vcc_lo, vcc_lo, exec_lo
	s_or_b32 s14, s14, vcc_lo
	s_or_b32 exec_lo, exec_lo, s34
	s_and_saveexec_b32 s31, s14
	s_cbranch_execnz .LBB2_4446
	s_branch .LBB2_4447
.LBB2_4882:                             ;   in Loop: Header=BB2_4380 Depth=3
	s_mov_b32 s14, -1
	s_mov_b32 s35, exec_lo
                                        ; implicit-def: $sgpr31
	v_cmpx_eq_u16_e64 0x80, v148
; %bb.4883:                             ;   in Loop: Header=BB2_4380 Depth=3
	s_mov_b32 s31, 0x7f800001
	s_xor_b32 s14, exec_lo, -1
; %bb.4884:                             ;   in Loop: Header=BB2_4380 Depth=3
	s_or_b32 exec_lo, exec_lo, s35
	s_delay_alu instid0(SALU_CYCLE_1)
	s_and_b32 s14, s14, exec_lo
                                        ; implicit-def: $vgpr148
	s_or_saveexec_b32 s34, s34
	v_mov_b32_e32 v147, s31
	s_xor_b32 exec_lo, exec_lo, s34
	s_cbranch_execz .LBB2_4452
.LBB2_4885:                             ;   in Loop: Header=BB2_4380 Depth=3
	v_cmp_ne_u16_e64 vcc_lo, 0, v148
	v_mov_b32_e32 v147, 0
	s_and_not1_b32 s14, s14, exec_lo
	s_delay_alu instid0(VALU_DEP_2) | instskip(NEXT) | instid1(SALU_CYCLE_1)
	s_and_b32 vcc_lo, vcc_lo, exec_lo
	s_or_b32 s14, s14, vcc_lo
	s_or_b32 exec_lo, exec_lo, s34
	s_and_saveexec_b32 s31, s14
	s_cbranch_execnz .LBB2_4453
	s_branch .LBB2_4454
.LBB2_4886:                             ;   in Loop: Header=BB2_4380 Depth=3
	s_mov_b32 s14, -1
	s_mov_b32 s35, exec_lo
                                        ; implicit-def: $sgpr31
	v_cmpx_eq_u16_e64 0x80, v148
; %bb.4887:                             ;   in Loop: Header=BB2_4380 Depth=3
	s_mov_b32 s31, 0x7f800001
	s_xor_b32 s14, exec_lo, -1
; %bb.4888:                             ;   in Loop: Header=BB2_4380 Depth=3
	s_or_b32 exec_lo, exec_lo, s35
	s_delay_alu instid0(SALU_CYCLE_1)
	s_and_b32 s14, s14, exec_lo
                                        ; implicit-def: $vgpr148
	s_or_saveexec_b32 s34, s34
	v_mov_b32_e32 v146, s31
	s_xor_b32 exec_lo, exec_lo, s34
	s_cbranch_execz .LBB2_4456
.LBB2_4889:                             ;   in Loop: Header=BB2_4380 Depth=3
	v_cmp_ne_u16_e64 vcc_lo, 0, v148
	v_mov_b32_e32 v146, 0
	s_and_not1_b32 s14, s14, exec_lo
	s_delay_alu instid0(VALU_DEP_2) | instskip(NEXT) | instid1(SALU_CYCLE_1)
	s_and_b32 vcc_lo, vcc_lo, exec_lo
	s_or_b32 s14, s14, vcc_lo
	s_or_b32 exec_lo, exec_lo, s34
	s_and_saveexec_b32 s31, s14
	s_cbranch_execnz .LBB2_4457
	s_branch .LBB2_4458
.LBB2_4890:                             ;   in Loop: Header=BB2_4380 Depth=3
	s_mov_b32 s14, -1
	s_mov_b32 s35, exec_lo
                                        ; implicit-def: $sgpr31
	v_cmpx_eq_u16_e64 0x80, v147
; %bb.4891:                             ;   in Loop: Header=BB2_4380 Depth=3
	s_mov_b32 s31, 0x7f800001
	s_xor_b32 s14, exec_lo, -1
; %bb.4892:                             ;   in Loop: Header=BB2_4380 Depth=3
	s_or_b32 exec_lo, exec_lo, s35
	s_delay_alu instid0(SALU_CYCLE_1)
	s_and_b32 s14, s14, exec_lo
	s_or_saveexec_b32 s34, s34
	v_mov_b32_e32 v148, s31
	s_xor_b32 exec_lo, exec_lo, s34
	s_cbranch_execz .LBB2_4470
.LBB2_4893:                             ;   in Loop: Header=BB2_4380 Depth=3
	v_cmp_ne_u16_e64 vcc_lo, 0, v147
	v_mov_b32_e32 v148, 0
	s_and_not1_b32 s14, s14, exec_lo
	s_delay_alu instid0(VALU_DEP_2) | instskip(NEXT) | instid1(SALU_CYCLE_1)
	s_and_b32 vcc_lo, vcc_lo, exec_lo
	s_or_b32 s14, s14, vcc_lo
	s_or_b32 exec_lo, exec_lo, s34
	s_and_saveexec_b32 s31, s14
	s_cbranch_execnz .LBB2_4471
	s_branch .LBB2_4472
.LBB2_4894:                             ;   in Loop: Header=BB2_4380 Depth=3
	s_mov_b32 s14, -1
	s_mov_b32 s35, exec_lo
                                        ; implicit-def: $sgpr31
	v_cmpx_eq_u16_e64 0x80, v146
; %bb.4895:                             ;   in Loop: Header=BB2_4380 Depth=3
	s_mov_b32 s31, 0x7f800001
	s_xor_b32 s14, exec_lo, -1
; %bb.4896:                             ;   in Loop: Header=BB2_4380 Depth=3
	s_or_b32 exec_lo, exec_lo, s35
	s_delay_alu instid0(SALU_CYCLE_1)
	s_and_b32 s14, s14, exec_lo
	s_or_saveexec_b32 s34, s34
	v_mov_b32_e32 v149, s31
	s_xor_b32 exec_lo, exec_lo, s34
	s_cbranch_execz .LBB2_4474
.LBB2_4897:                             ;   in Loop: Header=BB2_4380 Depth=3
	v_cmp_ne_u16_e64 vcc_lo, 0, v146
	v_mov_b32_e32 v149, 0
	s_and_not1_b32 s14, s14, exec_lo
	s_delay_alu instid0(VALU_DEP_2) | instskip(NEXT) | instid1(SALU_CYCLE_1)
	s_and_b32 vcc_lo, vcc_lo, exec_lo
	s_or_b32 s14, s14, vcc_lo
	s_or_b32 exec_lo, exec_lo, s34
	s_and_saveexec_b32 s31, s14
	s_cbranch_execnz .LBB2_4475
	s_branch .LBB2_4476
.LBB2_4898:                             ;   in Loop: Header=BB2_4380 Depth=3
	s_mov_b32 s14, -1
	s_mov_b32 s35, exec_lo
                                        ; implicit-def: $sgpr31
	v_cmpx_eq_u16_e64 0x80, v147
; %bb.4899:                             ;   in Loop: Header=BB2_4380 Depth=3
	s_mov_b32 s31, 0x7f800001
	s_xor_b32 s14, exec_lo, -1
; %bb.4900:                             ;   in Loop: Header=BB2_4380 Depth=3
	s_or_b32 exec_lo, exec_lo, s35
	s_delay_alu instid0(SALU_CYCLE_1)
	s_and_b32 s14, s14, exec_lo
	s_or_saveexec_b32 s34, s34
	v_mov_b32_e32 v148, s31
	s_xor_b32 exec_lo, exec_lo, s34
	s_cbranch_execz .LBB2_4481
.LBB2_4901:                             ;   in Loop: Header=BB2_4380 Depth=3
	v_cmp_ne_u16_e64 vcc_lo, 0, v147
	v_mov_b32_e32 v148, 0
	s_and_not1_b32 s14, s14, exec_lo
	s_delay_alu instid0(VALU_DEP_2) | instskip(NEXT) | instid1(SALU_CYCLE_1)
	s_and_b32 vcc_lo, vcc_lo, exec_lo
	s_or_b32 s14, s14, vcc_lo
	s_or_b32 exec_lo, exec_lo, s34
	s_and_saveexec_b32 s31, s14
	s_cbranch_execnz .LBB2_4482
	s_branch .LBB2_4483
.LBB2_4902:                             ;   in Loop: Header=BB2_4380 Depth=3
	s_mov_b32 s14, -1
	s_mov_b32 s35, exec_lo
                                        ; implicit-def: $sgpr31
	v_cmpx_eq_u16_e64 0x80, v146
; %bb.4903:                             ;   in Loop: Header=BB2_4380 Depth=3
	s_mov_b32 s31, 0x7f800001
	s_xor_b32 s14, exec_lo, -1
; %bb.4904:                             ;   in Loop: Header=BB2_4380 Depth=3
	s_or_b32 exec_lo, exec_lo, s35
	s_delay_alu instid0(SALU_CYCLE_1)
	s_and_b32 s14, s14, exec_lo
	s_or_saveexec_b32 s34, s34
	v_mov_b32_e32 v12, s31
	s_xor_b32 exec_lo, exec_lo, s34
	s_cbranch_execz .LBB2_4485
.LBB2_4905:                             ;   in Loop: Header=BB2_4380 Depth=3
	v_cmp_ne_u16_e64 vcc_lo, 0, v146
	v_mov_b32_e32 v12, 0
	s_and_not1_b32 s14, s14, exec_lo
	s_delay_alu instid0(VALU_DEP_2) | instskip(NEXT) | instid1(SALU_CYCLE_1)
	s_and_b32 vcc_lo, vcc_lo, exec_lo
	s_or_b32 s14, s14, vcc_lo
	s_or_b32 exec_lo, exec_lo, s34
	s_and_saveexec_b32 s31, s14
	s_cbranch_execnz .LBB2_4486
	s_branch .LBB2_4487
.LBB2_4906:                             ;   in Loop: Header=BB2_4380 Depth=3
	s_mov_b32 s14, -1
	s_mov_b32 s35, exec_lo
                                        ; implicit-def: $sgpr31
	v_cmpx_eq_u16_e64 0x80, v146
; %bb.4907:                             ;   in Loop: Header=BB2_4380 Depth=3
	s_mov_b32 s31, 0x7f800001
	s_xor_b32 s14, exec_lo, -1
; %bb.4908:                             ;   in Loop: Header=BB2_4380 Depth=3
	s_or_b32 exec_lo, exec_lo, s35
	s_delay_alu instid0(SALU_CYCLE_1)
	s_and_b32 s14, s14, exec_lo
                                        ; implicit-def: $vgpr146
	s_or_saveexec_b32 s34, s34
	v_mov_b32_e32 v12, s31
	s_xor_b32 exec_lo, exec_lo, s34
	s_cbranch_execz .LBB2_4499
.LBB2_4909:                             ;   in Loop: Header=BB2_4380 Depth=3
	v_cmp_ne_u16_e64 vcc_lo, 0, v146
	v_mov_b32_e32 v12, 0
	s_and_not1_b32 s14, s14, exec_lo
	s_delay_alu instid0(VALU_DEP_2) | instskip(NEXT) | instid1(SALU_CYCLE_1)
	s_and_b32 vcc_lo, vcc_lo, exec_lo
	s_or_b32 s14, s14, vcc_lo
	s_or_b32 exec_lo, exec_lo, s34
	s_and_saveexec_b32 s31, s14
	s_cbranch_execnz .LBB2_4500
	s_branch .LBB2_4501
.LBB2_4910:                             ;   in Loop: Header=BB2_4380 Depth=3
	s_mov_b32 s14, -1
	s_mov_b32 s35, exec_lo
                                        ; implicit-def: $sgpr31
	v_cmpx_eq_u16_e64 0x80, v147
; %bb.4911:                             ;   in Loop: Header=BB2_4380 Depth=3
	s_mov_b32 s31, 0x7f800001
	s_xor_b32 s14, exec_lo, -1
; %bb.4912:                             ;   in Loop: Header=BB2_4380 Depth=3
	s_or_b32 exec_lo, exec_lo, s35
	s_delay_alu instid0(SALU_CYCLE_1)
	s_and_b32 s14, s14, exec_lo
                                        ; implicit-def: $vgpr147
	s_or_saveexec_b32 s34, s34
	v_mov_b32_e32 v146, s31
	s_xor_b32 exec_lo, exec_lo, s34
	s_cbranch_execz .LBB2_4503
.LBB2_4913:                             ;   in Loop: Header=BB2_4380 Depth=3
	v_cmp_ne_u16_e64 vcc_lo, 0, v147
	v_mov_b32_e32 v146, 0
	s_and_not1_b32 s14, s14, exec_lo
	s_delay_alu instid0(VALU_DEP_2) | instskip(NEXT) | instid1(SALU_CYCLE_1)
	s_and_b32 vcc_lo, vcc_lo, exec_lo
	s_or_b32 s14, s14, vcc_lo
	s_or_b32 exec_lo, exec_lo, s34
	s_and_saveexec_b32 s31, s14
	s_cbranch_execnz .LBB2_4504
	s_branch .LBB2_4505
.LBB2_4914:                             ;   in Loop: Header=BB2_4380 Depth=3
	s_mov_b32 s14, -1
	s_mov_b32 s35, exec_lo
                                        ; implicit-def: $sgpr31
	v_cmpx_eq_u16_e64 0x80, v146
; %bb.4915:                             ;   in Loop: Header=BB2_4380 Depth=3
	s_mov_b32 s31, 0x7f800001
	s_xor_b32 s14, exec_lo, -1
; %bb.4916:                             ;   in Loop: Header=BB2_4380 Depth=3
	s_or_b32 exec_lo, exec_lo, s35
	s_delay_alu instid0(SALU_CYCLE_1)
	s_and_b32 s14, s14, exec_lo
                                        ; implicit-def: $vgpr146
	s_or_saveexec_b32 s34, s34
	v_mov_b32_e32 v12, s31
	s_xor_b32 exec_lo, exec_lo, s34
	s_cbranch_execz .LBB2_4510
.LBB2_4917:                             ;   in Loop: Header=BB2_4380 Depth=3
	v_cmp_ne_u16_e64 vcc_lo, 0, v146
	v_mov_b32_e32 v12, 0
	s_and_not1_b32 s14, s14, exec_lo
	s_delay_alu instid0(VALU_DEP_2) | instskip(NEXT) | instid1(SALU_CYCLE_1)
	s_and_b32 vcc_lo, vcc_lo, exec_lo
	s_or_b32 s14, s14, vcc_lo
	s_or_b32 exec_lo, exec_lo, s34
	s_and_saveexec_b32 s31, s14
	s_cbranch_execnz .LBB2_4511
	s_branch .LBB2_4512
.LBB2_4918:                             ;   in Loop: Header=BB2_4380 Depth=3
	s_mov_b32 s14, -1
	s_mov_b32 s35, exec_lo
                                        ; implicit-def: $sgpr31
	v_cmpx_eq_u16_e64 0x80, v147
; %bb.4919:                             ;   in Loop: Header=BB2_4380 Depth=3
	s_mov_b32 s31, 0x7f800001
	s_xor_b32 s14, exec_lo, -1
; %bb.4920:                             ;   in Loop: Header=BB2_4380 Depth=3
	s_or_b32 exec_lo, exec_lo, s35
	s_delay_alu instid0(SALU_CYCLE_1)
	s_and_b32 s14, s14, exec_lo
                                        ; implicit-def: $vgpr147
	s_or_saveexec_b32 s34, s34
	v_mov_b32_e32 v146, s31
	s_xor_b32 exec_lo, exec_lo, s34
	s_cbranch_execz .LBB2_4514
.LBB2_4921:                             ;   in Loop: Header=BB2_4380 Depth=3
	v_cmp_ne_u16_e64 vcc_lo, 0, v147
	v_mov_b32_e32 v146, 0
	s_and_not1_b32 s14, s14, exec_lo
	s_delay_alu instid0(VALU_DEP_2) | instskip(NEXT) | instid1(SALU_CYCLE_1)
	s_and_b32 vcc_lo, vcc_lo, exec_lo
	s_or_b32 s14, s14, vcc_lo
	s_or_b32 exec_lo, exec_lo, s34
	s_and_saveexec_b32 s31, s14
	s_cbranch_execnz .LBB2_4515
	s_branch .LBB2_4516
.LBB2_4922:                             ;   in Loop: Header=BB2_4380 Depth=3
	s_mov_b32 s14, -1
	s_mov_b32 s35, exec_lo
                                        ; implicit-def: $sgpr31
	v_cmpx_eq_u16_e64 0x80, v147
; %bb.4923:                             ;   in Loop: Header=BB2_4380 Depth=3
	s_mov_b32 s31, 0x7f800001
	s_xor_b32 s14, exec_lo, -1
; %bb.4924:                             ;   in Loop: Header=BB2_4380 Depth=3
	s_or_b32 exec_lo, exec_lo, s35
	s_delay_alu instid0(SALU_CYCLE_1)
	s_and_b32 s14, s14, exec_lo
	s_or_saveexec_b32 s34, s34
	v_mov_b32_e32 v148, s31
	s_xor_b32 exec_lo, exec_lo, s34
	s_cbranch_execz .LBB2_4528
.LBB2_4925:                             ;   in Loop: Header=BB2_4380 Depth=3
	v_cmp_ne_u16_e64 vcc_lo, 0, v147
	v_mov_b32_e32 v148, 0
	s_and_not1_b32 s14, s14, exec_lo
	s_delay_alu instid0(VALU_DEP_2) | instskip(NEXT) | instid1(SALU_CYCLE_1)
	s_and_b32 vcc_lo, vcc_lo, exec_lo
	s_or_b32 s14, s14, vcc_lo
	s_or_b32 exec_lo, exec_lo, s34
	s_and_saveexec_b32 s31, s14
	s_cbranch_execnz .LBB2_4529
	s_branch .LBB2_4530
.LBB2_4926:                             ;   in Loop: Header=BB2_4380 Depth=3
	s_mov_b32 s14, -1
	s_mov_b32 s35, exec_lo
                                        ; implicit-def: $sgpr31
	v_cmpx_eq_u16_e64 0x80, v146
; %bb.4927:                             ;   in Loop: Header=BB2_4380 Depth=3
	s_mov_b32 s31, 0x7f800001
	s_xor_b32 s14, exec_lo, -1
; %bb.4928:                             ;   in Loop: Header=BB2_4380 Depth=3
	s_or_b32 exec_lo, exec_lo, s35
	s_delay_alu instid0(SALU_CYCLE_1)
	s_and_b32 s14, s14, exec_lo
	s_or_saveexec_b32 s34, s34
	v_mov_b32_e32 v149, s31
	s_xor_b32 exec_lo, exec_lo, s34
	s_cbranch_execz .LBB2_4532
.LBB2_4929:                             ;   in Loop: Header=BB2_4380 Depth=3
	v_cmp_ne_u16_e64 vcc_lo, 0, v146
	v_mov_b32_e32 v149, 0
	s_and_not1_b32 s14, s14, exec_lo
	s_delay_alu instid0(VALU_DEP_2) | instskip(NEXT) | instid1(SALU_CYCLE_1)
	s_and_b32 vcc_lo, vcc_lo, exec_lo
	s_or_b32 s14, s14, vcc_lo
	s_or_b32 exec_lo, exec_lo, s34
	s_and_saveexec_b32 s31, s14
	s_cbranch_execnz .LBB2_4533
	s_branch .LBB2_4534
.LBB2_4930:                             ;   in Loop: Header=BB2_4380 Depth=3
	s_mov_b32 s14, -1
	s_mov_b32 s35, exec_lo
                                        ; implicit-def: $sgpr31
	v_cmpx_eq_u16_e64 0x80, v147
; %bb.4931:                             ;   in Loop: Header=BB2_4380 Depth=3
	s_mov_b32 s31, 0x7f800001
	s_xor_b32 s14, exec_lo, -1
; %bb.4932:                             ;   in Loop: Header=BB2_4380 Depth=3
	s_or_b32 exec_lo, exec_lo, s35
	s_delay_alu instid0(SALU_CYCLE_1)
	s_and_b32 s14, s14, exec_lo
	s_or_saveexec_b32 s34, s34
	v_mov_b32_e32 v148, s31
	s_xor_b32 exec_lo, exec_lo, s34
	s_cbranch_execz .LBB2_4539
.LBB2_4933:                             ;   in Loop: Header=BB2_4380 Depth=3
	v_cmp_ne_u16_e64 vcc_lo, 0, v147
	v_mov_b32_e32 v148, 0
	s_and_not1_b32 s14, s14, exec_lo
	s_delay_alu instid0(VALU_DEP_2) | instskip(NEXT) | instid1(SALU_CYCLE_1)
	s_and_b32 vcc_lo, vcc_lo, exec_lo
	s_or_b32 s14, s14, vcc_lo
	s_or_b32 exec_lo, exec_lo, s34
	s_and_saveexec_b32 s31, s14
	s_cbranch_execnz .LBB2_4540
	s_branch .LBB2_4541
.LBB2_4934:                             ;   in Loop: Header=BB2_4380 Depth=3
	s_mov_b32 s14, -1
	s_mov_b32 s35, exec_lo
                                        ; implicit-def: $sgpr31
	v_cmpx_eq_u16_e64 0x80, v146
; %bb.4935:                             ;   in Loop: Header=BB2_4380 Depth=3
	s_mov_b32 s31, 0x7f800001
	s_xor_b32 s14, exec_lo, -1
; %bb.4936:                             ;   in Loop: Header=BB2_4380 Depth=3
	s_or_b32 exec_lo, exec_lo, s35
	s_delay_alu instid0(SALU_CYCLE_1)
	s_and_b32 s14, s14, exec_lo
	s_or_saveexec_b32 s34, s34
	v_mov_b32_e32 v147, s31
	s_xor_b32 exec_lo, exec_lo, s34
	s_cbranch_execz .LBB2_4543
.LBB2_4937:                             ;   in Loop: Header=BB2_4380 Depth=3
	v_cmp_ne_u16_e64 vcc_lo, 0, v146
	v_mov_b32_e32 v147, 0
	s_and_not1_b32 s14, s14, exec_lo
	s_delay_alu instid0(VALU_DEP_2) | instskip(NEXT) | instid1(SALU_CYCLE_1)
	s_and_b32 vcc_lo, vcc_lo, exec_lo
	s_or_b32 s14, s14, vcc_lo
	s_or_b32 exec_lo, exec_lo, s34
	s_and_saveexec_b32 s31, s14
	s_cbranch_execnz .LBB2_4544
	s_branch .LBB2_4545
.LBB2_4938:                             ;   in Loop: Header=BB2_4380 Depth=3
	s_mov_b32 s14, -1
	s_mov_b32 s35, exec_lo
                                        ; implicit-def: $sgpr31
	v_cmpx_eq_u16_e64 0x80, v150
; %bb.4939:                             ;   in Loop: Header=BB2_4380 Depth=3
	s_mov_b32 s31, 0x7f800001
	s_xor_b32 s14, exec_lo, -1
; %bb.4940:                             ;   in Loop: Header=BB2_4380 Depth=3
	s_or_b32 exec_lo, exec_lo, s35
	s_delay_alu instid0(SALU_CYCLE_1)
	s_and_b32 s14, s14, exec_lo
                                        ; implicit-def: $vgpr150
	s_or_saveexec_b32 s34, s34
	v_mov_b32_e32 v149, s31
	s_xor_b32 exec_lo, exec_lo, s34
	s_cbranch_execz .LBB2_4557
.LBB2_4941:                             ;   in Loop: Header=BB2_4380 Depth=3
	v_cmp_ne_u16_e64 vcc_lo, 0, v150
	v_mov_b32_e32 v149, 0
	s_and_not1_b32 s14, s14, exec_lo
	s_delay_alu instid0(VALU_DEP_2) | instskip(NEXT) | instid1(SALU_CYCLE_1)
	s_and_b32 vcc_lo, vcc_lo, exec_lo
	s_or_b32 s14, s14, vcc_lo
	s_or_b32 exec_lo, exec_lo, s34
	s_and_saveexec_b32 s31, s14
	s_cbranch_execnz .LBB2_4558
	s_branch .LBB2_4559
.LBB2_4942:                             ;   in Loop: Header=BB2_4380 Depth=3
	s_mov_b32 s14, -1
	s_mov_b32 s35, exec_lo
                                        ; implicit-def: $sgpr31
	v_cmpx_eq_u16_e64 0x80, v151
; %bb.4943:                             ;   in Loop: Header=BB2_4380 Depth=3
	s_mov_b32 s31, 0x7f800001
	s_xor_b32 s14, exec_lo, -1
; %bb.4944:                             ;   in Loop: Header=BB2_4380 Depth=3
	s_or_b32 exec_lo, exec_lo, s35
	s_delay_alu instid0(SALU_CYCLE_1)
	s_and_b32 s14, s14, exec_lo
                                        ; implicit-def: $vgpr151
	s_or_saveexec_b32 s34, s34
	v_mov_b32_e32 v150, s31
	s_xor_b32 exec_lo, exec_lo, s34
	s_cbranch_execz .LBB2_4561
.LBB2_4945:                             ;   in Loop: Header=BB2_4380 Depth=3
	v_cmp_ne_u16_e64 vcc_lo, 0, v151
	v_mov_b32_e32 v150, 0
	s_and_not1_b32 s14, s14, exec_lo
	s_delay_alu instid0(VALU_DEP_2) | instskip(NEXT) | instid1(SALU_CYCLE_1)
	s_and_b32 vcc_lo, vcc_lo, exec_lo
	s_or_b32 s14, s14, vcc_lo
	s_or_b32 exec_lo, exec_lo, s34
	s_and_saveexec_b32 s31, s14
	s_cbranch_execnz .LBB2_4562
	s_branch .LBB2_4563
.LBB2_4946:                             ;   in Loop: Header=BB2_4380 Depth=3
	s_mov_b32 s14, -1
	s_mov_b32 s35, exec_lo
                                        ; implicit-def: $sgpr31
	v_cmpx_eq_u16_e64 0x80, v150
; %bb.4947:                             ;   in Loop: Header=BB2_4380 Depth=3
	s_mov_b32 s31, 0x7f800001
	s_xor_b32 s14, exec_lo, -1
; %bb.4948:                             ;   in Loop: Header=BB2_4380 Depth=3
	s_or_b32 exec_lo, exec_lo, s35
	s_delay_alu instid0(SALU_CYCLE_1)
	s_and_b32 s14, s14, exec_lo
                                        ; implicit-def: $vgpr150
	s_or_saveexec_b32 s34, s34
	v_mov_b32_e32 v149, s31
	s_xor_b32 exec_lo, exec_lo, s34
	s_cbranch_execz .LBB2_4568
.LBB2_4949:                             ;   in Loop: Header=BB2_4380 Depth=3
	v_cmp_ne_u16_e64 vcc_lo, 0, v150
	v_mov_b32_e32 v149, 0
	s_and_not1_b32 s14, s14, exec_lo
	s_delay_alu instid0(VALU_DEP_2) | instskip(NEXT) | instid1(SALU_CYCLE_1)
	s_and_b32 vcc_lo, vcc_lo, exec_lo
	s_or_b32 s14, s14, vcc_lo
	s_or_b32 exec_lo, exec_lo, s34
	s_and_saveexec_b32 s31, s14
	s_cbranch_execnz .LBB2_4569
	s_branch .LBB2_4570
.LBB2_4950:                             ;   in Loop: Header=BB2_4380 Depth=3
	s_mov_b32 s14, -1
	s_mov_b32 s35, exec_lo
                                        ; implicit-def: $sgpr31
	v_cmpx_eq_u16_e64 0x80, v150
; %bb.4951:                             ;   in Loop: Header=BB2_4380 Depth=3
	s_mov_b32 s31, 0x7f800001
	s_xor_b32 s14, exec_lo, -1
; %bb.4952:                             ;   in Loop: Header=BB2_4380 Depth=3
	s_or_b32 exec_lo, exec_lo, s35
	s_delay_alu instid0(SALU_CYCLE_1)
	s_and_b32 s14, s14, exec_lo
                                        ; implicit-def: $vgpr150
	s_or_saveexec_b32 s34, s34
	v_mov_b32_e32 v148, s31
	s_xor_b32 exec_lo, exec_lo, s34
	s_cbranch_execz .LBB2_4572
.LBB2_4953:                             ;   in Loop: Header=BB2_4380 Depth=3
	v_cmp_ne_u16_e64 vcc_lo, 0, v150
	v_mov_b32_e32 v148, 0
	s_and_not1_b32 s14, s14, exec_lo
	s_delay_alu instid0(VALU_DEP_2) | instskip(NEXT) | instid1(SALU_CYCLE_1)
	s_and_b32 vcc_lo, vcc_lo, exec_lo
	s_or_b32 s14, s14, vcc_lo
	s_or_b32 exec_lo, exec_lo, s34
	s_and_saveexec_b32 s31, s14
	s_cbranch_execnz .LBB2_4573
	s_branch .LBB2_4574
.LBB2_4954:                             ;   in Loop: Header=BB2_4380 Depth=3
	s_mov_b32 s14, -1
	s_mov_b32 s35, exec_lo
                                        ; implicit-def: $sgpr31
	v_cmpx_eq_u16_e64 0x80, v149
; %bb.4955:                             ;   in Loop: Header=BB2_4380 Depth=3
	s_mov_b32 s31, 0x7f800001
	s_xor_b32 s14, exec_lo, -1
; %bb.4956:                             ;   in Loop: Header=BB2_4380 Depth=3
	s_or_b32 exec_lo, exec_lo, s35
	s_delay_alu instid0(SALU_CYCLE_1)
	s_and_b32 s14, s14, exec_lo
	s_or_saveexec_b32 s34, s34
	v_mov_b32_e32 v150, s31
	s_xor_b32 exec_lo, exec_lo, s34
	s_cbranch_execz .LBB2_4586
.LBB2_4957:                             ;   in Loop: Header=BB2_4380 Depth=3
	v_cmp_ne_u16_e64 vcc_lo, 0, v149
	v_mov_b32_e32 v150, 0
	s_and_not1_b32 s14, s14, exec_lo
	s_delay_alu instid0(VALU_DEP_2) | instskip(NEXT) | instid1(SALU_CYCLE_1)
	s_and_b32 vcc_lo, vcc_lo, exec_lo
	s_or_b32 s14, s14, vcc_lo
	s_or_b32 exec_lo, exec_lo, s34
	s_and_saveexec_b32 s31, s14
	s_cbranch_execnz .LBB2_4587
	s_branch .LBB2_4588
.LBB2_4958:                             ;   in Loop: Header=BB2_4380 Depth=3
	s_mov_b32 s14, -1
	s_mov_b32 s35, exec_lo
                                        ; implicit-def: $sgpr31
	v_cmpx_eq_u16_e64 0x80, v148
; %bb.4959:                             ;   in Loop: Header=BB2_4380 Depth=3
	s_mov_b32 s31, 0x7f800001
	s_xor_b32 s14, exec_lo, -1
; %bb.4960:                             ;   in Loop: Header=BB2_4380 Depth=3
	s_or_b32 exec_lo, exec_lo, s35
	s_delay_alu instid0(SALU_CYCLE_1)
	s_and_b32 s14, s14, exec_lo
	s_or_saveexec_b32 s34, s34
	v_mov_b32_e32 v151, s31
	s_xor_b32 exec_lo, exec_lo, s34
	s_cbranch_execz .LBB2_4590
.LBB2_4961:                             ;   in Loop: Header=BB2_4380 Depth=3
	v_cmp_ne_u16_e64 vcc_lo, 0, v148
	v_mov_b32_e32 v151, 0
	s_and_not1_b32 s14, s14, exec_lo
	s_delay_alu instid0(VALU_DEP_2) | instskip(NEXT) | instid1(SALU_CYCLE_1)
	s_and_b32 vcc_lo, vcc_lo, exec_lo
	s_or_b32 s14, s14, vcc_lo
	s_or_b32 exec_lo, exec_lo, s34
	s_and_saveexec_b32 s31, s14
	s_cbranch_execnz .LBB2_4591
	s_branch .LBB2_4592
.LBB2_4962:                             ;   in Loop: Header=BB2_4380 Depth=3
	s_mov_b32 s14, -1
	s_mov_b32 s35, exec_lo
                                        ; implicit-def: $sgpr31
	v_cmpx_eq_u16_e64 0x80, v149
; %bb.4963:                             ;   in Loop: Header=BB2_4380 Depth=3
	s_mov_b32 s31, 0x7f800001
	s_xor_b32 s14, exec_lo, -1
; %bb.4964:                             ;   in Loop: Header=BB2_4380 Depth=3
	s_or_b32 exec_lo, exec_lo, s35
	s_delay_alu instid0(SALU_CYCLE_1)
	s_and_b32 s14, s14, exec_lo
	s_or_saveexec_b32 s34, s34
	v_mov_b32_e32 v150, s31
	s_xor_b32 exec_lo, exec_lo, s34
	s_cbranch_execz .LBB2_4597
.LBB2_4965:                             ;   in Loop: Header=BB2_4380 Depth=3
	v_cmp_ne_u16_e64 vcc_lo, 0, v149
	v_mov_b32_e32 v150, 0
	s_and_not1_b32 s14, s14, exec_lo
	s_delay_alu instid0(VALU_DEP_2) | instskip(NEXT) | instid1(SALU_CYCLE_1)
	s_and_b32 vcc_lo, vcc_lo, exec_lo
	s_or_b32 s14, s14, vcc_lo
	s_or_b32 exec_lo, exec_lo, s34
	s_and_saveexec_b32 s31, s14
	s_cbranch_execnz .LBB2_4598
	s_branch .LBB2_4599
.LBB2_4966:                             ;   in Loop: Header=BB2_4380 Depth=3
	s_mov_b32 s14, -1
	s_mov_b32 s35, exec_lo
                                        ; implicit-def: $sgpr31
	v_cmpx_eq_u16_e64 0x80, v148
; %bb.4967:                             ;   in Loop: Header=BB2_4380 Depth=3
	s_mov_b32 s31, 0x7f800001
	s_xor_b32 s14, exec_lo, -1
; %bb.4968:                             ;   in Loop: Header=BB2_4380 Depth=3
	s_or_b32 exec_lo, exec_lo, s35
	s_delay_alu instid0(SALU_CYCLE_1)
	s_and_b32 s14, s14, exec_lo
	s_or_saveexec_b32 s34, s34
	v_mov_b32_e32 v13, s31
	s_xor_b32 exec_lo, exec_lo, s34
	s_cbranch_execz .LBB2_4601
.LBB2_4969:                             ;   in Loop: Header=BB2_4380 Depth=3
	v_cmp_ne_u16_e64 vcc_lo, 0, v148
	v_mov_b32_e32 v13, 0
	s_and_not1_b32 s14, s14, exec_lo
	s_delay_alu instid0(VALU_DEP_2) | instskip(NEXT) | instid1(SALU_CYCLE_1)
	s_and_b32 vcc_lo, vcc_lo, exec_lo
	s_or_b32 s14, s14, vcc_lo
	s_or_b32 exec_lo, exec_lo, s34
	s_and_saveexec_b32 s31, s14
	s_cbranch_execnz .LBB2_4602
	s_branch .LBB2_4603
.LBB2_4970:                             ;   in Loop: Header=BB2_4380 Depth=3
	s_mov_b32 s14, -1
	s_mov_b32 s35, exec_lo
                                        ; implicit-def: $sgpr31
	v_cmpx_eq_u16_e64 0x80, v148
; %bb.4971:                             ;   in Loop: Header=BB2_4380 Depth=3
	s_mov_b32 s31, 0x7f800001
	s_xor_b32 s14, exec_lo, -1
; %bb.4972:                             ;   in Loop: Header=BB2_4380 Depth=3
	s_or_b32 exec_lo, exec_lo, s35
	s_delay_alu instid0(SALU_CYCLE_1)
	s_and_b32 s14, s14, exec_lo
                                        ; implicit-def: $vgpr148
	s_or_saveexec_b32 s34, s34
	v_mov_b32_e32 v13, s31
	s_xor_b32 exec_lo, exec_lo, s34
	s_cbranch_execz .LBB2_4615
.LBB2_4973:                             ;   in Loop: Header=BB2_4380 Depth=3
	v_cmp_ne_u16_e64 vcc_lo, 0, v148
	v_mov_b32_e32 v13, 0
	s_and_not1_b32 s14, s14, exec_lo
	s_delay_alu instid0(VALU_DEP_2) | instskip(NEXT) | instid1(SALU_CYCLE_1)
	s_and_b32 vcc_lo, vcc_lo, exec_lo
	s_or_b32 s14, s14, vcc_lo
	s_or_b32 exec_lo, exec_lo, s34
	s_and_saveexec_b32 s31, s14
	s_cbranch_execnz .LBB2_4616
	s_branch .LBB2_4617
.LBB2_4974:                             ;   in Loop: Header=BB2_4380 Depth=3
	s_mov_b32 s14, -1
	s_mov_b32 s35, exec_lo
                                        ; implicit-def: $sgpr31
	v_cmpx_eq_u16_e64 0x80, v149
; %bb.4975:                             ;   in Loop: Header=BB2_4380 Depth=3
	s_mov_b32 s31, 0x7f800001
	s_xor_b32 s14, exec_lo, -1
; %bb.4976:                             ;   in Loop: Header=BB2_4380 Depth=3
	s_or_b32 exec_lo, exec_lo, s35
	s_delay_alu instid0(SALU_CYCLE_1)
	s_and_b32 s14, s14, exec_lo
                                        ; implicit-def: $vgpr149
	s_or_saveexec_b32 s34, s34
	v_mov_b32_e32 v148, s31
	s_xor_b32 exec_lo, exec_lo, s34
	s_cbranch_execz .LBB2_4619
.LBB2_4977:                             ;   in Loop: Header=BB2_4380 Depth=3
	v_cmp_ne_u16_e64 vcc_lo, 0, v149
	v_mov_b32_e32 v148, 0
	s_and_not1_b32 s14, s14, exec_lo
	s_delay_alu instid0(VALU_DEP_2) | instskip(NEXT) | instid1(SALU_CYCLE_1)
	s_and_b32 vcc_lo, vcc_lo, exec_lo
	s_or_b32 s14, s14, vcc_lo
	s_or_b32 exec_lo, exec_lo, s34
	s_and_saveexec_b32 s31, s14
	s_cbranch_execnz .LBB2_4620
	s_branch .LBB2_4621
.LBB2_4978:                             ;   in Loop: Header=BB2_4380 Depth=3
	s_mov_b32 s14, -1
	s_mov_b32 s35, exec_lo
                                        ; implicit-def: $sgpr31
	v_cmpx_eq_u16_e64 0x80, v148
; %bb.4979:                             ;   in Loop: Header=BB2_4380 Depth=3
	s_mov_b32 s31, 0x7f800001
	s_xor_b32 s14, exec_lo, -1
; %bb.4980:                             ;   in Loop: Header=BB2_4380 Depth=3
	s_or_b32 exec_lo, exec_lo, s35
	s_delay_alu instid0(SALU_CYCLE_1)
	s_and_b32 s14, s14, exec_lo
                                        ; implicit-def: $vgpr148
	s_or_saveexec_b32 s34, s34
	v_mov_b32_e32 v13, s31
	s_xor_b32 exec_lo, exec_lo, s34
	s_cbranch_execz .LBB2_4626
.LBB2_4981:                             ;   in Loop: Header=BB2_4380 Depth=3
	v_cmp_ne_u16_e64 vcc_lo, 0, v148
	v_mov_b32_e32 v13, 0
	s_and_not1_b32 s14, s14, exec_lo
	s_delay_alu instid0(VALU_DEP_2) | instskip(NEXT) | instid1(SALU_CYCLE_1)
	s_and_b32 vcc_lo, vcc_lo, exec_lo
	s_or_b32 s14, s14, vcc_lo
	s_or_b32 exec_lo, exec_lo, s34
	s_and_saveexec_b32 s31, s14
	s_cbranch_execnz .LBB2_4627
	s_branch .LBB2_4628
.LBB2_4982:                             ;   in Loop: Header=BB2_4380 Depth=3
	s_mov_b32 s14, -1
	s_mov_b32 s35, exec_lo
                                        ; implicit-def: $sgpr31
	v_cmpx_eq_u16_e64 0x80, v149
; %bb.4983:                             ;   in Loop: Header=BB2_4380 Depth=3
	s_mov_b32 s31, 0x7f800001
	s_xor_b32 s14, exec_lo, -1
; %bb.4984:                             ;   in Loop: Header=BB2_4380 Depth=3
	s_or_b32 exec_lo, exec_lo, s35
	s_delay_alu instid0(SALU_CYCLE_1)
	s_and_b32 s14, s14, exec_lo
                                        ; implicit-def: $vgpr149
	s_or_saveexec_b32 s34, s34
	v_mov_b32_e32 v148, s31
	s_xor_b32 exec_lo, exec_lo, s34
	s_cbranch_execz .LBB2_4630
.LBB2_4985:                             ;   in Loop: Header=BB2_4380 Depth=3
	v_cmp_ne_u16_e64 vcc_lo, 0, v149
	v_mov_b32_e32 v148, 0
	s_and_not1_b32 s14, s14, exec_lo
	s_delay_alu instid0(VALU_DEP_2) | instskip(NEXT) | instid1(SALU_CYCLE_1)
	s_and_b32 vcc_lo, vcc_lo, exec_lo
	s_or_b32 s14, s14, vcc_lo
	s_or_b32 exec_lo, exec_lo, s34
	s_and_saveexec_b32 s31, s14
	s_cbranch_execnz .LBB2_4631
	s_branch .LBB2_4632
.LBB2_4986:                             ;   in Loop: Header=BB2_4380 Depth=3
	s_mov_b32 s14, -1
	s_mov_b32 s35, exec_lo
                                        ; implicit-def: $sgpr31
	v_cmpx_eq_u16_e64 0x80, v149
; %bb.4987:                             ;   in Loop: Header=BB2_4380 Depth=3
	s_mov_b32 s31, 0x7f800001
	s_xor_b32 s14, exec_lo, -1
; %bb.4988:                             ;   in Loop: Header=BB2_4380 Depth=3
	s_or_b32 exec_lo, exec_lo, s35
	s_delay_alu instid0(SALU_CYCLE_1)
	s_and_b32 s14, s14, exec_lo
	s_or_saveexec_b32 s34, s34
	v_mov_b32_e32 v150, s31
	s_xor_b32 exec_lo, exec_lo, s34
	s_cbranch_execz .LBB2_4644
.LBB2_4989:                             ;   in Loop: Header=BB2_4380 Depth=3
	v_cmp_ne_u16_e64 vcc_lo, 0, v149
	v_mov_b32_e32 v150, 0
	s_and_not1_b32 s14, s14, exec_lo
	s_delay_alu instid0(VALU_DEP_2) | instskip(NEXT) | instid1(SALU_CYCLE_1)
	s_and_b32 vcc_lo, vcc_lo, exec_lo
	s_or_b32 s14, s14, vcc_lo
	s_or_b32 exec_lo, exec_lo, s34
	s_and_saveexec_b32 s31, s14
	s_cbranch_execnz .LBB2_4645
	s_branch .LBB2_4646
.LBB2_4990:                             ;   in Loop: Header=BB2_4380 Depth=3
	s_mov_b32 s14, -1
	s_mov_b32 s35, exec_lo
                                        ; implicit-def: $sgpr31
	v_cmpx_eq_u16_e64 0x80, v148
; %bb.4991:                             ;   in Loop: Header=BB2_4380 Depth=3
	s_mov_b32 s31, 0x7f800001
	s_xor_b32 s14, exec_lo, -1
; %bb.4992:                             ;   in Loop: Header=BB2_4380 Depth=3
	s_or_b32 exec_lo, exec_lo, s35
	s_delay_alu instid0(SALU_CYCLE_1)
	s_and_b32 s14, s14, exec_lo
	s_or_saveexec_b32 s34, s34
	v_mov_b32_e32 v151, s31
	s_xor_b32 exec_lo, exec_lo, s34
	s_cbranch_execz .LBB2_4648
.LBB2_4993:                             ;   in Loop: Header=BB2_4380 Depth=3
	v_cmp_ne_u16_e64 vcc_lo, 0, v148
	v_mov_b32_e32 v151, 0
	s_and_not1_b32 s14, s14, exec_lo
	s_delay_alu instid0(VALU_DEP_2) | instskip(NEXT) | instid1(SALU_CYCLE_1)
	s_and_b32 vcc_lo, vcc_lo, exec_lo
	s_or_b32 s14, s14, vcc_lo
	s_or_b32 exec_lo, exec_lo, s34
	s_and_saveexec_b32 s31, s14
	s_cbranch_execnz .LBB2_4649
	s_branch .LBB2_4650
.LBB2_4994:                             ;   in Loop: Header=BB2_4380 Depth=3
	s_mov_b32 s14, -1
	s_mov_b32 s35, exec_lo
                                        ; implicit-def: $sgpr31
	v_cmpx_eq_u16_e64 0x80, v149
; %bb.4995:                             ;   in Loop: Header=BB2_4380 Depth=3
	s_mov_b32 s31, 0x7f800001
	s_xor_b32 s14, exec_lo, -1
; %bb.4996:                             ;   in Loop: Header=BB2_4380 Depth=3
	s_or_b32 exec_lo, exec_lo, s35
	s_delay_alu instid0(SALU_CYCLE_1)
	s_and_b32 s14, s14, exec_lo
	s_or_saveexec_b32 s34, s34
	v_mov_b32_e32 v150, s31
	s_xor_b32 exec_lo, exec_lo, s34
	s_cbranch_execz .LBB2_4655
.LBB2_4997:                             ;   in Loop: Header=BB2_4380 Depth=3
	v_cmp_ne_u16_e64 vcc_lo, 0, v149
	v_mov_b32_e32 v150, 0
	s_and_not1_b32 s14, s14, exec_lo
	s_delay_alu instid0(VALU_DEP_2) | instskip(NEXT) | instid1(SALU_CYCLE_1)
	s_and_b32 vcc_lo, vcc_lo, exec_lo
	s_or_b32 s14, s14, vcc_lo
	s_or_b32 exec_lo, exec_lo, s34
	s_and_saveexec_b32 s31, s14
	s_cbranch_execnz .LBB2_4656
	s_branch .LBB2_4657
.LBB2_4998:                             ;   in Loop: Header=BB2_4380 Depth=3
	s_mov_b32 s14, -1
	s_mov_b32 s35, exec_lo
                                        ; implicit-def: $sgpr31
	v_cmpx_eq_u16_e64 0x80, v148
; %bb.4999:                             ;   in Loop: Header=BB2_4380 Depth=3
	s_mov_b32 s31, 0x7f800001
	s_xor_b32 s14, exec_lo, -1
; %bb.5000:                             ;   in Loop: Header=BB2_4380 Depth=3
	s_or_b32 exec_lo, exec_lo, s35
	s_delay_alu instid0(SALU_CYCLE_1)
	s_and_b32 s14, s14, exec_lo
	s_or_saveexec_b32 s34, s34
	v_mov_b32_e32 v149, s31
	s_xor_b32 exec_lo, exec_lo, s34
	s_cbranch_execz .LBB2_4659
.LBB2_5001:                             ;   in Loop: Header=BB2_4380 Depth=3
	v_cmp_ne_u16_e64 vcc_lo, 0, v148
	v_mov_b32_e32 v149, 0
	s_and_not1_b32 s14, s14, exec_lo
	s_delay_alu instid0(VALU_DEP_2) | instskip(NEXT) | instid1(SALU_CYCLE_1)
	s_and_b32 vcc_lo, vcc_lo, exec_lo
	s_or_b32 s14, s14, vcc_lo
	s_or_b32 exec_lo, exec_lo, s34
	s_and_saveexec_b32 s31, s14
	s_cbranch_execnz .LBB2_4660
	s_branch .LBB2_4661
.LBB2_5002:                             ;   in Loop: Header=BB2_4380 Depth=3
	s_mov_b32 s14, -1
	s_mov_b32 s35, exec_lo
                                        ; implicit-def: $sgpr31
	v_cmpx_eq_u16_e64 0x80, v160
; %bb.5003:                             ;   in Loop: Header=BB2_4380 Depth=3
	s_mov_b32 s31, 0x7f800001
	s_xor_b32 s14, exec_lo, -1
; %bb.5004:                             ;   in Loop: Header=BB2_4380 Depth=3
	s_or_b32 exec_lo, exec_lo, s35
	s_delay_alu instid0(SALU_CYCLE_1)
	s_and_b32 s14, s14, exec_lo
                                        ; implicit-def: $vgpr160
	s_or_saveexec_b32 s34, s34
	v_mov_b32_e32 v151, s31
	s_xor_b32 exec_lo, exec_lo, s34
	s_cbranch_execz .LBB2_4673
.LBB2_5005:                             ;   in Loop: Header=BB2_4380 Depth=3
	v_cmp_ne_u16_e64 vcc_lo, 0, v160
	v_mov_b32_e32 v151, 0
	s_and_not1_b32 s14, s14, exec_lo
	s_delay_alu instid0(VALU_DEP_2) | instskip(NEXT) | instid1(SALU_CYCLE_1)
	s_and_b32 vcc_lo, vcc_lo, exec_lo
	s_or_b32 s14, s14, vcc_lo
	s_or_b32 exec_lo, exec_lo, s34
	s_and_saveexec_b32 s31, s14
	s_cbranch_execnz .LBB2_4674
	s_branch .LBB2_4675
.LBB2_5006:                             ;   in Loop: Header=BB2_4380 Depth=3
	s_mov_b32 s14, -1
	s_mov_b32 s35, exec_lo
                                        ; implicit-def: $sgpr31
	v_cmpx_eq_u16_e64 0x80, v161
; %bb.5007:                             ;   in Loop: Header=BB2_4380 Depth=3
	s_mov_b32 s31, 0x7f800001
	s_xor_b32 s14, exec_lo, -1
; %bb.5008:                             ;   in Loop: Header=BB2_4380 Depth=3
	s_or_b32 exec_lo, exec_lo, s35
	s_delay_alu instid0(SALU_CYCLE_1)
	s_and_b32 s14, s14, exec_lo
                                        ; implicit-def: $vgpr161
	s_or_saveexec_b32 s34, s34
	v_mov_b32_e32 v160, s31
	s_xor_b32 exec_lo, exec_lo, s34
	s_cbranch_execz .LBB2_4677
.LBB2_5009:                             ;   in Loop: Header=BB2_4380 Depth=3
	v_cmp_ne_u16_e64 vcc_lo, 0, v161
	v_mov_b32_e32 v160, 0
	s_and_not1_b32 s14, s14, exec_lo
	s_delay_alu instid0(VALU_DEP_2) | instskip(NEXT) | instid1(SALU_CYCLE_1)
	s_and_b32 vcc_lo, vcc_lo, exec_lo
	s_or_b32 s14, s14, vcc_lo
	s_or_b32 exec_lo, exec_lo, s34
	s_and_saveexec_b32 s31, s14
	s_cbranch_execnz .LBB2_4678
	s_branch .LBB2_4679
.LBB2_5010:                             ;   in Loop: Header=BB2_4380 Depth=3
	s_mov_b32 s14, -1
	s_mov_b32 s35, exec_lo
                                        ; implicit-def: $sgpr31
	v_cmpx_eq_u16_e64 0x80, v160
; %bb.5011:                             ;   in Loop: Header=BB2_4380 Depth=3
	s_mov_b32 s31, 0x7f800001
	s_xor_b32 s14, exec_lo, -1
; %bb.5012:                             ;   in Loop: Header=BB2_4380 Depth=3
	s_or_b32 exec_lo, exec_lo, s35
	s_delay_alu instid0(SALU_CYCLE_1)
	s_and_b32 s14, s14, exec_lo
                                        ; implicit-def: $vgpr160
	s_or_saveexec_b32 s34, s34
	v_mov_b32_e32 v151, s31
	s_xor_b32 exec_lo, exec_lo, s34
	s_cbranch_execz .LBB2_4684
.LBB2_5013:                             ;   in Loop: Header=BB2_4380 Depth=3
	v_cmp_ne_u16_e64 vcc_lo, 0, v160
	v_mov_b32_e32 v151, 0
	s_and_not1_b32 s14, s14, exec_lo
	s_delay_alu instid0(VALU_DEP_2) | instskip(NEXT) | instid1(SALU_CYCLE_1)
	s_and_b32 vcc_lo, vcc_lo, exec_lo
	s_or_b32 s14, s14, vcc_lo
	s_or_b32 exec_lo, exec_lo, s34
	s_and_saveexec_b32 s31, s14
	s_cbranch_execnz .LBB2_4685
	s_branch .LBB2_4686
.LBB2_5014:                             ;   in Loop: Header=BB2_4380 Depth=3
	s_mov_b32 s14, -1
	s_mov_b32 s35, exec_lo
                                        ; implicit-def: $sgpr31
	v_cmpx_eq_u16_e64 0x80, v160
; %bb.5015:                             ;   in Loop: Header=BB2_4380 Depth=3
	s_mov_b32 s31, 0x7f800001
	s_xor_b32 s14, exec_lo, -1
; %bb.5016:                             ;   in Loop: Header=BB2_4380 Depth=3
	s_or_b32 exec_lo, exec_lo, s35
	s_delay_alu instid0(SALU_CYCLE_1)
	s_and_b32 s14, s14, exec_lo
                                        ; implicit-def: $vgpr160
	s_or_saveexec_b32 s34, s34
	v_mov_b32_e32 v150, s31
	s_xor_b32 exec_lo, exec_lo, s34
	s_cbranch_execz .LBB2_4688
.LBB2_5017:                             ;   in Loop: Header=BB2_4380 Depth=3
	v_cmp_ne_u16_e64 vcc_lo, 0, v160
	v_mov_b32_e32 v150, 0
	s_and_not1_b32 s14, s14, exec_lo
	s_delay_alu instid0(VALU_DEP_2) | instskip(NEXT) | instid1(SALU_CYCLE_1)
	s_and_b32 vcc_lo, vcc_lo, exec_lo
	s_or_b32 s14, s14, vcc_lo
	s_or_b32 exec_lo, exec_lo, s34
	s_and_saveexec_b32 s31, s14
	s_cbranch_execnz .LBB2_4689
	s_branch .LBB2_4690
.LBB2_5018:                             ;   in Loop: Header=BB2_4380 Depth=3
	s_mov_b32 s14, -1
	s_mov_b32 s35, exec_lo
                                        ; implicit-def: $sgpr31
	v_cmpx_eq_u16_e64 0x80, v151
; %bb.5019:                             ;   in Loop: Header=BB2_4380 Depth=3
	s_mov_b32 s31, 0x7f800001
	s_xor_b32 s14, exec_lo, -1
; %bb.5020:                             ;   in Loop: Header=BB2_4380 Depth=3
	s_or_b32 exec_lo, exec_lo, s35
	s_delay_alu instid0(SALU_CYCLE_1)
	s_and_b32 s14, s14, exec_lo
	s_or_saveexec_b32 s34, s34
	v_mov_b32_e32 v160, s31
	s_xor_b32 exec_lo, exec_lo, s34
	s_cbranch_execz .LBB2_4702
.LBB2_5021:                             ;   in Loop: Header=BB2_4380 Depth=3
	v_cmp_ne_u16_e64 vcc_lo, 0, v151
	v_mov_b32_e32 v160, 0
	s_and_not1_b32 s14, s14, exec_lo
	s_delay_alu instid0(VALU_DEP_2) | instskip(NEXT) | instid1(SALU_CYCLE_1)
	s_and_b32 vcc_lo, vcc_lo, exec_lo
	s_or_b32 s14, s14, vcc_lo
	s_or_b32 exec_lo, exec_lo, s34
	s_and_saveexec_b32 s31, s14
	s_cbranch_execnz .LBB2_4703
	s_branch .LBB2_4704
.LBB2_5022:                             ;   in Loop: Header=BB2_4380 Depth=3
	s_mov_b32 s14, -1
	s_mov_b32 s35, exec_lo
                                        ; implicit-def: $sgpr31
	v_cmpx_eq_u16_e64 0x80, v150
; %bb.5023:                             ;   in Loop: Header=BB2_4380 Depth=3
	s_mov_b32 s31, 0x7f800001
	s_xor_b32 s14, exec_lo, -1
; %bb.5024:                             ;   in Loop: Header=BB2_4380 Depth=3
	s_or_b32 exec_lo, exec_lo, s35
	s_delay_alu instid0(SALU_CYCLE_1)
	s_and_b32 s14, s14, exec_lo
	s_or_saveexec_b32 s34, s34
	v_mov_b32_e32 v161, s31
	s_xor_b32 exec_lo, exec_lo, s34
	s_cbranch_execz .LBB2_4706
.LBB2_5025:                             ;   in Loop: Header=BB2_4380 Depth=3
	v_cmp_ne_u16_e64 vcc_lo, 0, v150
	v_mov_b32_e32 v161, 0
	s_and_not1_b32 s14, s14, exec_lo
	s_delay_alu instid0(VALU_DEP_2) | instskip(NEXT) | instid1(SALU_CYCLE_1)
	s_and_b32 vcc_lo, vcc_lo, exec_lo
	s_or_b32 s14, s14, vcc_lo
	s_or_b32 exec_lo, exec_lo, s34
	s_and_saveexec_b32 s31, s14
	s_cbranch_execnz .LBB2_4707
	s_branch .LBB2_4708
.LBB2_5026:                             ;   in Loop: Header=BB2_4380 Depth=3
	s_mov_b32 s14, -1
	s_mov_b32 s35, exec_lo
                                        ; implicit-def: $sgpr31
	v_cmpx_eq_u16_e64 0x80, v151
; %bb.5027:                             ;   in Loop: Header=BB2_4380 Depth=3
	s_mov_b32 s31, 0x7f800001
	s_xor_b32 s14, exec_lo, -1
; %bb.5028:                             ;   in Loop: Header=BB2_4380 Depth=3
	s_or_b32 exec_lo, exec_lo, s35
	s_delay_alu instid0(SALU_CYCLE_1)
	s_and_b32 s14, s14, exec_lo
	s_or_saveexec_b32 s34, s34
	v_mov_b32_e32 v160, s31
	s_xor_b32 exec_lo, exec_lo, s34
	s_cbranch_execz .LBB2_4713
.LBB2_5029:                             ;   in Loop: Header=BB2_4380 Depth=3
	v_cmp_ne_u16_e64 vcc_lo, 0, v151
	v_mov_b32_e32 v160, 0
	s_and_not1_b32 s14, s14, exec_lo
	s_delay_alu instid0(VALU_DEP_2) | instskip(NEXT) | instid1(SALU_CYCLE_1)
	s_and_b32 vcc_lo, vcc_lo, exec_lo
	s_or_b32 s14, s14, vcc_lo
	s_or_b32 exec_lo, exec_lo, s34
	s_and_saveexec_b32 s31, s14
	s_cbranch_execnz .LBB2_4714
	s_branch .LBB2_4715
.LBB2_5030:                             ;   in Loop: Header=BB2_4380 Depth=3
	s_mov_b32 s14, -1
	s_mov_b32 s35, exec_lo
                                        ; implicit-def: $sgpr31
	v_cmpx_eq_u16_e64 0x80, v150
; %bb.5031:                             ;   in Loop: Header=BB2_4380 Depth=3
	s_mov_b32 s31, 0x7f800001
	s_xor_b32 s14, exec_lo, -1
; %bb.5032:                             ;   in Loop: Header=BB2_4380 Depth=3
	s_or_b32 exec_lo, exec_lo, s35
	s_delay_alu instid0(SALU_CYCLE_1)
	s_and_b32 s14, s14, exec_lo
	s_or_saveexec_b32 s34, s34
	v_mov_b32_e32 v14, s31
	s_xor_b32 exec_lo, exec_lo, s34
	s_cbranch_execz .LBB2_4717
.LBB2_5033:                             ;   in Loop: Header=BB2_4380 Depth=3
	v_cmp_ne_u16_e64 vcc_lo, 0, v150
	v_mov_b32_e32 v14, 0
	s_and_not1_b32 s14, s14, exec_lo
	s_delay_alu instid0(VALU_DEP_2) | instskip(NEXT) | instid1(SALU_CYCLE_1)
	s_and_b32 vcc_lo, vcc_lo, exec_lo
	s_or_b32 s14, s14, vcc_lo
	s_or_b32 exec_lo, exec_lo, s34
	s_and_saveexec_b32 s31, s14
	s_cbranch_execnz .LBB2_4718
	s_branch .LBB2_4719
.LBB2_5034:                             ;   in Loop: Header=BB2_4380 Depth=3
	s_mov_b32 s14, -1
	s_mov_b32 s35, exec_lo
                                        ; implicit-def: $sgpr31
	v_cmpx_eq_u16_e64 0x80, v150
; %bb.5035:                             ;   in Loop: Header=BB2_4380 Depth=3
	s_mov_b32 s31, 0x7f800001
	s_xor_b32 s14, exec_lo, -1
; %bb.5036:                             ;   in Loop: Header=BB2_4380 Depth=3
	s_or_b32 exec_lo, exec_lo, s35
	s_delay_alu instid0(SALU_CYCLE_1)
	s_and_b32 s14, s14, exec_lo
                                        ; implicit-def: $vgpr150
	s_or_saveexec_b32 s34, s34
	v_mov_b32_e32 v14, s31
	s_xor_b32 exec_lo, exec_lo, s34
	s_cbranch_execz .LBB2_4731
.LBB2_5037:                             ;   in Loop: Header=BB2_4380 Depth=3
	v_cmp_ne_u16_e64 vcc_lo, 0, v150
	v_mov_b32_e32 v14, 0
	s_and_not1_b32 s14, s14, exec_lo
	s_delay_alu instid0(VALU_DEP_2) | instskip(NEXT) | instid1(SALU_CYCLE_1)
	s_and_b32 vcc_lo, vcc_lo, exec_lo
	s_or_b32 s14, s14, vcc_lo
	s_or_b32 exec_lo, exec_lo, s34
	s_and_saveexec_b32 s31, s14
	s_cbranch_execnz .LBB2_4732
	s_branch .LBB2_4733
.LBB2_5038:                             ;   in Loop: Header=BB2_4380 Depth=3
	s_mov_b32 s14, -1
	s_mov_b32 s35, exec_lo
                                        ; implicit-def: $sgpr31
	v_cmpx_eq_u16_e64 0x80, v151
; %bb.5039:                             ;   in Loop: Header=BB2_4380 Depth=3
	s_mov_b32 s31, 0x7f800001
	s_xor_b32 s14, exec_lo, -1
; %bb.5040:                             ;   in Loop: Header=BB2_4380 Depth=3
	s_or_b32 exec_lo, exec_lo, s35
	s_delay_alu instid0(SALU_CYCLE_1)
	s_and_b32 s14, s14, exec_lo
                                        ; implicit-def: $vgpr151
	s_or_saveexec_b32 s34, s34
	v_mov_b32_e32 v150, s31
	s_xor_b32 exec_lo, exec_lo, s34
	s_cbranch_execz .LBB2_4735
.LBB2_5041:                             ;   in Loop: Header=BB2_4380 Depth=3
	v_cmp_ne_u16_e64 vcc_lo, 0, v151
	v_mov_b32_e32 v150, 0
	s_and_not1_b32 s14, s14, exec_lo
	s_delay_alu instid0(VALU_DEP_2) | instskip(NEXT) | instid1(SALU_CYCLE_1)
	s_and_b32 vcc_lo, vcc_lo, exec_lo
	s_or_b32 s14, s14, vcc_lo
	s_or_b32 exec_lo, exec_lo, s34
	s_and_saveexec_b32 s31, s14
	s_cbranch_execnz .LBB2_4736
	s_branch .LBB2_4737
.LBB2_5042:                             ;   in Loop: Header=BB2_4380 Depth=3
	s_mov_b32 s14, -1
	s_mov_b32 s35, exec_lo
                                        ; implicit-def: $sgpr31
	v_cmpx_eq_u16_e64 0x80, v150
; %bb.5043:                             ;   in Loop: Header=BB2_4380 Depth=3
	s_mov_b32 s31, 0x7f800001
	s_xor_b32 s14, exec_lo, -1
; %bb.5044:                             ;   in Loop: Header=BB2_4380 Depth=3
	s_or_b32 exec_lo, exec_lo, s35
	s_delay_alu instid0(SALU_CYCLE_1)
	s_and_b32 s14, s14, exec_lo
                                        ; implicit-def: $vgpr150
	s_or_saveexec_b32 s34, s34
	v_mov_b32_e32 v14, s31
	s_xor_b32 exec_lo, exec_lo, s34
	s_cbranch_execz .LBB2_4742
.LBB2_5045:                             ;   in Loop: Header=BB2_4380 Depth=3
	v_cmp_ne_u16_e64 vcc_lo, 0, v150
	v_mov_b32_e32 v14, 0
	s_and_not1_b32 s14, s14, exec_lo
	s_delay_alu instid0(VALU_DEP_2) | instskip(NEXT) | instid1(SALU_CYCLE_1)
	s_and_b32 vcc_lo, vcc_lo, exec_lo
	s_or_b32 s14, s14, vcc_lo
	s_or_b32 exec_lo, exec_lo, s34
	s_and_saveexec_b32 s31, s14
	s_cbranch_execnz .LBB2_4743
	s_branch .LBB2_4744
.LBB2_5046:                             ;   in Loop: Header=BB2_4380 Depth=3
	s_mov_b32 s14, -1
	s_mov_b32 s35, exec_lo
                                        ; implicit-def: $sgpr31
	v_cmpx_eq_u16_e64 0x80, v151
; %bb.5047:                             ;   in Loop: Header=BB2_4380 Depth=3
	s_mov_b32 s31, 0x7f800001
	s_xor_b32 s14, exec_lo, -1
; %bb.5048:                             ;   in Loop: Header=BB2_4380 Depth=3
	s_or_b32 exec_lo, exec_lo, s35
	s_delay_alu instid0(SALU_CYCLE_1)
	s_and_b32 s14, s14, exec_lo
                                        ; implicit-def: $vgpr151
	s_or_saveexec_b32 s34, s34
	v_mov_b32_e32 v150, s31
	s_xor_b32 exec_lo, exec_lo, s34
	s_cbranch_execz .LBB2_4746
.LBB2_5049:                             ;   in Loop: Header=BB2_4380 Depth=3
	v_cmp_ne_u16_e64 vcc_lo, 0, v151
	v_mov_b32_e32 v150, 0
	s_and_not1_b32 s14, s14, exec_lo
	s_delay_alu instid0(VALU_DEP_2) | instskip(NEXT) | instid1(SALU_CYCLE_1)
	s_and_b32 vcc_lo, vcc_lo, exec_lo
	s_or_b32 s14, s14, vcc_lo
	s_or_b32 exec_lo, exec_lo, s34
	s_and_saveexec_b32 s31, s14
	s_cbranch_execnz .LBB2_4747
	s_branch .LBB2_4748
.LBB2_5050:                             ;   in Loop: Header=BB2_4380 Depth=3
	s_mov_b32 s14, -1
	s_mov_b32 s35, exec_lo
                                        ; implicit-def: $sgpr31
	v_cmpx_eq_u16_e64 0x80, v151
; %bb.5051:                             ;   in Loop: Header=BB2_4380 Depth=3
	s_mov_b32 s31, 0x7f800001
	s_xor_b32 s14, exec_lo, -1
; %bb.5052:                             ;   in Loop: Header=BB2_4380 Depth=3
	s_or_b32 exec_lo, exec_lo, s35
	s_delay_alu instid0(SALU_CYCLE_1)
	s_and_b32 s14, s14, exec_lo
	s_or_saveexec_b32 s34, s34
	v_mov_b32_e32 v160, s31
	s_xor_b32 exec_lo, exec_lo, s34
	s_cbranch_execz .LBB2_4760
.LBB2_5053:                             ;   in Loop: Header=BB2_4380 Depth=3
	v_cmp_ne_u16_e64 vcc_lo, 0, v151
	v_mov_b32_e32 v160, 0
	s_and_not1_b32 s14, s14, exec_lo
	s_delay_alu instid0(VALU_DEP_2) | instskip(NEXT) | instid1(SALU_CYCLE_1)
	s_and_b32 vcc_lo, vcc_lo, exec_lo
	s_or_b32 s14, s14, vcc_lo
	s_or_b32 exec_lo, exec_lo, s34
	s_and_saveexec_b32 s31, s14
	s_cbranch_execnz .LBB2_4761
	s_branch .LBB2_4762
.LBB2_5054:                             ;   in Loop: Header=BB2_4380 Depth=3
	s_mov_b32 s14, -1
	s_mov_b32 s35, exec_lo
                                        ; implicit-def: $sgpr31
	v_cmpx_eq_u16_e64 0x80, v150
; %bb.5055:                             ;   in Loop: Header=BB2_4380 Depth=3
	s_mov_b32 s31, 0x7f800001
	s_xor_b32 s14, exec_lo, -1
; %bb.5056:                             ;   in Loop: Header=BB2_4380 Depth=3
	s_or_b32 exec_lo, exec_lo, s35
	s_delay_alu instid0(SALU_CYCLE_1)
	s_and_b32 s14, s14, exec_lo
	s_or_saveexec_b32 s34, s34
	v_mov_b32_e32 v161, s31
	s_xor_b32 exec_lo, exec_lo, s34
	s_cbranch_execz .LBB2_4764
.LBB2_5057:                             ;   in Loop: Header=BB2_4380 Depth=3
	v_cmp_ne_u16_e64 vcc_lo, 0, v150
	v_mov_b32_e32 v161, 0
	s_and_not1_b32 s14, s14, exec_lo
	s_delay_alu instid0(VALU_DEP_2) | instskip(NEXT) | instid1(SALU_CYCLE_1)
	s_and_b32 vcc_lo, vcc_lo, exec_lo
	s_or_b32 s14, s14, vcc_lo
	s_or_b32 exec_lo, exec_lo, s34
	s_and_saveexec_b32 s31, s14
	s_cbranch_execnz .LBB2_4765
	s_branch .LBB2_4766
.LBB2_5058:                             ;   in Loop: Header=BB2_4380 Depth=3
	s_mov_b32 s14, -1
	s_mov_b32 s35, exec_lo
                                        ; implicit-def: $sgpr31
	v_cmpx_eq_u16_e64 0x80, v151
; %bb.5059:                             ;   in Loop: Header=BB2_4380 Depth=3
	s_mov_b32 s31, 0x7f800001
	s_xor_b32 s14, exec_lo, -1
; %bb.5060:                             ;   in Loop: Header=BB2_4380 Depth=3
	s_or_b32 exec_lo, exec_lo, s35
	s_delay_alu instid0(SALU_CYCLE_1)
	s_and_b32 s14, s14, exec_lo
	s_or_saveexec_b32 s34, s34
	v_mov_b32_e32 v160, s31
	s_xor_b32 exec_lo, exec_lo, s34
	s_cbranch_execz .LBB2_4771
.LBB2_5061:                             ;   in Loop: Header=BB2_4380 Depth=3
	v_cmp_ne_u16_e64 vcc_lo, 0, v151
	v_mov_b32_e32 v160, 0
	s_and_not1_b32 s14, s14, exec_lo
	s_delay_alu instid0(VALU_DEP_2) | instskip(NEXT) | instid1(SALU_CYCLE_1)
	s_and_b32 vcc_lo, vcc_lo, exec_lo
	s_or_b32 s14, s14, vcc_lo
	s_or_b32 exec_lo, exec_lo, s34
	s_and_saveexec_b32 s31, s14
	s_cbranch_execnz .LBB2_4772
	s_branch .LBB2_4773
.LBB2_5062:                             ;   in Loop: Header=BB2_4380 Depth=3
	s_mov_b32 s14, -1
	s_mov_b32 s35, exec_lo
                                        ; implicit-def: $sgpr31
	v_cmpx_eq_u16_e64 0x80, v150
; %bb.5063:                             ;   in Loop: Header=BB2_4380 Depth=3
	s_mov_b32 s31, 0x7f800001
	s_xor_b32 s14, exec_lo, -1
; %bb.5064:                             ;   in Loop: Header=BB2_4380 Depth=3
	s_or_b32 exec_lo, exec_lo, s35
	s_delay_alu instid0(SALU_CYCLE_1)
	s_and_b32 s14, s14, exec_lo
	s_or_saveexec_b32 s34, s34
	v_mov_b32_e32 v151, s31
	s_xor_b32 exec_lo, exec_lo, s34
	s_cbranch_execz .LBB2_4775
.LBB2_5065:                             ;   in Loop: Header=BB2_4380 Depth=3
	v_cmp_ne_u16_e64 vcc_lo, 0, v150
	v_mov_b32_e32 v151, 0
	s_and_not1_b32 s14, s14, exec_lo
	s_delay_alu instid0(VALU_DEP_2) | instskip(NEXT) | instid1(SALU_CYCLE_1)
	s_and_b32 vcc_lo, vcc_lo, exec_lo
	s_or_b32 s14, s14, vcc_lo
	s_or_b32 exec_lo, exec_lo, s34
	s_and_saveexec_b32 s31, s14
	s_cbranch_execnz .LBB2_4776
	s_branch .LBB2_4777
.LBB2_5066:                             ;   in Loop: Header=BB2_4380 Depth=3
	s_mov_b32 s14, -1
	s_mov_b32 s35, exec_lo
                                        ; implicit-def: $sgpr31
	v_cmpx_eq_u16_e64 0x80, v162
; %bb.5067:                             ;   in Loop: Header=BB2_4380 Depth=3
	s_mov_b32 s31, 0x7f800001
	s_xor_b32 s14, exec_lo, -1
; %bb.5068:                             ;   in Loop: Header=BB2_4380 Depth=3
	s_or_b32 exec_lo, exec_lo, s35
	s_delay_alu instid0(SALU_CYCLE_1)
	s_and_b32 s14, s14, exec_lo
                                        ; implicit-def: $vgpr162
	s_or_saveexec_b32 s34, s34
	v_mov_b32_e32 v161, s31
	s_xor_b32 exec_lo, exec_lo, s34
	s_cbranch_execz .LBB2_4789
.LBB2_5069:                             ;   in Loop: Header=BB2_4380 Depth=3
	v_cmp_ne_u16_e64 vcc_lo, 0, v162
	v_mov_b32_e32 v161, 0
	s_and_not1_b32 s14, s14, exec_lo
	s_delay_alu instid0(VALU_DEP_2) | instskip(NEXT) | instid1(SALU_CYCLE_1)
	s_and_b32 vcc_lo, vcc_lo, exec_lo
	s_or_b32 s14, s14, vcc_lo
	s_or_b32 exec_lo, exec_lo, s34
	s_and_saveexec_b32 s31, s14
	s_cbranch_execnz .LBB2_4790
	s_branch .LBB2_4791
.LBB2_5070:                             ;   in Loop: Header=BB2_4380 Depth=3
	s_mov_b32 s14, -1
	s_mov_b32 s35, exec_lo
                                        ; implicit-def: $sgpr31
	v_cmpx_eq_u16_e64 0x80, v163
; %bb.5071:                             ;   in Loop: Header=BB2_4380 Depth=3
	s_mov_b32 s31, 0x7f800001
	s_xor_b32 s14, exec_lo, -1
; %bb.5072:                             ;   in Loop: Header=BB2_4380 Depth=3
	s_or_b32 exec_lo, exec_lo, s35
	s_delay_alu instid0(SALU_CYCLE_1)
	s_and_b32 s14, s14, exec_lo
                                        ; implicit-def: $vgpr163
	s_or_saveexec_b32 s34, s34
	v_mov_b32_e32 v162, s31
	s_xor_b32 exec_lo, exec_lo, s34
	s_cbranch_execz .LBB2_4793
.LBB2_5073:                             ;   in Loop: Header=BB2_4380 Depth=3
	v_cmp_ne_u16_e64 vcc_lo, 0, v163
	v_mov_b32_e32 v162, 0
	s_and_not1_b32 s14, s14, exec_lo
	s_delay_alu instid0(VALU_DEP_2) | instskip(NEXT) | instid1(SALU_CYCLE_1)
	s_and_b32 vcc_lo, vcc_lo, exec_lo
	s_or_b32 s14, s14, vcc_lo
	s_or_b32 exec_lo, exec_lo, s34
	s_and_saveexec_b32 s31, s14
	s_cbranch_execnz .LBB2_4794
	s_branch .LBB2_4795
.LBB2_5074:                             ;   in Loop: Header=BB2_4380 Depth=3
	s_mov_b32 s14, -1
	s_mov_b32 s35, exec_lo
                                        ; implicit-def: $sgpr31
	v_cmpx_eq_u16_e64 0x80, v162
; %bb.5075:                             ;   in Loop: Header=BB2_4380 Depth=3
	s_mov_b32 s31, 0x7f800001
	s_xor_b32 s14, exec_lo, -1
; %bb.5076:                             ;   in Loop: Header=BB2_4380 Depth=3
	s_or_b32 exec_lo, exec_lo, s35
	s_delay_alu instid0(SALU_CYCLE_1)
	s_and_b32 s14, s14, exec_lo
                                        ; implicit-def: $vgpr162
	s_or_saveexec_b32 s34, s34
	v_mov_b32_e32 v161, s31
	s_xor_b32 exec_lo, exec_lo, s34
	s_cbranch_execz .LBB2_4800
.LBB2_5077:                             ;   in Loop: Header=BB2_4380 Depth=3
	v_cmp_ne_u16_e64 vcc_lo, 0, v162
	v_mov_b32_e32 v161, 0
	s_and_not1_b32 s14, s14, exec_lo
	s_delay_alu instid0(VALU_DEP_2) | instskip(NEXT) | instid1(SALU_CYCLE_1)
	s_and_b32 vcc_lo, vcc_lo, exec_lo
	s_or_b32 s14, s14, vcc_lo
	s_or_b32 exec_lo, exec_lo, s34
	s_and_saveexec_b32 s31, s14
	s_cbranch_execnz .LBB2_4801
	s_branch .LBB2_4802
.LBB2_5078:                             ;   in Loop: Header=BB2_4380 Depth=3
	s_mov_b32 s14, -1
	s_mov_b32 s35, exec_lo
                                        ; implicit-def: $sgpr31
	v_cmpx_eq_u16_e64 0x80, v162
; %bb.5079:                             ;   in Loop: Header=BB2_4380 Depth=3
	s_mov_b32 s31, 0x7f800001
	s_xor_b32 s14, exec_lo, -1
; %bb.5080:                             ;   in Loop: Header=BB2_4380 Depth=3
	s_or_b32 exec_lo, exec_lo, s35
	s_delay_alu instid0(SALU_CYCLE_1)
	s_and_b32 s14, s14, exec_lo
                                        ; implicit-def: $vgpr162
	s_or_saveexec_b32 s34, s34
	v_mov_b32_e32 v160, s31
	s_xor_b32 exec_lo, exec_lo, s34
	s_cbranch_execz .LBB2_4804
.LBB2_5081:                             ;   in Loop: Header=BB2_4380 Depth=3
	v_cmp_ne_u16_e64 vcc_lo, 0, v162
	v_mov_b32_e32 v160, 0
	s_and_not1_b32 s14, s14, exec_lo
	s_delay_alu instid0(VALU_DEP_2) | instskip(NEXT) | instid1(SALU_CYCLE_1)
	s_and_b32 vcc_lo, vcc_lo, exec_lo
	s_or_b32 s14, s14, vcc_lo
	s_or_b32 exec_lo, exec_lo, s34
	s_and_saveexec_b32 s31, s14
	s_cbranch_execnz .LBB2_4805
	s_branch .LBB2_4806
.LBB2_5082:                             ;   in Loop: Header=BB2_4380 Depth=3
	s_mov_b32 s14, -1
	s_mov_b32 s35, exec_lo
                                        ; implicit-def: $sgpr31
	v_cmpx_eq_u16_e64 0x80, v161
; %bb.5083:                             ;   in Loop: Header=BB2_4380 Depth=3
	s_mov_b32 s31, 0x7f800001
	s_xor_b32 s14, exec_lo, -1
; %bb.5084:                             ;   in Loop: Header=BB2_4380 Depth=3
	s_or_b32 exec_lo, exec_lo, s35
	s_delay_alu instid0(SALU_CYCLE_1)
	s_and_b32 s14, s14, exec_lo
	s_or_saveexec_b32 s34, s34
	v_mov_b32_e32 v162, s31
	s_xor_b32 exec_lo, exec_lo, s34
	s_cbranch_execz .LBB2_4818
.LBB2_5085:                             ;   in Loop: Header=BB2_4380 Depth=3
	v_cmp_ne_u16_e64 vcc_lo, 0, v161
	v_mov_b32_e32 v162, 0
	s_and_not1_b32 s14, s14, exec_lo
	s_delay_alu instid0(VALU_DEP_2) | instskip(NEXT) | instid1(SALU_CYCLE_1)
	s_and_b32 vcc_lo, vcc_lo, exec_lo
	s_or_b32 s14, s14, vcc_lo
	s_or_b32 exec_lo, exec_lo, s34
	s_and_saveexec_b32 s31, s14
	s_cbranch_execnz .LBB2_4819
	s_branch .LBB2_4820
.LBB2_5086:                             ;   in Loop: Header=BB2_4380 Depth=3
	s_mov_b32 s14, -1
	s_mov_b32 s35, exec_lo
                                        ; implicit-def: $sgpr31
	v_cmpx_eq_u16_e64 0x80, v160
; %bb.5087:                             ;   in Loop: Header=BB2_4380 Depth=3
	s_mov_b32 s31, 0x7f800001
	s_xor_b32 s14, exec_lo, -1
; %bb.5088:                             ;   in Loop: Header=BB2_4380 Depth=3
	s_or_b32 exec_lo, exec_lo, s35
	s_delay_alu instid0(SALU_CYCLE_1)
	s_and_b32 s14, s14, exec_lo
	s_or_saveexec_b32 s34, s34
	v_mov_b32_e32 v163, s31
	s_xor_b32 exec_lo, exec_lo, s34
	s_cbranch_execz .LBB2_4822
.LBB2_5089:                             ;   in Loop: Header=BB2_4380 Depth=3
	v_cmp_ne_u16_e64 vcc_lo, 0, v160
	v_mov_b32_e32 v163, 0
	s_and_not1_b32 s14, s14, exec_lo
	s_delay_alu instid0(VALU_DEP_2) | instskip(NEXT) | instid1(SALU_CYCLE_1)
	s_and_b32 vcc_lo, vcc_lo, exec_lo
	s_or_b32 s14, s14, vcc_lo
	s_or_b32 exec_lo, exec_lo, s34
	s_and_saveexec_b32 s31, s14
	s_cbranch_execnz .LBB2_4823
	s_branch .LBB2_4824
.LBB2_5090:                             ;   in Loop: Header=BB2_4380 Depth=3
	s_mov_b32 s14, -1
	s_mov_b32 s35, exec_lo
                                        ; implicit-def: $sgpr31
	v_cmpx_eq_u16_e64 0x80, v161
; %bb.5091:                             ;   in Loop: Header=BB2_4380 Depth=3
	s_mov_b32 s31, 0x7f800001
	s_xor_b32 s14, exec_lo, -1
; %bb.5092:                             ;   in Loop: Header=BB2_4380 Depth=3
	s_or_b32 exec_lo, exec_lo, s35
	s_delay_alu instid0(SALU_CYCLE_1)
	s_and_b32 s14, s14, exec_lo
	s_or_saveexec_b32 s34, s34
	v_mov_b32_e32 v162, s31
	s_xor_b32 exec_lo, exec_lo, s34
	s_cbranch_execz .LBB2_4829
.LBB2_5093:                             ;   in Loop: Header=BB2_4380 Depth=3
	v_cmp_ne_u16_e64 vcc_lo, 0, v161
	v_mov_b32_e32 v162, 0
	s_and_not1_b32 s14, s14, exec_lo
	s_delay_alu instid0(VALU_DEP_2) | instskip(NEXT) | instid1(SALU_CYCLE_1)
	s_and_b32 vcc_lo, vcc_lo, exec_lo
	s_or_b32 s14, s14, vcc_lo
	s_or_b32 exec_lo, exec_lo, s34
	s_and_saveexec_b32 s31, s14
	s_cbranch_execnz .LBB2_4830
	s_branch .LBB2_4831
.LBB2_5094:                             ;   in Loop: Header=BB2_4380 Depth=3
	s_mov_b32 s14, -1
	s_mov_b32 s35, exec_lo
                                        ; implicit-def: $sgpr31
	v_cmpx_eq_u16_e64 0x80, v160
; %bb.5095:                             ;   in Loop: Header=BB2_4380 Depth=3
	s_mov_b32 s31, 0x7f800001
	s_xor_b32 s14, exec_lo, -1
; %bb.5096:                             ;   in Loop: Header=BB2_4380 Depth=3
	s_or_b32 exec_lo, exec_lo, s35
	s_delay_alu instid0(SALU_CYCLE_1)
	s_and_b32 s14, s14, exec_lo
	s_or_saveexec_b32 s34, s34
	v_mov_b32_e32 v15, s31
	s_xor_b32 exec_lo, exec_lo, s34
	s_cbranch_execz .LBB2_4833
.LBB2_5097:                             ;   in Loop: Header=BB2_4380 Depth=3
	v_cmp_ne_u16_e64 vcc_lo, 0, v160
	v_mov_b32_e32 v15, 0
	s_and_not1_b32 s14, s14, exec_lo
	s_delay_alu instid0(VALU_DEP_2) | instskip(NEXT) | instid1(SALU_CYCLE_1)
	s_and_b32 vcc_lo, vcc_lo, exec_lo
	s_or_b32 s14, s14, vcc_lo
	s_or_b32 exec_lo, exec_lo, s34
	s_and_saveexec_b32 s31, s14
	s_cbranch_execnz .LBB2_4834
	s_branch .LBB2_4835
.LBB2_5098:                             ;   in Loop: Header=BB2_2404 Depth=2
	s_or_b32 exec_lo, exec_lo, s16
.LBB2_5099:                             ;   in Loop: Header=BB2_2404 Depth=2
	s_delay_alu instid0(SALU_CYCLE_1) | instskip(SKIP_3) | instid1(VALU_DEP_1)
	s_or_b32 exec_lo, exec_lo, s15
	v_dual_mov_b32 v14, 0 :: v_dual_and_b32 v9, 15, v55
	s_mov_b32 s16, 0
	s_mov_b32 s15, exec_lo
                                        ; implicit-def: $vgpr15
                                        ; implicit-def: $vgpr64
                                        ; implicit-def: $vgpr8
	v_cndmask_b32_e64 v70, v71, v9, s13
	s_delay_alu instid0(VALU_DEP_1)
	v_cmpx_ne_u32_e32 0, v70
	s_cbranch_execz .LBB2_5828
; %bb.5100:                             ;   in Loop: Header=BB2_2404 Depth=2
	v_cmp_lt_i32_e32 vcc_lo, 0, v134
	v_ashrrev_i32_e32 v11, 31, v70
	v_sub_nc_u32_e32 v9, v71, v9
	s_mov_b32 s16, exec_lo
	v_cndmask_b32_e32 v8, 0, v83, vcc_lo
	s_delay_alu instid0(VALU_DEP_3) | instskip(NEXT) | instid1(VALU_DEP_3)
	v_lshrrev_b32_e32 v11, 23, v11
	v_cndmask_b32_e64 v9, 0, v9, s13
	s_delay_alu instid0(VALU_DEP_3) | instskip(NEXT) | instid1(VALU_DEP_3)
	v_sub_nc_u32_e32 v8, v8, v134
	v_add_nc_u32_e32 v11, v70, v11
	s_delay_alu instid0(VALU_DEP_3) | instskip(NEXT) | instid1(VALU_DEP_3)
	v_add_nc_u32_e32 v2, v9, v2
	v_lshl_add_u32 v8, v8, 5, v85
	s_delay_alu instid0(VALU_DEP_3) | instskip(SKIP_1) | instid1(VALU_DEP_3)
	v_and_b32_e32 v134, 0xfffffe00, v11
	v_ashrrev_i32_e32 v11, 9, v11
	v_ashrrev_i32_e32 v10, 31, v8
	s_delay_alu instid0(VALU_DEP_3) | instskip(NEXT) | instid1(VALU_DEP_2)
	v_sub_nc_u32_e32 v71, v70, v134
	v_lshrrev_b32_e32 v10, 27, v10
	s_delay_alu instid0(VALU_DEP_2) | instskip(NEXT) | instid1(VALU_DEP_2)
	v_cmp_lt_i32_e64 s13, 15, v71
	v_add_nc_u32_e32 v10, v8, v10
	s_delay_alu instid0(VALU_DEP_2) | instskip(NEXT) | instid1(VALU_DEP_2)
	v_add_co_ci_u32_e64 v11, vcc_lo, 0, v11, s13
	v_and_b32_e32 v12, 0xffffffe0, v10
	v_ashrrev_i32_e32 v10, 5, v10
	s_delay_alu instid0(VALU_DEP_2) | instskip(NEXT) | instid1(VALU_DEP_2)
	v_sub_nc_u32_e32 v135, v8, v12
	v_sub_nc_u32_e32 v144, v11, v10
	s_delay_alu instid0(VALU_DEP_2) | instskip(NEXT) | instid1(VALU_DEP_1)
	v_lshlrev_b32_e32 v8, 4, v135
	v_lshl_add_u32 v8, v10, 9, v8
	s_delay_alu instid0(VALU_DEP_1) | instskip(NEXT) | instid1(VALU_DEP_1)
	v_sub_nc_u32_e32 v145, v70, v8
	v_cmpx_lt_i32_e32 15, v145
	s_cbranch_execz .LBB2_5825
; %bb.5101:                             ;   in Loop: Header=BB2_2404 Depth=2
	s_cbranch_execnz .LBB2_7378
; %bb.5102:                             ;   in Loop: Header=BB2_2404 Depth=2
	ds_load_b128 v[9:12], v0
	ds_load_b64 v[13:14], v0
	v_add_nc_u32_e32 v8, v8, v2
	s_bitcmp1_b32 s30, 0
	s_mov_b32 s17, 0
	s_cselect_b32 s31, -1, 0
	s_delay_alu instid0(VALU_DEP_1) | instskip(SKIP_2) | instid1(VALU_DEP_2)
	v_ashrrev_i32_e32 v15, 31, v8
	s_waitcnt lgkmcnt(1)
	v_add_co_u32 v64, vcc_lo, v9, v8
	v_add_co_ci_u32_e32 v65, vcc_lo, v10, v15, vcc_lo
	s_waitcnt vmcnt(0)
	v_add_co_u32 v66, vcc_lo, v11, v8
	v_add_co_ci_u32_e32 v67, vcc_lo, v12, v15, vcc_lo
	s_waitcnt lgkmcnt(0)
	v_add_co_u32 v68, vcc_lo, v13, v8
	v_add_co_ci_u32_e32 v69, vcc_lo, v14, v15, vcc_lo
	s_branch .LBB2_5106
.LBB2_5103:                             ;   in Loop: Header=BB2_5106 Depth=3
	s_or_b32 exec_lo, exec_lo, s14
	s_delay_alu instid0(VALU_DEP_1) | instskip(NEXT) | instid1(VALU_DEP_2)
	v_lshrrev_b32_e32 v15, 20, v15
	v_min_i32_e32 v163, 15, v11
	v_cmp_gt_i32_e32 vcc_lo, 16, v11
	v_lshrrev_b32_e32 v164, 24, v165
	s_delay_alu instid0(VALU_DEP_3) | instskip(NEXT) | instid1(VALU_DEP_2)
	v_lshlrev_b32_e32 v163, 3, v163
	v_dual_cndmask_b32 v15, 7, v15 :: v_dual_and_b32 v164, 0x80, v164
	s_delay_alu instid0(VALU_DEP_2) | instskip(NEXT) | instid1(VALU_DEP_2)
	v_and_b32_e32 v163, 0xf8, v163
	v_and_b32_e32 v165, 7, v15
	v_or_b32_e32 v11, v11, v15
	s_delay_alu instid0(VALU_DEP_2) | instskip(NEXT) | instid1(VALU_DEP_2)
	v_or3_b32 v163, v164, v163, v165
	v_cmp_ne_u32_e32 vcc_lo, 0, v11
	s_delay_alu instid0(VALU_DEP_2) | instskip(NEXT) | instid1(VALU_DEP_1)
	v_lshlrev_b32_e32 v15, 8, v163
	v_cndmask_b32_e32 v11, 0, v15, vcc_lo
.LBB2_5104:                             ;   in Loop: Header=BB2_5106 Depth=3
	s_or_b32 exec_lo, exec_lo, s35
.LBB2_5105:                             ;   in Loop: Header=BB2_5106 Depth=3
	s_delay_alu instid0(SALU_CYCLE_1)
	s_or_b32 exec_lo, exec_lo, s34
	v_lshlrev_b32_e32 v15, 8, v149
	v_and_b32_e32 v148, 0xff, v148
	v_or_b32_e32 v9, v9, v150
	v_lshlrev_b32_e32 v147, 8, v147
	v_lshlrev_b32_e32 v149, 8, v151
	v_perm_b32 v12, v15, v12, 0xc0c0500
	v_lshlrev_b32_e32 v15, 16, v148
	v_and_b32_e32 v148, 0xff, v160
	v_lshlrev_b32_e32 v150, 8, v161
	v_lshlrev_b32_e32 v8, 24, v8
	v_perm_b32 v146, v147, v146, 0xc0c0500
	v_lshlrev_b32_e32 v10, 24, v10
	v_lshlrev_b32_e32 v147, 16, v148
	v_perm_b32 v13, v149, v13, 0xc0c0500
	v_perm_b32 v14, v150, v14, 0xc0c0500
	v_or_b32_e32 v11, v11, v162
	v_add_co_u32 v64, vcc_lo, v64, v100
	v_lshl_or_b32 v9, v9, 16, v12
	v_or3_b32 v8, v8, v15, v146
	v_or3_b32 v10, v10, v147, v13
	v_lshl_or_b32 v11, v11, 16, v14
	v_sub_nc_u32_e32 v145, v145, v86
	v_add_co_ci_u32_e32 v65, vcc_lo, v65, v101, vcc_lo
	v_add_co_u32 v66, vcc_lo, v66, v100
	v_add_co_ci_u32_e32 v67, vcc_lo, v67, v101, vcc_lo
	global_store_b128 v[68:69], v[8:11], off glc slc dlc
	v_cmp_gt_i32_e32 vcc_lo, 16, v145
	v_add_co_u32 v68, s14, v68, v100
	s_delay_alu instid0(VALU_DEP_1) | instskip(SKIP_2) | instid1(SALU_CYCLE_1)
	v_add_co_ci_u32_e64 v69, s14, v69, v101, s14
	v_sub_nc_u32_e32 v144, v144, v83
	s_or_b32 s17, vcc_lo, s17
	s_and_not1_b32 exec_lo, exec_lo, s17
	s_cbranch_execz .LBB2_5824
.LBB2_5106:                             ;   Parent Loop BB2_51 Depth=1
                                        ;     Parent Loop BB2_2404 Depth=2
                                        ; =>    This Inner Loop Header: Depth=3
	global_load_b128 v[12:15], v[64:65], off slc dlc
	global_load_b128 v[8:11], v[66:67], off slc dlc
	s_and_b32 vcc_lo, exec_lo, s31
	s_cbranch_vccz .LBB2_5116
; %bb.5107:                             ;   in Loop: Header=BB2_5106 Depth=3
	s_waitcnt vmcnt(1)
	v_and_b32_e32 v147, 0xff, v12
	s_mov_b32 s14, 0
	s_mov_b32 s35, exec_lo
                                        ; implicit-def: $sgpr34
	s_delay_alu instid0(VALU_DEP_1)
	v_cmpx_lt_i16_e64 0x7f, v147
	s_xor_b32 s35, exec_lo, s35
	s_cbranch_execnz .LBB2_5568
; %bb.5108:                             ;   in Loop: Header=BB2_5106 Depth=3
	s_or_saveexec_b32 s35, s35
	v_mov_b32_e32 v146, s34
	s_xor_b32 exec_lo, exec_lo, s35
	s_cbranch_execnz .LBB2_5571
.LBB2_5109:                             ;   in Loop: Header=BB2_5106 Depth=3
	s_or_b32 exec_lo, exec_lo, s35
	s_and_saveexec_b32 s34, s14
	s_cbranch_execz .LBB2_5111
.LBB2_5110:                             ;   in Loop: Header=BB2_5106 Depth=3
	v_bfe_u32 v149, v12, 3, 4
	v_lshlrev_b32_e32 v150, 24, v12
	s_delay_alu instid0(VALU_DEP_2) | instskip(SKIP_1) | instid1(VALU_DEP_1)
	v_cmp_eq_u32_e32 vcc_lo, 0, v149
	v_and_b32_e32 v146, 7, v12
	v_clz_i32_u32_e32 v147, v146
	s_delay_alu instid0(VALU_DEP_1) | instskip(NEXT) | instid1(VALU_DEP_1)
	v_min_u32_e32 v147, 32, v147
	v_subrev_nc_u32_e32 v148, 28, v147
	v_sub_nc_u32_e32 v147, 29, v147
	s_delay_alu instid0(VALU_DEP_1) | instskip(NEXT) | instid1(VALU_DEP_1)
	v_dual_cndmask_b32 v147, v149, v147 :: v_dual_lshlrev_b32 v148, v148, v12
	v_and_b32_e32 v148, 7, v148
	s_delay_alu instid0(VALU_DEP_2) | instskip(NEXT) | instid1(VALU_DEP_2)
	v_lshl_add_u32 v147, v147, 23, 0x3b800000
	v_cndmask_b32_e32 v146, v146, v148, vcc_lo
	v_and_b32_e32 v148, 0x80000000, v150
	s_delay_alu instid0(VALU_DEP_2) | instskip(NEXT) | instid1(VALU_DEP_1)
	v_lshlrev_b32_e32 v146, 20, v146
	v_or3_b32 v146, v148, v147, v146
.LBB2_5111:                             ;   in Loop: Header=BB2_5106 Depth=3
	s_or_b32 exec_lo, exec_lo, s34
	s_waitcnt vmcnt(0)
	v_and_b32_e32 v148, 0xff, v8
	s_mov_b32 s14, 0
	s_mov_b32 s35, exec_lo
                                        ; implicit-def: $sgpr34
	s_delay_alu instid0(VALU_DEP_1)
	v_cmpx_lt_i16_e64 0x7f, v148
	s_xor_b32 s35, exec_lo, s35
	s_cbranch_execnz .LBB2_5572
; %bb.5112:                             ;   in Loop: Header=BB2_5106 Depth=3
	s_or_saveexec_b32 s35, s35
	v_mov_b32_e32 v147, s34
	s_xor_b32 exec_lo, exec_lo, s35
	s_cbranch_execnz .LBB2_5575
.LBB2_5113:                             ;   in Loop: Header=BB2_5106 Depth=3
	s_or_b32 exec_lo, exec_lo, s35
	s_and_saveexec_b32 s34, s14
	s_cbranch_execz .LBB2_5115
.LBB2_5114:                             ;   in Loop: Header=BB2_5106 Depth=3
	v_and_b32_e32 v147, 7, v8
	v_bfe_u32 v150, v8, 3, 4
	v_lshlrev_b32_e32 v151, 24, v8
	s_delay_alu instid0(VALU_DEP_3) | instskip(NEXT) | instid1(VALU_DEP_3)
	v_clz_i32_u32_e32 v148, v147
	v_cmp_eq_u32_e32 vcc_lo, 0, v150
	s_delay_alu instid0(VALU_DEP_2) | instskip(NEXT) | instid1(VALU_DEP_1)
	v_min_u32_e32 v148, 32, v148
	v_subrev_nc_u32_e32 v149, 28, v148
	v_sub_nc_u32_e32 v148, 29, v148
	s_delay_alu instid0(VALU_DEP_2) | instskip(NEXT) | instid1(VALU_DEP_1)
	v_lshlrev_b32_e32 v149, v149, v8
	v_dual_cndmask_b32 v148, v150, v148 :: v_dual_and_b32 v149, 7, v149
	s_delay_alu instid0(VALU_DEP_1) | instskip(NEXT) | instid1(VALU_DEP_2)
	v_lshl_add_u32 v148, v148, 23, 0x3b800000
	v_cndmask_b32_e32 v147, v147, v149, vcc_lo
	v_and_b32_e32 v149, 0x80000000, v151
	s_delay_alu instid0(VALU_DEP_2) | instskip(NEXT) | instid1(VALU_DEP_1)
	v_lshlrev_b32_e32 v147, 20, v147
	v_or3_b32 v147, v149, v148, v147
.LBB2_5115:                             ;   in Loop: Header=BB2_5106 Depth=3
	s_or_b32 exec_lo, exec_lo, s34
	s_delay_alu instid0(VALU_DEP_1) | instskip(SKIP_1) | instid1(VALU_DEP_1)
	v_dual_max_f32 v147, v147, v147 :: v_dual_max_f32 v146, v146, v146
	s_mov_b32 s14, 0
	v_max_f32_e32 v147, v146, v147
	s_branch .LBB2_5117
.LBB2_5116:                             ;   in Loop: Header=BB2_5106 Depth=3
	s_mov_b32 s14, -1
                                        ; implicit-def: $vgpr147
.LBB2_5117:                             ;   in Loop: Header=BB2_5106 Depth=3
	s_delay_alu instid0(SALU_CYCLE_1)
	s_and_b32 vcc_lo, exec_lo, s14
	s_cbranch_vccz .LBB2_5127
; %bb.5118:                             ;   in Loop: Header=BB2_5106 Depth=3
	s_waitcnt vmcnt(1)
	v_and_b32_e32 v147, 0xff, v12
	s_mov_b32 s14, 0
	s_mov_b32 s35, exec_lo
                                        ; implicit-def: $sgpr34
	s_delay_alu instid0(VALU_DEP_1)
	v_cmpx_lt_i16_e64 0x7f, v147
	s_xor_b32 s35, exec_lo, s35
	s_cbranch_execnz .LBB2_5576
; %bb.5119:                             ;   in Loop: Header=BB2_5106 Depth=3
	s_or_saveexec_b32 s35, s35
	v_mov_b32_e32 v146, s34
	s_xor_b32 exec_lo, exec_lo, s35
	s_cbranch_execnz .LBB2_5579
.LBB2_5120:                             ;   in Loop: Header=BB2_5106 Depth=3
	s_or_b32 exec_lo, exec_lo, s35
	s_and_saveexec_b32 s34, s14
	s_cbranch_execz .LBB2_5122
.LBB2_5121:                             ;   in Loop: Header=BB2_5106 Depth=3
	v_bfe_u32 v149, v12, 3, 4
	v_lshlrev_b32_e32 v150, 24, v12
	s_delay_alu instid0(VALU_DEP_2) | instskip(SKIP_1) | instid1(VALU_DEP_1)
	v_cmp_eq_u32_e32 vcc_lo, 0, v149
	v_and_b32_e32 v146, 7, v12
	v_clz_i32_u32_e32 v147, v146
	s_delay_alu instid0(VALU_DEP_1) | instskip(NEXT) | instid1(VALU_DEP_1)
	v_min_u32_e32 v147, 32, v147
	v_subrev_nc_u32_e32 v148, 28, v147
	v_sub_nc_u32_e32 v147, 29, v147
	s_delay_alu instid0(VALU_DEP_1) | instskip(NEXT) | instid1(VALU_DEP_1)
	v_dual_cndmask_b32 v147, v149, v147 :: v_dual_lshlrev_b32 v148, v148, v12
	v_and_b32_e32 v148, 7, v148
	s_delay_alu instid0(VALU_DEP_2) | instskip(NEXT) | instid1(VALU_DEP_2)
	v_lshl_add_u32 v147, v147, 23, 0x3b800000
	v_cndmask_b32_e32 v146, v146, v148, vcc_lo
	v_and_b32_e32 v148, 0x80000000, v150
	s_delay_alu instid0(VALU_DEP_2) | instskip(NEXT) | instid1(VALU_DEP_1)
	v_lshlrev_b32_e32 v146, 20, v146
	v_or3_b32 v146, v148, v147, v146
.LBB2_5122:                             ;   in Loop: Header=BB2_5106 Depth=3
	s_or_b32 exec_lo, exec_lo, s34
	s_waitcnt vmcnt(0)
	v_and_b32_e32 v148, 0xff, v8
	s_mov_b32 s14, 0
	s_mov_b32 s35, exec_lo
                                        ; implicit-def: $sgpr34
	s_delay_alu instid0(VALU_DEP_1)
	v_cmpx_lt_i16_e64 0x7f, v148
	s_xor_b32 s35, exec_lo, s35
	s_cbranch_execnz .LBB2_5580
; %bb.5123:                             ;   in Loop: Header=BB2_5106 Depth=3
	s_or_saveexec_b32 s35, s35
	v_mov_b32_e32 v147, s34
	s_xor_b32 exec_lo, exec_lo, s35
	s_cbranch_execnz .LBB2_5583
.LBB2_5124:                             ;   in Loop: Header=BB2_5106 Depth=3
	s_or_b32 exec_lo, exec_lo, s35
	s_and_saveexec_b32 s34, s14
	s_cbranch_execz .LBB2_5126
.LBB2_5125:                             ;   in Loop: Header=BB2_5106 Depth=3
	v_and_b32_e32 v147, 7, v8
	v_bfe_u32 v150, v8, 3, 4
	v_lshlrev_b32_e32 v151, 24, v8
	s_delay_alu instid0(VALU_DEP_3) | instskip(NEXT) | instid1(VALU_DEP_3)
	v_clz_i32_u32_e32 v148, v147
	v_cmp_eq_u32_e32 vcc_lo, 0, v150
	s_delay_alu instid0(VALU_DEP_2) | instskip(NEXT) | instid1(VALU_DEP_1)
	v_min_u32_e32 v148, 32, v148
	v_subrev_nc_u32_e32 v149, 28, v148
	v_sub_nc_u32_e32 v148, 29, v148
	s_delay_alu instid0(VALU_DEP_2) | instskip(NEXT) | instid1(VALU_DEP_1)
	v_lshlrev_b32_e32 v149, v149, v8
	v_dual_cndmask_b32 v148, v150, v148 :: v_dual_and_b32 v149, 7, v149
	s_delay_alu instid0(VALU_DEP_1) | instskip(NEXT) | instid1(VALU_DEP_2)
	v_lshl_add_u32 v148, v148, 23, 0x3b800000
	v_cndmask_b32_e32 v147, v147, v149, vcc_lo
	v_and_b32_e32 v149, 0x80000000, v151
	s_delay_alu instid0(VALU_DEP_2) | instskip(NEXT) | instid1(VALU_DEP_1)
	v_lshlrev_b32_e32 v147, 20, v147
	v_or3_b32 v147, v149, v148, v147
.LBB2_5126:                             ;   in Loop: Header=BB2_5106 Depth=3
	s_or_b32 exec_lo, exec_lo, s34
	s_delay_alu instid0(VALU_DEP_1) | instskip(NEXT) | instid1(VALU_DEP_1)
	v_dual_max_f32 v147, v147, v147 :: v_dual_max_f32 v146, v146, v146
	v_min_f32_e32 v147, v146, v147
.LBB2_5127:                             ;   in Loop: Header=BB2_5106 Depth=3
	s_delay_alu instid0(VALU_DEP_1) | instskip(NEXT) | instid1(VALU_DEP_1)
	v_and_b32_e32 v146, 0x7f800000, v147
	v_cmp_ne_u32_e32 vcc_lo, 0x7f800000, v146
	v_mov_b32_e32 v146, 0x80
	s_and_saveexec_b32 s34, vcc_lo
	s_cbranch_execz .LBB2_5135
; %bb.5128:                             ;   in Loop: Header=BB2_5106 Depth=3
	v_mov_b32_e32 v146, 0
	s_mov_b32 s35, exec_lo
	v_cmpx_ne_u32_e32 0, v147
	s_cbranch_execz .LBB2_5134
; %bb.5129:                             ;   in Loop: Header=BB2_5106 Depth=3
	v_bfe_u32 v146, v147, 23, 8
	s_delay_alu instid0(VALU_DEP_1) | instskip(SKIP_1) | instid1(VALU_DEP_2)
	v_sub_nc_u32_e32 v149, 0x78, v146
	v_cmp_gt_u32_e32 vcc_lo, 0x79, v146
	v_dual_cndmask_b32 v149, 0, v149 :: v_dual_and_b32 v148, 0x7fffff, v147
	s_delay_alu instid0(VALU_DEP_1) | instskip(SKIP_2) | instid1(VALU_DEP_4)
	v_or_b32_e32 v150, 0x800000, v148
	v_cmp_eq_u32_e32 vcc_lo, 0, v146
	v_add_nc_u32_e32 v146, 0xffffff89, v146
	v_cndmask_b32_e64 v149, v149, 0x77, vcc_lo
	s_delay_alu instid0(VALU_DEP_2) | instskip(SKIP_1) | instid1(VALU_DEP_3)
	v_cndmask_b32_e64 v146, v146, 0xffffff8a, vcc_lo
	v_cndmask_b32_e32 v148, v150, v148, vcc_lo
	v_lshl_add_u32 v150, 0x100000, v149, -1
	v_lshlrev_b32_e64 v161, v149, 0x80000
	s_delay_alu instid0(VALU_DEP_3) | instskip(SKIP_1) | instid1(VALU_DEP_4)
	v_lshrrev_b32_e32 v151, v149, v148
	v_add_nc_u32_e32 v149, v149, v146
	v_and_b32_e32 v148, v150, v148
	s_delay_alu instid0(VALU_DEP_3) | instskip(NEXT) | instid1(VALU_DEP_2)
	v_bfe_u32 v160, v151, 20, 1
	v_cmp_eq_u32_e64 s14, v148, v161
	s_delay_alu instid0(VALU_DEP_2) | instskip(NEXT) | instid1(VALU_DEP_1)
	v_add_nc_u32_e32 v150, -1, v160
	v_cndmask_b32_e64 v148, 0, v150, s14
	v_lshrrev_b32_e32 v150, 23, v151
	s_mov_b32 s14, exec_lo
	s_delay_alu instid0(VALU_DEP_2) | instskip(NEXT) | instid1(VALU_DEP_2)
	v_add_nc_u32_e32 v148, v148, v151
	v_xor_b32_e32 v150, 1, v150
	s_delay_alu instid0(VALU_DEP_2) | instskip(NEXT) | instid1(VALU_DEP_1)
	v_and_b32_e32 v146, 0xfffff, v148
	v_add_nc_u32_e32 v148, v146, v151
                                        ; implicit-def: $vgpr146
	s_delay_alu instid0(VALU_DEP_3)
	v_cmpx_ne_u32_e64 v149, v150
	s_xor_b32 s14, exec_lo, s14
; %bb.5130:                             ;   in Loop: Header=BB2_5106 Depth=3
	s_delay_alu instid0(VALU_DEP_2) | instskip(SKIP_2) | instid1(VALU_DEP_2)
	v_cmp_lt_u32_e32 vcc_lo, 0xffffff, v148
	v_sub_nc_u32_e32 v146, v149, v150
	v_cndmask_b32_e64 v149, 0, 1, vcc_lo
	v_add_co_ci_u32_e32 v146, vcc_lo, 0, v146, vcc_lo
	s_delay_alu instid0(VALU_DEP_2)
	v_lshrrev_b32_e32 v148, v149, v148
; %bb.5131:                             ;   in Loop: Header=BB2_5106 Depth=3
	s_and_not1_saveexec_b32 s14, s14
; %bb.5132:                             ;   in Loop: Header=BB2_5106 Depth=3
	s_delay_alu instid0(VALU_DEP_1)
	v_bfe_u32 v146, v148, 23, 1
; %bb.5133:                             ;   in Loop: Header=BB2_5106 Depth=3
	s_or_b32 exec_lo, exec_lo, s14
	v_lshrrev_b32_e32 v148, 20, v148
	s_delay_alu instid0(VALU_DEP_2) | instskip(SKIP_2) | instid1(VALU_DEP_2)
	v_cmp_gt_i32_e32 vcc_lo, 16, v146
	v_lshrrev_b32_e32 v147, 24, v147
	v_min_i32_e32 v149, 15, v146
	v_dual_cndmask_b32 v148, 7, v148 :: v_dual_and_b32 v147, 0x80, v147
	s_delay_alu instid0(VALU_DEP_1) | instskip(SKIP_1) | instid1(VALU_DEP_2)
	v_or_b32_e32 v146, v146, v148
	v_and_b32_e32 v150, 7, v148
	v_cmp_ne_u32_e32 vcc_lo, 0, v146
	v_lshlrev_b32_e32 v149, 3, v149
	s_delay_alu instid0(VALU_DEP_1) | instskip(NEXT) | instid1(VALU_DEP_1)
	v_or3_b32 v147, v149, v147, v150
	v_cndmask_b32_e32 v146, 0, v147, vcc_lo
.LBB2_5134:                             ;   in Loop: Header=BB2_5106 Depth=3
	s_or_b32 exec_lo, exec_lo, s35
.LBB2_5135:                             ;   in Loop: Header=BB2_5106 Depth=3
	s_delay_alu instid0(SALU_CYCLE_1)
	s_or_b32 exec_lo, exec_lo, s34
	s_waitcnt vmcnt(1)
	v_lshrrev_b16 v148, 8, v12
	s_waitcnt vmcnt(0)
	v_lshrrev_b16 v147, 8, v8
	s_and_b32 vcc_lo, exec_lo, s31
	s_cbranch_vccz .LBB2_5145
; %bb.5136:                             ;   in Loop: Header=BB2_5106 Depth=3
	s_mov_b32 s14, 0
	s_mov_b32 s35, exec_lo
                                        ; implicit-def: $sgpr34
	v_cmpx_lt_i16_e64 0x7f, v148
	s_xor_b32 s35, exec_lo, s35
	s_cbranch_execnz .LBB2_5584
; %bb.5137:                             ;   in Loop: Header=BB2_5106 Depth=3
	s_or_saveexec_b32 s35, s35
	v_mov_b32_e32 v149, s34
	s_xor_b32 exec_lo, exec_lo, s35
	s_cbranch_execnz .LBB2_5587
.LBB2_5138:                             ;   in Loop: Header=BB2_5106 Depth=3
	s_or_b32 exec_lo, exec_lo, s35
	s_and_saveexec_b32 s34, s14
	s_cbranch_execz .LBB2_5140
.LBB2_5139:                             ;   in Loop: Header=BB2_5106 Depth=3
	v_and_b32_e32 v149, 0xffff, v148
	v_lshlrev_b32_e32 v161, 16, v12
	s_delay_alu instid0(VALU_DEP_2) | instskip(NEXT) | instid1(VALU_DEP_1)
	v_and_b32_e32 v150, 7, v149
	v_clz_i32_u32_e32 v151, v150
	s_delay_alu instid0(VALU_DEP_1) | instskip(NEXT) | instid1(VALU_DEP_1)
	v_min_u32_e32 v151, 32, v151
	v_subrev_nc_u32_e32 v160, 28, v151
	v_sub_nc_u32_e32 v151, 29, v151
	s_delay_alu instid0(VALU_DEP_2) | instskip(SKIP_1) | instid1(VALU_DEP_2)
	v_lshlrev_b32_e32 v160, v160, v149
	v_bfe_u32 v149, v149, 3, 4
	v_and_b32_e32 v160, 7, v160
	s_delay_alu instid0(VALU_DEP_2) | instskip(NEXT) | instid1(VALU_DEP_2)
	v_cmp_eq_u32_e32 vcc_lo, 0, v149
	v_dual_cndmask_b32 v149, v149, v151 :: v_dual_cndmask_b32 v150, v150, v160
	v_and_b32_e32 v151, 0x80000000, v161
	s_delay_alu instid0(VALU_DEP_2) | instskip(NEXT) | instid1(VALU_DEP_3)
	v_lshl_add_u32 v149, v149, 23, 0x3b800000
	v_lshlrev_b32_e32 v150, 20, v150
	s_delay_alu instid0(VALU_DEP_1)
	v_or3_b32 v149, v151, v149, v150
.LBB2_5140:                             ;   in Loop: Header=BB2_5106 Depth=3
	s_or_b32 exec_lo, exec_lo, s34
	s_mov_b32 s14, 0
	s_mov_b32 s35, exec_lo
                                        ; implicit-def: $sgpr34
	v_cmpx_lt_i16_e64 0x7f, v147
	s_xor_b32 s35, exec_lo, s35
	s_cbranch_execnz .LBB2_5588
; %bb.5141:                             ;   in Loop: Header=BB2_5106 Depth=3
	s_or_saveexec_b32 s35, s35
	v_mov_b32_e32 v150, s34
	s_xor_b32 exec_lo, exec_lo, s35
	s_cbranch_execnz .LBB2_5591
.LBB2_5142:                             ;   in Loop: Header=BB2_5106 Depth=3
	s_or_b32 exec_lo, exec_lo, s35
	s_and_saveexec_b32 s34, s14
	s_cbranch_execz .LBB2_5144
.LBB2_5143:                             ;   in Loop: Header=BB2_5106 Depth=3
	v_and_b32_e32 v150, 0xffff, v147
	v_lshlrev_b32_e32 v162, 16, v8
	s_delay_alu instid0(VALU_DEP_2) | instskip(NEXT) | instid1(VALU_DEP_1)
	v_and_b32_e32 v151, 7, v150
	v_clz_i32_u32_e32 v160, v151
	s_delay_alu instid0(VALU_DEP_1) | instskip(NEXT) | instid1(VALU_DEP_1)
	v_min_u32_e32 v160, 32, v160
	v_subrev_nc_u32_e32 v161, 28, v160
	v_sub_nc_u32_e32 v160, 29, v160
	s_delay_alu instid0(VALU_DEP_2) | instskip(SKIP_1) | instid1(VALU_DEP_2)
	v_lshlrev_b32_e32 v161, v161, v150
	v_bfe_u32 v150, v150, 3, 4
	v_and_b32_e32 v161, 7, v161
	s_delay_alu instid0(VALU_DEP_2) | instskip(NEXT) | instid1(VALU_DEP_2)
	v_cmp_eq_u32_e32 vcc_lo, 0, v150
	v_dual_cndmask_b32 v150, v150, v160 :: v_dual_cndmask_b32 v151, v151, v161
	v_and_b32_e32 v160, 0x80000000, v162
	s_delay_alu instid0(VALU_DEP_2) | instskip(NEXT) | instid1(VALU_DEP_3)
	v_lshl_add_u32 v150, v150, 23, 0x3b800000
	v_lshlrev_b32_e32 v151, 20, v151
	s_delay_alu instid0(VALU_DEP_1)
	v_or3_b32 v150, v160, v150, v151
.LBB2_5144:                             ;   in Loop: Header=BB2_5106 Depth=3
	s_or_b32 exec_lo, exec_lo, s34
	s_delay_alu instid0(VALU_DEP_1) | instskip(SKIP_1) | instid1(VALU_DEP_1)
	v_dual_max_f32 v150, v150, v150 :: v_dual_max_f32 v149, v149, v149
	s_mov_b32 s14, 0
	v_max_f32_e32 v149, v149, v150
	s_branch .LBB2_5146
.LBB2_5145:                             ;   in Loop: Header=BB2_5106 Depth=3
	s_mov_b32 s14, -1
                                        ; implicit-def: $vgpr149
.LBB2_5146:                             ;   in Loop: Header=BB2_5106 Depth=3
	s_delay_alu instid0(SALU_CYCLE_1)
	s_and_b32 vcc_lo, exec_lo, s14
	s_cbranch_vccz .LBB2_5156
; %bb.5147:                             ;   in Loop: Header=BB2_5106 Depth=3
	s_mov_b32 s14, 0
	s_mov_b32 s35, exec_lo
                                        ; implicit-def: $sgpr34
	v_cmpx_lt_i16_e64 0x7f, v148
	s_xor_b32 s35, exec_lo, s35
	s_cbranch_execnz .LBB2_5592
; %bb.5148:                             ;   in Loop: Header=BB2_5106 Depth=3
	s_or_saveexec_b32 s35, s35
	v_mov_b32_e32 v149, s34
	s_xor_b32 exec_lo, exec_lo, s35
	s_cbranch_execnz .LBB2_5595
.LBB2_5149:                             ;   in Loop: Header=BB2_5106 Depth=3
	s_or_b32 exec_lo, exec_lo, s35
	s_and_saveexec_b32 s34, s14
	s_cbranch_execz .LBB2_5151
.LBB2_5150:                             ;   in Loop: Header=BB2_5106 Depth=3
	v_and_b32_e32 v148, 0xffff, v148
	v_lshlrev_b32_e32 v160, 16, v12
	s_delay_alu instid0(VALU_DEP_2) | instskip(NEXT) | instid1(VALU_DEP_1)
	v_and_b32_e32 v149, 7, v148
	v_clz_i32_u32_e32 v150, v149
	s_delay_alu instid0(VALU_DEP_1) | instskip(NEXT) | instid1(VALU_DEP_1)
	v_min_u32_e32 v150, 32, v150
	v_subrev_nc_u32_e32 v151, 28, v150
	v_sub_nc_u32_e32 v150, 29, v150
	s_delay_alu instid0(VALU_DEP_2) | instskip(SKIP_1) | instid1(VALU_DEP_2)
	v_lshlrev_b32_e32 v151, v151, v148
	v_bfe_u32 v148, v148, 3, 4
	v_and_b32_e32 v151, 7, v151
	s_delay_alu instid0(VALU_DEP_2) | instskip(NEXT) | instid1(VALU_DEP_2)
	v_cmp_eq_u32_e32 vcc_lo, 0, v148
	v_dual_cndmask_b32 v148, v148, v150 :: v_dual_cndmask_b32 v149, v149, v151
	v_and_b32_e32 v150, 0x80000000, v160
	s_delay_alu instid0(VALU_DEP_2) | instskip(NEXT) | instid1(VALU_DEP_3)
	v_lshl_add_u32 v148, v148, 23, 0x3b800000
	v_lshlrev_b32_e32 v149, 20, v149
	s_delay_alu instid0(VALU_DEP_1)
	v_or3_b32 v149, v150, v148, v149
.LBB2_5151:                             ;   in Loop: Header=BB2_5106 Depth=3
	s_or_b32 exec_lo, exec_lo, s34
	s_mov_b32 s14, 0
	s_mov_b32 s35, exec_lo
                                        ; implicit-def: $sgpr34
	v_cmpx_lt_i16_e64 0x7f, v147
	s_xor_b32 s35, exec_lo, s35
	s_cbranch_execnz .LBB2_5596
; %bb.5152:                             ;   in Loop: Header=BB2_5106 Depth=3
	s_or_saveexec_b32 s35, s35
	v_mov_b32_e32 v148, s34
	s_xor_b32 exec_lo, exec_lo, s35
	s_cbranch_execnz .LBB2_5599
.LBB2_5153:                             ;   in Loop: Header=BB2_5106 Depth=3
	s_or_b32 exec_lo, exec_lo, s35
	s_and_saveexec_b32 s34, s14
	s_cbranch_execz .LBB2_5155
.LBB2_5154:                             ;   in Loop: Header=BB2_5106 Depth=3
	v_and_b32_e32 v147, 0xffff, v147
	v_lshlrev_b32_e32 v160, 16, v8
	s_delay_alu instid0(VALU_DEP_2) | instskip(NEXT) | instid1(VALU_DEP_1)
	v_and_b32_e32 v148, 7, v147
	v_clz_i32_u32_e32 v150, v148
	s_delay_alu instid0(VALU_DEP_1) | instskip(NEXT) | instid1(VALU_DEP_1)
	v_min_u32_e32 v150, 32, v150
	v_subrev_nc_u32_e32 v151, 28, v150
	v_sub_nc_u32_e32 v150, 29, v150
	s_delay_alu instid0(VALU_DEP_2) | instskip(SKIP_1) | instid1(VALU_DEP_2)
	v_lshlrev_b32_e32 v151, v151, v147
	v_bfe_u32 v147, v147, 3, 4
	v_and_b32_e32 v151, 7, v151
	s_delay_alu instid0(VALU_DEP_2) | instskip(NEXT) | instid1(VALU_DEP_2)
	v_cmp_eq_u32_e32 vcc_lo, 0, v147
	v_dual_cndmask_b32 v147, v147, v150 :: v_dual_cndmask_b32 v148, v148, v151
	v_and_b32_e32 v150, 0x80000000, v160
	s_delay_alu instid0(VALU_DEP_2) | instskip(NEXT) | instid1(VALU_DEP_3)
	v_lshl_add_u32 v147, v147, 23, 0x3b800000
	v_lshlrev_b32_e32 v148, 20, v148
	s_delay_alu instid0(VALU_DEP_1)
	v_or3_b32 v148, v150, v147, v148
.LBB2_5155:                             ;   in Loop: Header=BB2_5106 Depth=3
	s_or_b32 exec_lo, exec_lo, s34
	s_delay_alu instid0(VALU_DEP_1) | instskip(NEXT) | instid1(VALU_DEP_1)
	v_dual_max_f32 v147, v148, v148 :: v_dual_max_f32 v148, v149, v149
	v_min_f32_e32 v149, v148, v147
.LBB2_5156:                             ;   in Loop: Header=BB2_5106 Depth=3
	s_delay_alu instid0(VALU_DEP_1) | instskip(NEXT) | instid1(VALU_DEP_1)
	v_and_b32_e32 v147, 0x7f800000, v149
	v_cmp_ne_u32_e32 vcc_lo, 0x7f800000, v147
	v_mov_b32_e32 v147, 0x80
	s_and_saveexec_b32 s34, vcc_lo
	s_cbranch_execz .LBB2_5164
; %bb.5157:                             ;   in Loop: Header=BB2_5106 Depth=3
	v_mov_b32_e32 v147, 0
	s_mov_b32 s35, exec_lo
	v_cmpx_ne_u32_e32 0, v149
	s_cbranch_execz .LBB2_5163
; %bb.5158:                             ;   in Loop: Header=BB2_5106 Depth=3
	v_bfe_u32 v147, v149, 23, 8
	v_and_b32_e32 v148, 0x7fffff, v149
	s_delay_alu instid0(VALU_DEP_2) | instskip(SKIP_1) | instid1(VALU_DEP_3)
	v_sub_nc_u32_e32 v150, 0x78, v147
	v_cmp_gt_u32_e32 vcc_lo, 0x79, v147
	v_or_b32_e32 v151, 0x800000, v148
	s_delay_alu instid0(VALU_DEP_3) | instskip(SKIP_2) | instid1(VALU_DEP_3)
	v_cndmask_b32_e32 v150, 0, v150, vcc_lo
	v_cmp_eq_u32_e32 vcc_lo, 0, v147
	v_add_nc_u32_e32 v147, 0xffffff89, v147
	v_cndmask_b32_e64 v150, v150, 0x77, vcc_lo
	v_cndmask_b32_e32 v148, v151, v148, vcc_lo
	s_delay_alu instid0(VALU_DEP_3) | instskip(NEXT) | instid1(VALU_DEP_3)
	v_cndmask_b32_e64 v147, v147, 0xffffff8a, vcc_lo
	v_lshl_add_u32 v151, 0x100000, v150, -1
	s_delay_alu instid0(VALU_DEP_3) | instskip(SKIP_1) | instid1(VALU_DEP_4)
	v_lshrrev_b32_e32 v160, v150, v148
	v_lshlrev_b32_e64 v162, v150, 0x80000
	v_add_nc_u32_e32 v150, v150, v147
	s_delay_alu instid0(VALU_DEP_4) | instskip(NEXT) | instid1(VALU_DEP_4)
	v_and_b32_e32 v148, v151, v148
	v_bfe_u32 v161, v160, 20, 1
	s_delay_alu instid0(VALU_DEP_2) | instskip(NEXT) | instid1(VALU_DEP_2)
	v_cmp_eq_u32_e64 s14, v148, v162
	v_add_nc_u32_e32 v151, -1, v161
	s_delay_alu instid0(VALU_DEP_1) | instskip(SKIP_2) | instid1(VALU_DEP_2)
	v_cndmask_b32_e64 v148, 0, v151, s14
	v_lshrrev_b32_e32 v151, 23, v160
	s_mov_b32 s14, exec_lo
	v_add_nc_u32_e32 v148, v148, v160
	s_delay_alu instid0(VALU_DEP_2) | instskip(NEXT) | instid1(VALU_DEP_2)
	v_xor_b32_e32 v151, 1, v151
	v_and_b32_e32 v147, 0xfffff, v148
	s_delay_alu instid0(VALU_DEP_1) | instskip(NEXT) | instid1(VALU_DEP_3)
	v_add_nc_u32_e32 v148, v147, v160
                                        ; implicit-def: $vgpr147
	v_cmpx_ne_u32_e64 v150, v151
	s_xor_b32 s14, exec_lo, s14
; %bb.5159:                             ;   in Loop: Header=BB2_5106 Depth=3
	s_delay_alu instid0(VALU_DEP_2) | instskip(SKIP_2) | instid1(VALU_DEP_2)
	v_cmp_lt_u32_e32 vcc_lo, 0xffffff, v148
	v_sub_nc_u32_e32 v147, v150, v151
	v_cndmask_b32_e64 v150, 0, 1, vcc_lo
	v_add_co_ci_u32_e32 v147, vcc_lo, 0, v147, vcc_lo
	s_delay_alu instid0(VALU_DEP_2)
	v_lshrrev_b32_e32 v148, v150, v148
; %bb.5160:                             ;   in Loop: Header=BB2_5106 Depth=3
	s_and_not1_saveexec_b32 s14, s14
; %bb.5161:                             ;   in Loop: Header=BB2_5106 Depth=3
	s_delay_alu instid0(VALU_DEP_1)
	v_bfe_u32 v147, v148, 23, 1
; %bb.5162:                             ;   in Loop: Header=BB2_5106 Depth=3
	s_or_b32 exec_lo, exec_lo, s14
	v_lshrrev_b32_e32 v148, 20, v148
	s_delay_alu instid0(VALU_DEP_2) | instskip(SKIP_2) | instid1(VALU_DEP_2)
	v_cmp_gt_i32_e32 vcc_lo, 16, v147
	v_lshrrev_b32_e32 v149, 24, v149
	v_min_i32_e32 v150, 15, v147
	v_dual_cndmask_b32 v148, 7, v148 :: v_dual_and_b32 v149, 0x80, v149
	s_delay_alu instid0(VALU_DEP_1) | instskip(SKIP_1) | instid1(VALU_DEP_2)
	v_or_b32_e32 v147, v147, v148
	v_and_b32_e32 v151, 7, v148
	v_cmp_ne_u32_e32 vcc_lo, 0, v147
	v_lshlrev_b32_e32 v150, 3, v150
	s_delay_alu instid0(VALU_DEP_1) | instskip(NEXT) | instid1(VALU_DEP_1)
	v_or3_b32 v148, v150, v149, v151
	v_cndmask_b32_e32 v147, 0, v148, vcc_lo
.LBB2_5163:                             ;   in Loop: Header=BB2_5106 Depth=3
	s_or_b32 exec_lo, exec_lo, s35
.LBB2_5164:                             ;   in Loop: Header=BB2_5106 Depth=3
	s_delay_alu instid0(SALU_CYCLE_1)
	s_or_b32 exec_lo, exec_lo, s34
	v_lshrrev_b32_e32 v149, 16, v12
	v_lshrrev_b32_e32 v148, 16, v8
	s_and_b32 vcc_lo, exec_lo, s31
	s_cbranch_vccz .LBB2_5174
; %bb.5165:                             ;   in Loop: Header=BB2_5106 Depth=3
	s_delay_alu instid0(VALU_DEP_2) | instskip(SKIP_2) | instid1(VALU_DEP_1)
	v_and_b32_e32 v151, 0xff, v149
	s_mov_b32 s14, 0
	s_mov_b32 s35, exec_lo
                                        ; implicit-def: $sgpr34
	v_cmpx_lt_i16_e64 0x7f, v151
	s_xor_b32 s35, exec_lo, s35
	s_cbranch_execnz .LBB2_5600
; %bb.5166:                             ;   in Loop: Header=BB2_5106 Depth=3
	s_or_saveexec_b32 s35, s35
	v_mov_b32_e32 v150, s34
	s_xor_b32 exec_lo, exec_lo, s35
	s_cbranch_execnz .LBB2_5603
.LBB2_5167:                             ;   in Loop: Header=BB2_5106 Depth=3
	s_or_b32 exec_lo, exec_lo, s35
	s_and_saveexec_b32 s34, s14
	s_cbranch_execz .LBB2_5169
.LBB2_5168:                             ;   in Loop: Header=BB2_5106 Depth=3
	v_bfe_u32 v150, v12, 16, 3
	v_bfe_u32 v161, v12, 19, 4
	v_lshlrev_b32_e32 v162, 24, v149
	s_delay_alu instid0(VALU_DEP_3) | instskip(NEXT) | instid1(VALU_DEP_3)
	v_clz_i32_u32_e32 v151, v150
	v_cmp_eq_u32_e32 vcc_lo, 0, v161
	s_delay_alu instid0(VALU_DEP_2) | instskip(NEXT) | instid1(VALU_DEP_1)
	v_min_u32_e32 v151, 32, v151
	v_subrev_nc_u32_e32 v160, 28, v151
	v_sub_nc_u32_e32 v151, 29, v151
	s_delay_alu instid0(VALU_DEP_1) | instskip(NEXT) | instid1(VALU_DEP_1)
	v_dual_cndmask_b32 v151, v161, v151 :: v_dual_lshlrev_b32 v160, v160, v149
	v_and_b32_e32 v160, 7, v160
	s_delay_alu instid0(VALU_DEP_2) | instskip(NEXT) | instid1(VALU_DEP_2)
	v_lshl_add_u32 v151, v151, 23, 0x3b800000
	v_cndmask_b32_e32 v150, v150, v160, vcc_lo
	v_and_b32_e32 v160, 0x80000000, v162
	s_delay_alu instid0(VALU_DEP_2) | instskip(NEXT) | instid1(VALU_DEP_1)
	v_lshlrev_b32_e32 v150, 20, v150
	v_or3_b32 v150, v160, v151, v150
.LBB2_5169:                             ;   in Loop: Header=BB2_5106 Depth=3
	s_or_b32 exec_lo, exec_lo, s34
	v_and_b32_e32 v160, 0xff, v148
	s_mov_b32 s14, 0
	s_mov_b32 s35, exec_lo
                                        ; implicit-def: $sgpr34
	s_delay_alu instid0(VALU_DEP_1)
	v_cmpx_lt_i16_e64 0x7f, v160
	s_xor_b32 s35, exec_lo, s35
	s_cbranch_execnz .LBB2_5604
; %bb.5170:                             ;   in Loop: Header=BB2_5106 Depth=3
	s_or_saveexec_b32 s35, s35
	v_mov_b32_e32 v151, s34
	s_xor_b32 exec_lo, exec_lo, s35
	s_cbranch_execnz .LBB2_5607
.LBB2_5171:                             ;   in Loop: Header=BB2_5106 Depth=3
	s_or_b32 exec_lo, exec_lo, s35
	s_and_saveexec_b32 s34, s14
	s_cbranch_execz .LBB2_5173
.LBB2_5172:                             ;   in Loop: Header=BB2_5106 Depth=3
	v_bfe_u32 v151, v8, 16, 3
	v_bfe_u32 v162, v8, 19, 4
	v_lshlrev_b32_e32 v163, 24, v148
	s_delay_alu instid0(VALU_DEP_3) | instskip(NEXT) | instid1(VALU_DEP_3)
	v_clz_i32_u32_e32 v160, v151
	v_cmp_eq_u32_e32 vcc_lo, 0, v162
	s_delay_alu instid0(VALU_DEP_2) | instskip(NEXT) | instid1(VALU_DEP_1)
	v_min_u32_e32 v160, 32, v160
	v_subrev_nc_u32_e32 v161, 28, v160
	v_sub_nc_u32_e32 v160, 29, v160
	s_delay_alu instid0(VALU_DEP_2) | instskip(NEXT) | instid1(VALU_DEP_1)
	v_lshlrev_b32_e32 v161, v161, v148
	v_dual_cndmask_b32 v160, v162, v160 :: v_dual_and_b32 v161, 7, v161
	s_delay_alu instid0(VALU_DEP_1) | instskip(NEXT) | instid1(VALU_DEP_2)
	v_lshl_add_u32 v160, v160, 23, 0x3b800000
	v_cndmask_b32_e32 v151, v151, v161, vcc_lo
	v_and_b32_e32 v161, 0x80000000, v163
	s_delay_alu instid0(VALU_DEP_2) | instskip(NEXT) | instid1(VALU_DEP_1)
	v_lshlrev_b32_e32 v151, 20, v151
	v_or3_b32 v151, v161, v160, v151
.LBB2_5173:                             ;   in Loop: Header=BB2_5106 Depth=3
	s_or_b32 exec_lo, exec_lo, s34
	s_delay_alu instid0(VALU_DEP_1) | instskip(SKIP_1) | instid1(VALU_DEP_1)
	v_dual_max_f32 v151, v151, v151 :: v_dual_max_f32 v150, v150, v150
	s_mov_b32 s14, 0
	v_max_f32_e32 v150, v150, v151
	s_branch .LBB2_5175
.LBB2_5174:                             ;   in Loop: Header=BB2_5106 Depth=3
	s_mov_b32 s14, -1
                                        ; implicit-def: $vgpr150
.LBB2_5175:                             ;   in Loop: Header=BB2_5106 Depth=3
	s_delay_alu instid0(SALU_CYCLE_1)
	s_and_b32 vcc_lo, exec_lo, s14
	s_cbranch_vccz .LBB2_5185
; %bb.5176:                             ;   in Loop: Header=BB2_5106 Depth=3
	v_and_b32_e32 v151, 0xff, v149
	s_mov_b32 s14, 0
	s_mov_b32 s35, exec_lo
                                        ; implicit-def: $sgpr34
	s_delay_alu instid0(VALU_DEP_1)
	v_cmpx_lt_i16_e64 0x7f, v151
	s_xor_b32 s35, exec_lo, s35
	s_cbranch_execnz .LBB2_5608
; %bb.5177:                             ;   in Loop: Header=BB2_5106 Depth=3
	s_or_saveexec_b32 s35, s35
	v_mov_b32_e32 v150, s34
	s_xor_b32 exec_lo, exec_lo, s35
	s_cbranch_execnz .LBB2_5611
.LBB2_5178:                             ;   in Loop: Header=BB2_5106 Depth=3
	s_or_b32 exec_lo, exec_lo, s35
	s_and_saveexec_b32 s34, s14
	s_cbranch_execz .LBB2_5180
.LBB2_5179:                             ;   in Loop: Header=BB2_5106 Depth=3
	v_bfe_u32 v150, v12, 16, 3
	v_bfe_u32 v161, v12, 19, 4
	s_delay_alu instid0(VALU_DEP_2) | instskip(NEXT) | instid1(VALU_DEP_2)
	v_clz_i32_u32_e32 v151, v150
	v_cmp_eq_u32_e32 vcc_lo, 0, v161
	s_delay_alu instid0(VALU_DEP_2) | instskip(NEXT) | instid1(VALU_DEP_1)
	v_min_u32_e32 v151, 32, v151
	v_subrev_nc_u32_e32 v160, 28, v151
	v_sub_nc_u32_e32 v151, 29, v151
	s_delay_alu instid0(VALU_DEP_1) | instskip(NEXT) | instid1(VALU_DEP_1)
	v_dual_cndmask_b32 v151, v161, v151 :: v_dual_lshlrev_b32 v160, v160, v149
	v_and_b32_e32 v160, 7, v160
	v_lshlrev_b32_e32 v149, 24, v149
	s_delay_alu instid0(VALU_DEP_3) | instskip(NEXT) | instid1(VALU_DEP_2)
	v_lshl_add_u32 v151, v151, 23, 0x3b800000
	v_dual_cndmask_b32 v150, v150, v160 :: v_dual_and_b32 v149, 0x80000000, v149
	s_delay_alu instid0(VALU_DEP_1) | instskip(NEXT) | instid1(VALU_DEP_1)
	v_lshlrev_b32_e32 v150, 20, v150
	v_or3_b32 v150, v149, v151, v150
.LBB2_5180:                             ;   in Loop: Header=BB2_5106 Depth=3
	s_or_b32 exec_lo, exec_lo, s34
	v_and_b32_e32 v151, 0xff, v148
	s_mov_b32 s14, 0
	s_mov_b32 s35, exec_lo
                                        ; implicit-def: $sgpr34
	s_delay_alu instid0(VALU_DEP_1)
	v_cmpx_lt_i16_e64 0x7f, v151
	s_xor_b32 s35, exec_lo, s35
	s_cbranch_execnz .LBB2_5612
; %bb.5181:                             ;   in Loop: Header=BB2_5106 Depth=3
	s_or_saveexec_b32 s35, s35
	v_mov_b32_e32 v149, s34
	s_xor_b32 exec_lo, exec_lo, s35
	s_cbranch_execnz .LBB2_5615
.LBB2_5182:                             ;   in Loop: Header=BB2_5106 Depth=3
	s_or_b32 exec_lo, exec_lo, s35
	s_and_saveexec_b32 s34, s14
	s_cbranch_execz .LBB2_5184
.LBB2_5183:                             ;   in Loop: Header=BB2_5106 Depth=3
	v_bfe_u32 v149, v8, 16, 3
	v_bfe_u32 v161, v8, 19, 4
	s_delay_alu instid0(VALU_DEP_2) | instskip(NEXT) | instid1(VALU_DEP_2)
	v_clz_i32_u32_e32 v151, v149
	v_cmp_eq_u32_e32 vcc_lo, 0, v161
	s_delay_alu instid0(VALU_DEP_2) | instskip(NEXT) | instid1(VALU_DEP_1)
	v_min_u32_e32 v151, 32, v151
	v_subrev_nc_u32_e32 v160, 28, v151
	v_sub_nc_u32_e32 v151, 29, v151
	s_delay_alu instid0(VALU_DEP_1) | instskip(SKIP_1) | instid1(VALU_DEP_2)
	v_dual_cndmask_b32 v151, v161, v151 :: v_dual_lshlrev_b32 v160, v160, v148
	v_lshlrev_b32_e32 v148, 24, v148
	v_and_b32_e32 v160, 7, v160
	s_delay_alu instid0(VALU_DEP_3) | instskip(NEXT) | instid1(VALU_DEP_3)
	v_lshl_add_u32 v151, v151, 23, 0x3b800000
	v_and_b32_e32 v148, 0x80000000, v148
	s_delay_alu instid0(VALU_DEP_3) | instskip(NEXT) | instid1(VALU_DEP_1)
	v_cndmask_b32_e32 v149, v149, v160, vcc_lo
	v_lshlrev_b32_e32 v149, 20, v149
	s_delay_alu instid0(VALU_DEP_1)
	v_or3_b32 v149, v148, v151, v149
.LBB2_5184:                             ;   in Loop: Header=BB2_5106 Depth=3
	s_or_b32 exec_lo, exec_lo, s34
	s_delay_alu instid0(VALU_DEP_1) | instskip(NEXT) | instid1(VALU_DEP_1)
	v_dual_max_f32 v148, v149, v149 :: v_dual_max_f32 v149, v150, v150
	v_min_f32_e32 v150, v149, v148
.LBB2_5185:                             ;   in Loop: Header=BB2_5106 Depth=3
	s_delay_alu instid0(VALU_DEP_1) | instskip(NEXT) | instid1(VALU_DEP_1)
	v_and_b32_e32 v148, 0x7f800000, v150
	v_cmp_ne_u32_e32 vcc_lo, 0x7f800000, v148
	v_mov_b32_e32 v148, 0x80
	s_and_saveexec_b32 s34, vcc_lo
	s_cbranch_execz .LBB2_5193
; %bb.5186:                             ;   in Loop: Header=BB2_5106 Depth=3
	v_mov_b32_e32 v148, 0
	s_mov_b32 s35, exec_lo
	v_cmpx_ne_u32_e32 0, v150
	s_cbranch_execz .LBB2_5192
; %bb.5187:                             ;   in Loop: Header=BB2_5106 Depth=3
	v_bfe_u32 v148, v150, 23, 8
	v_and_b32_e32 v149, 0x7fffff, v150
	s_delay_alu instid0(VALU_DEP_2) | instskip(SKIP_1) | instid1(VALU_DEP_3)
	v_sub_nc_u32_e32 v151, 0x78, v148
	v_cmp_gt_u32_e32 vcc_lo, 0x79, v148
	v_or_b32_e32 v160, 0x800000, v149
	s_delay_alu instid0(VALU_DEP_3) | instskip(SKIP_2) | instid1(VALU_DEP_3)
	v_cndmask_b32_e32 v151, 0, v151, vcc_lo
	v_cmp_eq_u32_e32 vcc_lo, 0, v148
	v_add_nc_u32_e32 v148, 0xffffff89, v148
	v_cndmask_b32_e64 v151, v151, 0x77, vcc_lo
	v_cndmask_b32_e32 v149, v160, v149, vcc_lo
	s_delay_alu instid0(VALU_DEP_3) | instskip(NEXT) | instid1(VALU_DEP_3)
	v_cndmask_b32_e64 v148, v148, 0xffffff8a, vcc_lo
	v_lshl_add_u32 v160, 0x100000, v151, -1
	s_delay_alu instid0(VALU_DEP_3) | instskip(SKIP_1) | instid1(VALU_DEP_4)
	v_lshrrev_b32_e32 v161, v151, v149
	v_lshlrev_b32_e64 v163, v151, 0x80000
	v_add_nc_u32_e32 v151, v151, v148
	s_delay_alu instid0(VALU_DEP_4) | instskip(NEXT) | instid1(VALU_DEP_4)
	v_and_b32_e32 v149, v160, v149
	v_bfe_u32 v162, v161, 20, 1
	s_delay_alu instid0(VALU_DEP_2) | instskip(NEXT) | instid1(VALU_DEP_2)
	v_cmp_eq_u32_e64 s14, v149, v163
	v_add_nc_u32_e32 v160, -1, v162
	s_delay_alu instid0(VALU_DEP_1) | instskip(SKIP_2) | instid1(VALU_DEP_2)
	v_cndmask_b32_e64 v149, 0, v160, s14
	v_lshrrev_b32_e32 v160, 23, v161
	s_mov_b32 s14, exec_lo
	v_add_nc_u32_e32 v149, v149, v161
	s_delay_alu instid0(VALU_DEP_2) | instskip(NEXT) | instid1(VALU_DEP_2)
	v_xor_b32_e32 v160, 1, v160
	v_and_b32_e32 v148, 0xfffff, v149
	s_delay_alu instid0(VALU_DEP_1) | instskip(NEXT) | instid1(VALU_DEP_3)
	v_add_nc_u32_e32 v149, v148, v161
                                        ; implicit-def: $vgpr148
	v_cmpx_ne_u32_e64 v151, v160
	s_xor_b32 s14, exec_lo, s14
; %bb.5188:                             ;   in Loop: Header=BB2_5106 Depth=3
	s_delay_alu instid0(VALU_DEP_2) | instskip(SKIP_2) | instid1(VALU_DEP_2)
	v_cmp_lt_u32_e32 vcc_lo, 0xffffff, v149
	v_sub_nc_u32_e32 v148, v151, v160
	v_cndmask_b32_e64 v151, 0, 1, vcc_lo
	v_add_co_ci_u32_e32 v148, vcc_lo, 0, v148, vcc_lo
	s_delay_alu instid0(VALU_DEP_2)
	v_lshrrev_b32_e32 v149, v151, v149
; %bb.5189:                             ;   in Loop: Header=BB2_5106 Depth=3
	s_and_not1_saveexec_b32 s14, s14
; %bb.5190:                             ;   in Loop: Header=BB2_5106 Depth=3
	s_delay_alu instid0(VALU_DEP_1)
	v_bfe_u32 v148, v149, 23, 1
; %bb.5191:                             ;   in Loop: Header=BB2_5106 Depth=3
	s_or_b32 exec_lo, exec_lo, s14
	v_lshrrev_b32_e32 v149, 20, v149
	s_delay_alu instid0(VALU_DEP_2) | instskip(SKIP_2) | instid1(VALU_DEP_2)
	v_cmp_gt_i32_e32 vcc_lo, 16, v148
	v_lshrrev_b32_e32 v150, 24, v150
	v_min_i32_e32 v151, 15, v148
	v_dual_cndmask_b32 v149, 7, v149 :: v_dual_and_b32 v150, 0x80, v150
	s_delay_alu instid0(VALU_DEP_1) | instskip(SKIP_1) | instid1(VALU_DEP_2)
	v_or_b32_e32 v148, v148, v149
	v_and_b32_e32 v160, 7, v149
	v_cmp_ne_u32_e32 vcc_lo, 0, v148
	v_lshlrev_b32_e32 v151, 3, v151
	s_delay_alu instid0(VALU_DEP_1) | instskip(NEXT) | instid1(VALU_DEP_1)
	v_or3_b32 v149, v151, v150, v160
	v_cndmask_b32_e32 v148, 0, v149, vcc_lo
.LBB2_5192:                             ;   in Loop: Header=BB2_5106 Depth=3
	s_or_b32 exec_lo, exec_lo, s35
.LBB2_5193:                             ;   in Loop: Header=BB2_5106 Depth=3
	s_delay_alu instid0(SALU_CYCLE_1)
	s_or_b32 exec_lo, exec_lo, s34
	v_lshrrev_b32_e32 v150, 24, v12
	v_lshrrev_b32_e32 v149, 24, v8
	s_and_b32 vcc_lo, exec_lo, s31
	s_cbranch_vccz .LBB2_5203
; %bb.5194:                             ;   in Loop: Header=BB2_5106 Depth=3
	s_mov_b32 s14, 0
	s_mov_b32 s35, exec_lo
                                        ; implicit-def: $sgpr34
	v_cmpx_lt_i16_e64 0x7f, v150
	s_xor_b32 s35, exec_lo, s35
	s_cbranch_execnz .LBB2_5616
; %bb.5195:                             ;   in Loop: Header=BB2_5106 Depth=3
	s_or_saveexec_b32 s35, s35
	v_mov_b32_e32 v151, s34
	s_xor_b32 exec_lo, exec_lo, s35
	s_cbranch_execnz .LBB2_5619
.LBB2_5196:                             ;   in Loop: Header=BB2_5106 Depth=3
	s_or_b32 exec_lo, exec_lo, s35
	s_and_saveexec_b32 s34, s14
	s_cbranch_execz .LBB2_5198
.LBB2_5197:                             ;   in Loop: Header=BB2_5106 Depth=3
	v_bfe_u32 v151, v12, 24, 3
	v_bfe_u32 v162, v12, 27, 4
	s_delay_alu instid0(VALU_DEP_2) | instskip(NEXT) | instid1(VALU_DEP_2)
	v_clz_i32_u32_e32 v160, v151
	v_cmp_eq_u32_e32 vcc_lo, 0, v162
	s_delay_alu instid0(VALU_DEP_2) | instskip(NEXT) | instid1(VALU_DEP_1)
	v_min_u32_e32 v160, 32, v160
	v_subrev_nc_u32_e32 v161, 28, v160
	v_sub_nc_u32_e32 v160, 29, v160
	s_delay_alu instid0(VALU_DEP_1) | instskip(NEXT) | instid1(VALU_DEP_1)
	v_dual_cndmask_b32 v160, v162, v160 :: v_dual_lshlrev_b32 v161, v161, v150
	v_and_b32_e32 v161, 7, v161
	s_delay_alu instid0(VALU_DEP_2) | instskip(NEXT) | instid1(VALU_DEP_2)
	v_lshl_add_u32 v160, v160, 23, 0x3b800000
	v_cndmask_b32_e32 v151, v151, v161, vcc_lo
	v_and_b32_e32 v161, 0x80000000, v12
	s_delay_alu instid0(VALU_DEP_2) | instskip(NEXT) | instid1(VALU_DEP_1)
	v_lshlrev_b32_e32 v151, 20, v151
	v_or3_b32 v151, v161, v160, v151
.LBB2_5198:                             ;   in Loop: Header=BB2_5106 Depth=3
	s_or_b32 exec_lo, exec_lo, s34
	s_mov_b32 s14, 0
	s_mov_b32 s35, exec_lo
                                        ; implicit-def: $sgpr34
	v_cmpx_lt_i16_e64 0x7f, v149
	s_xor_b32 s35, exec_lo, s35
	s_cbranch_execnz .LBB2_5620
; %bb.5199:                             ;   in Loop: Header=BB2_5106 Depth=3
	s_or_saveexec_b32 s35, s35
	v_mov_b32_e32 v160, s34
	s_xor_b32 exec_lo, exec_lo, s35
	s_cbranch_execnz .LBB2_5623
.LBB2_5200:                             ;   in Loop: Header=BB2_5106 Depth=3
	s_or_b32 exec_lo, exec_lo, s35
	s_and_saveexec_b32 s34, s14
	s_cbranch_execz .LBB2_5202
.LBB2_5201:                             ;   in Loop: Header=BB2_5106 Depth=3
	v_bfe_u32 v160, v8, 24, 3
	v_bfe_u32 v163, v8, 27, 4
	s_delay_alu instid0(VALU_DEP_2) | instskip(NEXT) | instid1(VALU_DEP_2)
	v_clz_i32_u32_e32 v161, v160
	v_cmp_eq_u32_e32 vcc_lo, 0, v163
	s_delay_alu instid0(VALU_DEP_2) | instskip(NEXT) | instid1(VALU_DEP_1)
	v_min_u32_e32 v161, 32, v161
	v_subrev_nc_u32_e32 v162, 28, v161
	v_sub_nc_u32_e32 v161, 29, v161
	s_delay_alu instid0(VALU_DEP_2) | instskip(NEXT) | instid1(VALU_DEP_1)
	v_lshlrev_b32_e32 v162, v162, v149
	v_dual_cndmask_b32 v161, v163, v161 :: v_dual_and_b32 v162, 7, v162
	s_delay_alu instid0(VALU_DEP_1) | instskip(NEXT) | instid1(VALU_DEP_2)
	v_lshl_add_u32 v161, v161, 23, 0x3b800000
	v_cndmask_b32_e32 v160, v160, v162, vcc_lo
	v_and_b32_e32 v162, 0x80000000, v8
	s_delay_alu instid0(VALU_DEP_2) | instskip(NEXT) | instid1(VALU_DEP_1)
	v_lshlrev_b32_e32 v160, 20, v160
	v_or3_b32 v160, v162, v161, v160
.LBB2_5202:                             ;   in Loop: Header=BB2_5106 Depth=3
	s_or_b32 exec_lo, exec_lo, s34
	s_delay_alu instid0(VALU_DEP_1) | instskip(SKIP_1) | instid1(VALU_DEP_1)
	v_dual_max_f32 v160, v160, v160 :: v_dual_max_f32 v151, v151, v151
	s_mov_b32 s14, 0
	v_max_f32_e32 v151, v151, v160
	s_branch .LBB2_5204
.LBB2_5203:                             ;   in Loop: Header=BB2_5106 Depth=3
	s_mov_b32 s14, -1
                                        ; implicit-def: $vgpr151
.LBB2_5204:                             ;   in Loop: Header=BB2_5106 Depth=3
	s_delay_alu instid0(SALU_CYCLE_1)
	s_and_b32 vcc_lo, exec_lo, s14
	s_cbranch_vccz .LBB2_5214
; %bb.5205:                             ;   in Loop: Header=BB2_5106 Depth=3
	s_mov_b32 s14, 0
	s_mov_b32 s35, exec_lo
                                        ; implicit-def: $sgpr34
	v_cmpx_lt_i16_e64 0x7f, v150
	s_xor_b32 s35, exec_lo, s35
	s_cbranch_execnz .LBB2_5624
; %bb.5206:                             ;   in Loop: Header=BB2_5106 Depth=3
	s_or_saveexec_b32 s35, s35
	v_mov_b32_e32 v151, s34
	s_xor_b32 exec_lo, exec_lo, s35
	s_cbranch_execnz .LBB2_5627
.LBB2_5207:                             ;   in Loop: Header=BB2_5106 Depth=3
	s_or_b32 exec_lo, exec_lo, s35
	s_and_saveexec_b32 s34, s14
	s_cbranch_execz .LBB2_5209
.LBB2_5208:                             ;   in Loop: Header=BB2_5106 Depth=3
	v_bfe_u32 v151, v12, 24, 3
	s_delay_alu instid0(VALU_DEP_1) | instskip(NEXT) | instid1(VALU_DEP_1)
	v_clz_i32_u32_e32 v160, v151
	v_min_u32_e32 v160, 32, v160
	s_delay_alu instid0(VALU_DEP_1) | instskip(SKIP_1) | instid1(VALU_DEP_2)
	v_subrev_nc_u32_e32 v161, 28, v160
	v_sub_nc_u32_e32 v160, 29, v160
	v_lshlrev_b32_e32 v150, v161, v150
	v_bfe_u32 v161, v12, 27, 4
	v_and_b32_e32 v12, 0x80000000, v12
	s_delay_alu instid0(VALU_DEP_3) | instskip(NEXT) | instid1(VALU_DEP_3)
	v_and_b32_e32 v150, 7, v150
	v_cmp_eq_u32_e32 vcc_lo, 0, v161
	v_cndmask_b32_e32 v160, v161, v160, vcc_lo
	s_delay_alu instid0(VALU_DEP_3) | instskip(NEXT) | instid1(VALU_DEP_2)
	v_cndmask_b32_e32 v150, v151, v150, vcc_lo
	v_lshl_add_u32 v151, v160, 23, 0x3b800000
	s_delay_alu instid0(VALU_DEP_2) | instskip(NEXT) | instid1(VALU_DEP_1)
	v_lshlrev_b32_e32 v150, 20, v150
	v_or3_b32 v151, v12, v151, v150
.LBB2_5209:                             ;   in Loop: Header=BB2_5106 Depth=3
	s_or_b32 exec_lo, exec_lo, s34
	s_mov_b32 s14, 0
	s_mov_b32 s35, exec_lo
                                        ; implicit-def: $sgpr34
	v_cmpx_lt_i16_e64 0x7f, v149
	s_xor_b32 s35, exec_lo, s35
	s_cbranch_execnz .LBB2_5628
; %bb.5210:                             ;   in Loop: Header=BB2_5106 Depth=3
	s_or_saveexec_b32 s35, s35
	v_mov_b32_e32 v12, s34
	s_xor_b32 exec_lo, exec_lo, s35
	s_cbranch_execnz .LBB2_5631
.LBB2_5211:                             ;   in Loop: Header=BB2_5106 Depth=3
	s_or_b32 exec_lo, exec_lo, s35
	s_and_saveexec_b32 s34, s14
	s_cbranch_execz .LBB2_5213
.LBB2_5212:                             ;   in Loop: Header=BB2_5106 Depth=3
	v_bfe_u32 v12, v8, 24, 3
	s_delay_alu instid0(VALU_DEP_1) | instskip(NEXT) | instid1(VALU_DEP_1)
	v_clz_i32_u32_e32 v150, v12
	v_min_u32_e32 v150, 32, v150
	s_delay_alu instid0(VALU_DEP_1) | instskip(SKIP_1) | instid1(VALU_DEP_2)
	v_subrev_nc_u32_e32 v160, 28, v150
	v_sub_nc_u32_e32 v150, 29, v150
	v_lshlrev_b32_e32 v149, v160, v149
	v_bfe_u32 v160, v8, 27, 4
	v_and_b32_e32 v8, 0x80000000, v8
	s_delay_alu instid0(VALU_DEP_2) | instskip(NEXT) | instid1(VALU_DEP_4)
	v_cmp_eq_u32_e32 vcc_lo, 0, v160
	v_dual_cndmask_b32 v150, v160, v150 :: v_dual_and_b32 v149, 7, v149
	s_delay_alu instid0(VALU_DEP_1) | instskip(NEXT) | instid1(VALU_DEP_2)
	v_cndmask_b32_e32 v12, v12, v149, vcc_lo
	v_lshl_add_u32 v149, v150, 23, 0x3b800000
	s_delay_alu instid0(VALU_DEP_2) | instskip(NEXT) | instid1(VALU_DEP_1)
	v_lshlrev_b32_e32 v12, 20, v12
	v_or3_b32 v12, v8, v149, v12
.LBB2_5213:                             ;   in Loop: Header=BB2_5106 Depth=3
	s_or_b32 exec_lo, exec_lo, s34
	s_delay_alu instid0(VALU_DEP_1) | instskip(SKIP_1) | instid1(VALU_DEP_1)
	v_max_f32_e32 v8, v12, v12
	v_max_f32_e32 v12, v151, v151
	v_min_f32_e32 v151, v12, v8
.LBB2_5214:                             ;   in Loop: Header=BB2_5106 Depth=3
	s_delay_alu instid0(VALU_DEP_1) | instskip(NEXT) | instid1(VALU_DEP_1)
	v_and_b32_e32 v8, 0x7f800000, v151
	v_cmp_ne_u32_e32 vcc_lo, 0x7f800000, v8
	v_mov_b32_e32 v8, 0x80
	s_and_saveexec_b32 s34, vcc_lo
	s_cbranch_execz .LBB2_5222
; %bb.5215:                             ;   in Loop: Header=BB2_5106 Depth=3
	v_mov_b32_e32 v8, 0
	s_mov_b32 s35, exec_lo
	v_cmpx_ne_u32_e32 0, v151
	s_cbranch_execz .LBB2_5221
; %bb.5216:                             ;   in Loop: Header=BB2_5106 Depth=3
	v_bfe_u32 v8, v151, 23, 8
	s_delay_alu instid0(VALU_DEP_1) | instskip(SKIP_1) | instid1(VALU_DEP_2)
	v_sub_nc_u32_e32 v149, 0x78, v8
	v_cmp_gt_u32_e32 vcc_lo, 0x79, v8
	v_dual_cndmask_b32 v149, 0, v149 :: v_dual_and_b32 v12, 0x7fffff, v151
	s_delay_alu instid0(VALU_DEP_1) | instskip(SKIP_2) | instid1(VALU_DEP_4)
	v_or_b32_e32 v150, 0x800000, v12
	v_cmp_eq_u32_e32 vcc_lo, 0, v8
	v_add_nc_u32_e32 v8, 0xffffff89, v8
	v_cndmask_b32_e64 v149, v149, 0x77, vcc_lo
	s_delay_alu instid0(VALU_DEP_4) | instskip(NEXT) | instid1(VALU_DEP_3)
	v_cndmask_b32_e32 v12, v150, v12, vcc_lo
	v_cndmask_b32_e64 v8, v8, 0xffffff8a, vcc_lo
	s_delay_alu instid0(VALU_DEP_3) | instskip(NEXT) | instid1(VALU_DEP_3)
	v_lshl_add_u32 v150, 0x100000, v149, -1
	v_lshrrev_b32_e32 v160, v149, v12
	v_lshlrev_b32_e64 v162, v149, 0x80000
	s_delay_alu instid0(VALU_DEP_4) | instskip(NEXT) | instid1(VALU_DEP_4)
	v_add_nc_u32_e32 v149, v149, v8
	v_and_b32_e32 v12, v150, v12
	s_delay_alu instid0(VALU_DEP_4) | instskip(NEXT) | instid1(VALU_DEP_2)
	v_bfe_u32 v161, v160, 20, 1
	v_cmp_eq_u32_e64 s14, v12, v162
	s_delay_alu instid0(VALU_DEP_2) | instskip(NEXT) | instid1(VALU_DEP_1)
	v_add_nc_u32_e32 v150, -1, v161
	v_cndmask_b32_e64 v12, 0, v150, s14
	v_lshrrev_b32_e32 v150, 23, v160
	s_mov_b32 s14, exec_lo
	s_delay_alu instid0(VALU_DEP_2) | instskip(NEXT) | instid1(VALU_DEP_2)
	v_add_nc_u32_e32 v12, v12, v160
	v_xor_b32_e32 v150, 1, v150
	s_delay_alu instid0(VALU_DEP_2) | instskip(NEXT) | instid1(VALU_DEP_1)
	v_and_b32_e32 v8, 0xfffff, v12
	v_add_nc_u32_e32 v12, v8, v160
                                        ; implicit-def: $vgpr8
	s_delay_alu instid0(VALU_DEP_3)
	v_cmpx_ne_u32_e64 v149, v150
	s_xor_b32 s14, exec_lo, s14
; %bb.5217:                             ;   in Loop: Header=BB2_5106 Depth=3
	s_delay_alu instid0(VALU_DEP_2) | instskip(SKIP_2) | instid1(VALU_DEP_2)
	v_cmp_lt_u32_e32 vcc_lo, 0xffffff, v12
	v_sub_nc_u32_e32 v8, v149, v150
	v_cndmask_b32_e64 v149, 0, 1, vcc_lo
	v_add_co_ci_u32_e32 v8, vcc_lo, 0, v8, vcc_lo
	s_delay_alu instid0(VALU_DEP_2)
	v_lshrrev_b32_e32 v12, v149, v12
; %bb.5218:                             ;   in Loop: Header=BB2_5106 Depth=3
	s_and_not1_saveexec_b32 s14, s14
; %bb.5219:                             ;   in Loop: Header=BB2_5106 Depth=3
	s_delay_alu instid0(VALU_DEP_1)
	v_bfe_u32 v8, v12, 23, 1
; %bb.5220:                             ;   in Loop: Header=BB2_5106 Depth=3
	s_or_b32 exec_lo, exec_lo, s14
	v_lshrrev_b32_e32 v12, 20, v12
	s_delay_alu instid0(VALU_DEP_2) | instskip(SKIP_2) | instid1(VALU_DEP_2)
	v_cmp_gt_i32_e32 vcc_lo, 16, v8
	v_lshrrev_b32_e32 v149, 24, v151
	v_min_i32_e32 v150, 15, v8
	v_dual_cndmask_b32 v12, 7, v12 :: v_dual_and_b32 v149, 0x80, v149
	s_delay_alu instid0(VALU_DEP_2) | instskip(NEXT) | instid1(VALU_DEP_2)
	v_lshlrev_b32_e32 v150, 3, v150
	v_and_b32_e32 v151, 7, v12
	v_or_b32_e32 v8, v8, v12
	s_delay_alu instid0(VALU_DEP_2) | instskip(NEXT) | instid1(VALU_DEP_2)
	v_or3_b32 v12, v150, v149, v151
	v_cmp_ne_u32_e32 vcc_lo, 0, v8
	s_delay_alu instid0(VALU_DEP_2)
	v_cndmask_b32_e32 v8, 0, v12, vcc_lo
.LBB2_5221:                             ;   in Loop: Header=BB2_5106 Depth=3
	s_or_b32 exec_lo, exec_lo, s35
.LBB2_5222:                             ;   in Loop: Header=BB2_5106 Depth=3
	s_delay_alu instid0(SALU_CYCLE_1) | instskip(NEXT) | instid1(SALU_CYCLE_1)
	s_or_b32 exec_lo, exec_lo, s34
	s_and_b32 vcc_lo, exec_lo, s31
	s_cbranch_vccz .LBB2_5232
; %bb.5223:                             ;   in Loop: Header=BB2_5106 Depth=3
	v_and_b32_e32 v149, 0xff, v13
	s_mov_b32 s14, 0
	s_mov_b32 s35, exec_lo
                                        ; implicit-def: $sgpr34
	s_delay_alu instid0(VALU_DEP_1)
	v_cmpx_lt_i16_e64 0x7f, v149
	s_xor_b32 s35, exec_lo, s35
	s_cbranch_execnz .LBB2_5632
; %bb.5224:                             ;   in Loop: Header=BB2_5106 Depth=3
	s_or_saveexec_b32 s35, s35
	v_mov_b32_e32 v12, s34
	s_xor_b32 exec_lo, exec_lo, s35
	s_cbranch_execnz .LBB2_5635
.LBB2_5225:                             ;   in Loop: Header=BB2_5106 Depth=3
	s_or_b32 exec_lo, exec_lo, s35
	s_and_saveexec_b32 s34, s14
	s_cbranch_execz .LBB2_5227
.LBB2_5226:                             ;   in Loop: Header=BB2_5106 Depth=3
	v_and_b32_e32 v12, 7, v13
	v_bfe_u32 v151, v13, 3, 4
	v_lshlrev_b32_e32 v160, 24, v13
	s_delay_alu instid0(VALU_DEP_3) | instskip(NEXT) | instid1(VALU_DEP_3)
	v_clz_i32_u32_e32 v149, v12
	v_cmp_eq_u32_e32 vcc_lo, 0, v151
	s_delay_alu instid0(VALU_DEP_2) | instskip(NEXT) | instid1(VALU_DEP_1)
	v_min_u32_e32 v149, 32, v149
	v_subrev_nc_u32_e32 v150, 28, v149
	v_sub_nc_u32_e32 v149, 29, v149
	s_delay_alu instid0(VALU_DEP_2) | instskip(NEXT) | instid1(VALU_DEP_1)
	v_lshlrev_b32_e32 v150, v150, v13
	v_dual_cndmask_b32 v149, v151, v149 :: v_dual_and_b32 v150, 7, v150
	s_delay_alu instid0(VALU_DEP_1) | instskip(NEXT) | instid1(VALU_DEP_2)
	v_lshl_add_u32 v149, v149, 23, 0x3b800000
	v_cndmask_b32_e32 v12, v12, v150, vcc_lo
	v_and_b32_e32 v150, 0x80000000, v160
	s_delay_alu instid0(VALU_DEP_2) | instskip(NEXT) | instid1(VALU_DEP_1)
	v_lshlrev_b32_e32 v12, 20, v12
	v_or3_b32 v12, v150, v149, v12
.LBB2_5227:                             ;   in Loop: Header=BB2_5106 Depth=3
	s_or_b32 exec_lo, exec_lo, s34
	v_and_b32_e32 v150, 0xff, v9
	s_mov_b32 s14, 0
	s_mov_b32 s35, exec_lo
                                        ; implicit-def: $sgpr34
	s_delay_alu instid0(VALU_DEP_1)
	v_cmpx_lt_i16_e64 0x7f, v150
	s_xor_b32 s35, exec_lo, s35
	s_cbranch_execnz .LBB2_5636
; %bb.5228:                             ;   in Loop: Header=BB2_5106 Depth=3
	s_or_saveexec_b32 s35, s35
	v_mov_b32_e32 v149, s34
	s_xor_b32 exec_lo, exec_lo, s35
	s_cbranch_execnz .LBB2_5639
.LBB2_5229:                             ;   in Loop: Header=BB2_5106 Depth=3
	s_or_b32 exec_lo, exec_lo, s35
	s_and_saveexec_b32 s34, s14
	s_cbranch_execz .LBB2_5231
.LBB2_5230:                             ;   in Loop: Header=BB2_5106 Depth=3
	v_bfe_u32 v160, v9, 3, 4
	v_lshlrev_b32_e32 v161, 24, v9
	s_delay_alu instid0(VALU_DEP_2) | instskip(SKIP_1) | instid1(VALU_DEP_1)
	v_cmp_eq_u32_e32 vcc_lo, 0, v160
	v_and_b32_e32 v149, 7, v9
	v_clz_i32_u32_e32 v150, v149
	s_delay_alu instid0(VALU_DEP_1) | instskip(NEXT) | instid1(VALU_DEP_1)
	v_min_u32_e32 v150, 32, v150
	v_subrev_nc_u32_e32 v151, 28, v150
	v_sub_nc_u32_e32 v150, 29, v150
	s_delay_alu instid0(VALU_DEP_1) | instskip(NEXT) | instid1(VALU_DEP_1)
	v_dual_cndmask_b32 v150, v160, v150 :: v_dual_lshlrev_b32 v151, v151, v9
	v_and_b32_e32 v151, 7, v151
	s_delay_alu instid0(VALU_DEP_2) | instskip(NEXT) | instid1(VALU_DEP_2)
	v_lshl_add_u32 v150, v150, 23, 0x3b800000
	v_cndmask_b32_e32 v149, v149, v151, vcc_lo
	v_and_b32_e32 v151, 0x80000000, v161
	s_delay_alu instid0(VALU_DEP_2) | instskip(NEXT) | instid1(VALU_DEP_1)
	v_lshlrev_b32_e32 v149, 20, v149
	v_or3_b32 v149, v151, v150, v149
.LBB2_5231:                             ;   in Loop: Header=BB2_5106 Depth=3
	s_or_b32 exec_lo, exec_lo, s34
	s_delay_alu instid0(VALU_DEP_1) | instskip(SKIP_1) | instid1(VALU_DEP_1)
	v_dual_max_f32 v149, v149, v149 :: v_dual_max_f32 v12, v12, v12
	s_mov_b32 s14, 0
	v_max_f32_e32 v149, v12, v149
	s_branch .LBB2_5233
.LBB2_5232:                             ;   in Loop: Header=BB2_5106 Depth=3
	s_mov_b32 s14, -1
                                        ; implicit-def: $vgpr149
.LBB2_5233:                             ;   in Loop: Header=BB2_5106 Depth=3
	s_delay_alu instid0(SALU_CYCLE_1)
	s_and_b32 vcc_lo, exec_lo, s14
	s_cbranch_vccz .LBB2_5243
; %bb.5234:                             ;   in Loop: Header=BB2_5106 Depth=3
	v_and_b32_e32 v149, 0xff, v13
	s_mov_b32 s14, 0
	s_mov_b32 s35, exec_lo
                                        ; implicit-def: $sgpr34
	s_delay_alu instid0(VALU_DEP_1)
	v_cmpx_lt_i16_e64 0x7f, v149
	s_xor_b32 s35, exec_lo, s35
	s_cbranch_execnz .LBB2_5640
; %bb.5235:                             ;   in Loop: Header=BB2_5106 Depth=3
	s_or_saveexec_b32 s35, s35
	v_mov_b32_e32 v12, s34
	s_xor_b32 exec_lo, exec_lo, s35
	s_cbranch_execnz .LBB2_5643
.LBB2_5236:                             ;   in Loop: Header=BB2_5106 Depth=3
	s_or_b32 exec_lo, exec_lo, s35
	s_and_saveexec_b32 s34, s14
	s_cbranch_execz .LBB2_5238
.LBB2_5237:                             ;   in Loop: Header=BB2_5106 Depth=3
	v_and_b32_e32 v12, 7, v13
	v_bfe_u32 v151, v13, 3, 4
	v_lshlrev_b32_e32 v160, 24, v13
	s_delay_alu instid0(VALU_DEP_3) | instskip(NEXT) | instid1(VALU_DEP_3)
	v_clz_i32_u32_e32 v149, v12
	v_cmp_eq_u32_e32 vcc_lo, 0, v151
	s_delay_alu instid0(VALU_DEP_2) | instskip(NEXT) | instid1(VALU_DEP_1)
	v_min_u32_e32 v149, 32, v149
	v_subrev_nc_u32_e32 v150, 28, v149
	v_sub_nc_u32_e32 v149, 29, v149
	s_delay_alu instid0(VALU_DEP_2) | instskip(NEXT) | instid1(VALU_DEP_1)
	v_lshlrev_b32_e32 v150, v150, v13
	v_dual_cndmask_b32 v149, v151, v149 :: v_dual_and_b32 v150, 7, v150
	s_delay_alu instid0(VALU_DEP_1) | instskip(NEXT) | instid1(VALU_DEP_2)
	v_lshl_add_u32 v149, v149, 23, 0x3b800000
	v_cndmask_b32_e32 v12, v12, v150, vcc_lo
	v_and_b32_e32 v150, 0x80000000, v160
	s_delay_alu instid0(VALU_DEP_2) | instskip(NEXT) | instid1(VALU_DEP_1)
	v_lshlrev_b32_e32 v12, 20, v12
	v_or3_b32 v12, v150, v149, v12
.LBB2_5238:                             ;   in Loop: Header=BB2_5106 Depth=3
	s_or_b32 exec_lo, exec_lo, s34
	v_and_b32_e32 v150, 0xff, v9
	s_mov_b32 s14, 0
	s_mov_b32 s35, exec_lo
                                        ; implicit-def: $sgpr34
	s_delay_alu instid0(VALU_DEP_1)
	v_cmpx_lt_i16_e64 0x7f, v150
	s_xor_b32 s35, exec_lo, s35
	s_cbranch_execnz .LBB2_5644
; %bb.5239:                             ;   in Loop: Header=BB2_5106 Depth=3
	s_or_saveexec_b32 s35, s35
	v_mov_b32_e32 v149, s34
	s_xor_b32 exec_lo, exec_lo, s35
	s_cbranch_execnz .LBB2_5647
.LBB2_5240:                             ;   in Loop: Header=BB2_5106 Depth=3
	s_or_b32 exec_lo, exec_lo, s35
	s_and_saveexec_b32 s34, s14
	s_cbranch_execz .LBB2_5242
.LBB2_5241:                             ;   in Loop: Header=BB2_5106 Depth=3
	v_bfe_u32 v160, v9, 3, 4
	v_lshlrev_b32_e32 v161, 24, v9
	s_delay_alu instid0(VALU_DEP_2) | instskip(SKIP_1) | instid1(VALU_DEP_1)
	v_cmp_eq_u32_e32 vcc_lo, 0, v160
	v_and_b32_e32 v149, 7, v9
	v_clz_i32_u32_e32 v150, v149
	s_delay_alu instid0(VALU_DEP_1) | instskip(NEXT) | instid1(VALU_DEP_1)
	v_min_u32_e32 v150, 32, v150
	v_subrev_nc_u32_e32 v151, 28, v150
	v_sub_nc_u32_e32 v150, 29, v150
	s_delay_alu instid0(VALU_DEP_1) | instskip(NEXT) | instid1(VALU_DEP_1)
	v_dual_cndmask_b32 v150, v160, v150 :: v_dual_lshlrev_b32 v151, v151, v9
	v_and_b32_e32 v151, 7, v151
	s_delay_alu instid0(VALU_DEP_2) | instskip(NEXT) | instid1(VALU_DEP_2)
	v_lshl_add_u32 v150, v150, 23, 0x3b800000
	v_cndmask_b32_e32 v149, v149, v151, vcc_lo
	v_and_b32_e32 v151, 0x80000000, v161
	s_delay_alu instid0(VALU_DEP_2) | instskip(NEXT) | instid1(VALU_DEP_1)
	v_lshlrev_b32_e32 v149, 20, v149
	v_or3_b32 v149, v151, v150, v149
.LBB2_5242:                             ;   in Loop: Header=BB2_5106 Depth=3
	s_or_b32 exec_lo, exec_lo, s34
	s_delay_alu instid0(VALU_DEP_1) | instskip(NEXT) | instid1(VALU_DEP_1)
	v_dual_max_f32 v149, v149, v149 :: v_dual_max_f32 v12, v12, v12
	v_min_f32_e32 v149, v12, v149
.LBB2_5243:                             ;   in Loop: Header=BB2_5106 Depth=3
	s_delay_alu instid0(VALU_DEP_1) | instskip(NEXT) | instid1(VALU_DEP_1)
	v_and_b32_e32 v12, 0x7f800000, v149
	v_cmp_ne_u32_e32 vcc_lo, 0x7f800000, v12
	v_mov_b32_e32 v12, 0x80
	s_and_saveexec_b32 s34, vcc_lo
	s_cbranch_execz .LBB2_5251
; %bb.5244:                             ;   in Loop: Header=BB2_5106 Depth=3
	v_mov_b32_e32 v12, 0
	s_mov_b32 s35, exec_lo
	v_cmpx_ne_u32_e32 0, v149
	s_cbranch_execz .LBB2_5250
; %bb.5245:                             ;   in Loop: Header=BB2_5106 Depth=3
	v_bfe_u32 v12, v149, 23, 8
	s_delay_alu instid0(VALU_DEP_1) | instskip(SKIP_1) | instid1(VALU_DEP_2)
	v_sub_nc_u32_e32 v151, 0x78, v12
	v_cmp_gt_u32_e32 vcc_lo, 0x79, v12
	v_dual_cndmask_b32 v151, 0, v151 :: v_dual_and_b32 v150, 0x7fffff, v149
	s_delay_alu instid0(VALU_DEP_1) | instskip(SKIP_2) | instid1(VALU_DEP_4)
	v_or_b32_e32 v160, 0x800000, v150
	v_cmp_eq_u32_e32 vcc_lo, 0, v12
	v_add_nc_u32_e32 v12, 0xffffff89, v12
	v_cndmask_b32_e64 v151, v151, 0x77, vcc_lo
	s_delay_alu instid0(VALU_DEP_2) | instskip(SKIP_1) | instid1(VALU_DEP_3)
	v_cndmask_b32_e64 v12, v12, 0xffffff8a, vcc_lo
	v_cndmask_b32_e32 v150, v160, v150, vcc_lo
	v_lshl_add_u32 v160, 0x100000, v151, -1
	v_lshlrev_b32_e64 v163, v151, 0x80000
	s_delay_alu instid0(VALU_DEP_3) | instskip(SKIP_1) | instid1(VALU_DEP_4)
	v_lshrrev_b32_e32 v161, v151, v150
	v_add_nc_u32_e32 v151, v151, v12
	v_and_b32_e32 v150, v160, v150
	s_delay_alu instid0(VALU_DEP_3) | instskip(NEXT) | instid1(VALU_DEP_2)
	v_bfe_u32 v162, v161, 20, 1
	v_cmp_eq_u32_e64 s14, v150, v163
	s_delay_alu instid0(VALU_DEP_2) | instskip(NEXT) | instid1(VALU_DEP_1)
	v_add_nc_u32_e32 v160, -1, v162
	v_cndmask_b32_e64 v150, 0, v160, s14
	v_lshrrev_b32_e32 v160, 23, v161
	s_mov_b32 s14, exec_lo
	s_delay_alu instid0(VALU_DEP_2) | instskip(NEXT) | instid1(VALU_DEP_2)
	v_add_nc_u32_e32 v150, v150, v161
	v_xor_b32_e32 v160, 1, v160
	s_delay_alu instid0(VALU_DEP_2) | instskip(NEXT) | instid1(VALU_DEP_1)
	v_and_b32_e32 v12, 0xfffff, v150
	v_add_nc_u32_e32 v150, v12, v161
                                        ; implicit-def: $vgpr12
	s_delay_alu instid0(VALU_DEP_3)
	v_cmpx_ne_u32_e64 v151, v160
	s_xor_b32 s14, exec_lo, s14
; %bb.5246:                             ;   in Loop: Header=BB2_5106 Depth=3
	s_delay_alu instid0(VALU_DEP_2) | instskip(SKIP_2) | instid1(VALU_DEP_2)
	v_cmp_lt_u32_e32 vcc_lo, 0xffffff, v150
	v_sub_nc_u32_e32 v12, v151, v160
	v_cndmask_b32_e64 v151, 0, 1, vcc_lo
	v_add_co_ci_u32_e32 v12, vcc_lo, 0, v12, vcc_lo
	s_delay_alu instid0(VALU_DEP_2)
	v_lshrrev_b32_e32 v150, v151, v150
; %bb.5247:                             ;   in Loop: Header=BB2_5106 Depth=3
	s_and_not1_saveexec_b32 s14, s14
; %bb.5248:                             ;   in Loop: Header=BB2_5106 Depth=3
	s_delay_alu instid0(VALU_DEP_1)
	v_bfe_u32 v12, v150, 23, 1
; %bb.5249:                             ;   in Loop: Header=BB2_5106 Depth=3
	s_or_b32 exec_lo, exec_lo, s14
	v_lshrrev_b32_e32 v150, 20, v150
	s_delay_alu instid0(VALU_DEP_2) | instskip(SKIP_2) | instid1(VALU_DEP_2)
	v_cmp_gt_i32_e32 vcc_lo, 16, v12
	v_lshrrev_b32_e32 v149, 24, v149
	v_min_i32_e32 v151, 15, v12
	v_dual_cndmask_b32 v150, 7, v150 :: v_dual_and_b32 v149, 0x80, v149
	s_delay_alu instid0(VALU_DEP_1) | instskip(SKIP_1) | instid1(VALU_DEP_2)
	v_or_b32_e32 v12, v12, v150
	v_and_b32_e32 v160, 7, v150
	v_cmp_ne_u32_e32 vcc_lo, 0, v12
	v_lshlrev_b32_e32 v151, 3, v151
	s_delay_alu instid0(VALU_DEP_1) | instskip(NEXT) | instid1(VALU_DEP_1)
	v_or3_b32 v149, v151, v149, v160
	v_cndmask_b32_e32 v12, 0, v149, vcc_lo
.LBB2_5250:                             ;   in Loop: Header=BB2_5106 Depth=3
	s_or_b32 exec_lo, exec_lo, s35
.LBB2_5251:                             ;   in Loop: Header=BB2_5106 Depth=3
	s_delay_alu instid0(SALU_CYCLE_1)
	s_or_b32 exec_lo, exec_lo, s34
	v_lshrrev_b16 v150, 8, v13
	v_lshrrev_b16 v149, 8, v9
	s_and_b32 vcc_lo, exec_lo, s31
	s_cbranch_vccz .LBB2_5261
; %bb.5252:                             ;   in Loop: Header=BB2_5106 Depth=3
	s_mov_b32 s14, 0
	s_mov_b32 s35, exec_lo
                                        ; implicit-def: $sgpr34
	v_cmpx_lt_i16_e64 0x7f, v150
	s_xor_b32 s35, exec_lo, s35
	s_cbranch_execnz .LBB2_5648
; %bb.5253:                             ;   in Loop: Header=BB2_5106 Depth=3
	s_or_saveexec_b32 s35, s35
	v_mov_b32_e32 v151, s34
	s_xor_b32 exec_lo, exec_lo, s35
	s_cbranch_execnz .LBB2_5651
.LBB2_5254:                             ;   in Loop: Header=BB2_5106 Depth=3
	s_or_b32 exec_lo, exec_lo, s35
	s_and_saveexec_b32 s34, s14
	s_cbranch_execz .LBB2_5256
.LBB2_5255:                             ;   in Loop: Header=BB2_5106 Depth=3
	v_and_b32_e32 v151, 0xffff, v150
	s_delay_alu instid0(VALU_DEP_1) | instskip(NEXT) | instid1(VALU_DEP_1)
	v_and_b32_e32 v160, 7, v151
	v_clz_i32_u32_e32 v161, v160
	s_delay_alu instid0(VALU_DEP_1) | instskip(NEXT) | instid1(VALU_DEP_1)
	v_min_u32_e32 v161, 32, v161
	v_subrev_nc_u32_e32 v162, 28, v161
	v_sub_nc_u32_e32 v161, 29, v161
	s_delay_alu instid0(VALU_DEP_2) | instskip(SKIP_1) | instid1(VALU_DEP_2)
	v_lshlrev_b32_e32 v162, v162, v151
	v_bfe_u32 v151, v151, 3, 4
	v_and_b32_e32 v162, 7, v162
	s_delay_alu instid0(VALU_DEP_2) | instskip(SKIP_1) | instid1(VALU_DEP_3)
	v_cmp_eq_u32_e32 vcc_lo, 0, v151
	v_cndmask_b32_e32 v151, v151, v161, vcc_lo
	v_dual_cndmask_b32 v160, v160, v162 :: v_dual_lshlrev_b32 v163, 16, v13
	s_delay_alu instid0(VALU_DEP_2) | instskip(NEXT) | instid1(VALU_DEP_2)
	v_lshl_add_u32 v151, v151, 23, 0x3b800000
	v_and_b32_e32 v161, 0x80000000, v163
	s_delay_alu instid0(VALU_DEP_3) | instskip(NEXT) | instid1(VALU_DEP_1)
	v_lshlrev_b32_e32 v160, 20, v160
	v_or3_b32 v151, v161, v151, v160
.LBB2_5256:                             ;   in Loop: Header=BB2_5106 Depth=3
	s_or_b32 exec_lo, exec_lo, s34
	s_mov_b32 s14, 0
	s_mov_b32 s35, exec_lo
                                        ; implicit-def: $sgpr34
	v_cmpx_lt_i16_e64 0x7f, v149
	s_xor_b32 s35, exec_lo, s35
	s_cbranch_execnz .LBB2_5652
; %bb.5257:                             ;   in Loop: Header=BB2_5106 Depth=3
	s_or_saveexec_b32 s35, s35
	v_mov_b32_e32 v160, s34
	s_xor_b32 exec_lo, exec_lo, s35
	s_cbranch_execnz .LBB2_5655
.LBB2_5258:                             ;   in Loop: Header=BB2_5106 Depth=3
	s_or_b32 exec_lo, exec_lo, s35
	s_and_saveexec_b32 s34, s14
	s_cbranch_execz .LBB2_5260
.LBB2_5259:                             ;   in Loop: Header=BB2_5106 Depth=3
	v_and_b32_e32 v160, 0xffff, v149
	v_lshlrev_b32_e32 v164, 16, v9
	s_delay_alu instid0(VALU_DEP_2) | instskip(NEXT) | instid1(VALU_DEP_1)
	v_and_b32_e32 v161, 7, v160
	v_clz_i32_u32_e32 v162, v161
	s_delay_alu instid0(VALU_DEP_1) | instskip(NEXT) | instid1(VALU_DEP_1)
	v_min_u32_e32 v162, 32, v162
	v_subrev_nc_u32_e32 v163, 28, v162
	v_sub_nc_u32_e32 v162, 29, v162
	s_delay_alu instid0(VALU_DEP_2) | instskip(SKIP_1) | instid1(VALU_DEP_2)
	v_lshlrev_b32_e32 v163, v163, v160
	v_bfe_u32 v160, v160, 3, 4
	v_and_b32_e32 v163, 7, v163
	s_delay_alu instid0(VALU_DEP_2) | instskip(NEXT) | instid1(VALU_DEP_2)
	v_cmp_eq_u32_e32 vcc_lo, 0, v160
	v_dual_cndmask_b32 v160, v160, v162 :: v_dual_cndmask_b32 v161, v161, v163
	v_and_b32_e32 v162, 0x80000000, v164
	s_delay_alu instid0(VALU_DEP_2) | instskip(NEXT) | instid1(VALU_DEP_3)
	v_lshl_add_u32 v160, v160, 23, 0x3b800000
	v_lshlrev_b32_e32 v161, 20, v161
	s_delay_alu instid0(VALU_DEP_1)
	v_or3_b32 v160, v162, v160, v161
.LBB2_5260:                             ;   in Loop: Header=BB2_5106 Depth=3
	s_or_b32 exec_lo, exec_lo, s34
	s_delay_alu instid0(VALU_DEP_1) | instskip(SKIP_1) | instid1(VALU_DEP_1)
	v_dual_max_f32 v160, v160, v160 :: v_dual_max_f32 v151, v151, v151
	s_mov_b32 s14, 0
	v_max_f32_e32 v151, v151, v160
	s_branch .LBB2_5262
.LBB2_5261:                             ;   in Loop: Header=BB2_5106 Depth=3
	s_mov_b32 s14, -1
                                        ; implicit-def: $vgpr151
.LBB2_5262:                             ;   in Loop: Header=BB2_5106 Depth=3
	s_delay_alu instid0(SALU_CYCLE_1)
	s_and_b32 vcc_lo, exec_lo, s14
	s_cbranch_vccz .LBB2_5272
; %bb.5263:                             ;   in Loop: Header=BB2_5106 Depth=3
	s_mov_b32 s14, 0
	s_mov_b32 s35, exec_lo
                                        ; implicit-def: $sgpr34
	v_cmpx_lt_i16_e64 0x7f, v150
	s_xor_b32 s35, exec_lo, s35
	s_cbranch_execnz .LBB2_5656
; %bb.5264:                             ;   in Loop: Header=BB2_5106 Depth=3
	s_or_saveexec_b32 s35, s35
	v_mov_b32_e32 v151, s34
	s_xor_b32 exec_lo, exec_lo, s35
	s_cbranch_execnz .LBB2_5659
.LBB2_5265:                             ;   in Loop: Header=BB2_5106 Depth=3
	s_or_b32 exec_lo, exec_lo, s35
	s_and_saveexec_b32 s34, s14
	s_cbranch_execz .LBB2_5267
.LBB2_5266:                             ;   in Loop: Header=BB2_5106 Depth=3
	v_and_b32_e32 v150, 0xffff, v150
	v_lshlrev_b32_e32 v162, 16, v13
	s_delay_alu instid0(VALU_DEP_2) | instskip(NEXT) | instid1(VALU_DEP_1)
	v_and_b32_e32 v151, 7, v150
	v_clz_i32_u32_e32 v160, v151
	s_delay_alu instid0(VALU_DEP_1) | instskip(NEXT) | instid1(VALU_DEP_1)
	v_min_u32_e32 v160, 32, v160
	v_subrev_nc_u32_e32 v161, 28, v160
	v_sub_nc_u32_e32 v160, 29, v160
	s_delay_alu instid0(VALU_DEP_2) | instskip(SKIP_1) | instid1(VALU_DEP_2)
	v_lshlrev_b32_e32 v161, v161, v150
	v_bfe_u32 v150, v150, 3, 4
	v_and_b32_e32 v161, 7, v161
	s_delay_alu instid0(VALU_DEP_2) | instskip(NEXT) | instid1(VALU_DEP_2)
	v_cmp_eq_u32_e32 vcc_lo, 0, v150
	v_dual_cndmask_b32 v150, v150, v160 :: v_dual_cndmask_b32 v151, v151, v161
	v_and_b32_e32 v160, 0x80000000, v162
	s_delay_alu instid0(VALU_DEP_2) | instskip(NEXT) | instid1(VALU_DEP_3)
	v_lshl_add_u32 v150, v150, 23, 0x3b800000
	v_lshlrev_b32_e32 v151, 20, v151
	s_delay_alu instid0(VALU_DEP_1)
	v_or3_b32 v151, v160, v150, v151
.LBB2_5267:                             ;   in Loop: Header=BB2_5106 Depth=3
	s_or_b32 exec_lo, exec_lo, s34
	s_mov_b32 s14, 0
	s_mov_b32 s35, exec_lo
                                        ; implicit-def: $sgpr34
	v_cmpx_lt_i16_e64 0x7f, v149
	s_xor_b32 s35, exec_lo, s35
	s_cbranch_execnz .LBB2_5660
; %bb.5268:                             ;   in Loop: Header=BB2_5106 Depth=3
	s_or_saveexec_b32 s35, s35
	v_mov_b32_e32 v150, s34
	s_xor_b32 exec_lo, exec_lo, s35
	s_cbranch_execnz .LBB2_5663
.LBB2_5269:                             ;   in Loop: Header=BB2_5106 Depth=3
	s_or_b32 exec_lo, exec_lo, s35
	s_and_saveexec_b32 s34, s14
	s_cbranch_execz .LBB2_5271
.LBB2_5270:                             ;   in Loop: Header=BB2_5106 Depth=3
	v_and_b32_e32 v149, 0xffff, v149
	v_lshlrev_b32_e32 v162, 16, v9
	s_delay_alu instid0(VALU_DEP_2) | instskip(NEXT) | instid1(VALU_DEP_1)
	v_and_b32_e32 v150, 7, v149
	v_clz_i32_u32_e32 v160, v150
	s_delay_alu instid0(VALU_DEP_1) | instskip(NEXT) | instid1(VALU_DEP_1)
	v_min_u32_e32 v160, 32, v160
	v_subrev_nc_u32_e32 v161, 28, v160
	v_sub_nc_u32_e32 v160, 29, v160
	s_delay_alu instid0(VALU_DEP_2) | instskip(SKIP_1) | instid1(VALU_DEP_2)
	v_lshlrev_b32_e32 v161, v161, v149
	v_bfe_u32 v149, v149, 3, 4
	v_and_b32_e32 v161, 7, v161
	s_delay_alu instid0(VALU_DEP_2) | instskip(NEXT) | instid1(VALU_DEP_2)
	v_cmp_eq_u32_e32 vcc_lo, 0, v149
	v_dual_cndmask_b32 v149, v149, v160 :: v_dual_cndmask_b32 v150, v150, v161
	v_and_b32_e32 v160, 0x80000000, v162
	s_delay_alu instid0(VALU_DEP_2) | instskip(NEXT) | instid1(VALU_DEP_3)
	v_lshl_add_u32 v149, v149, 23, 0x3b800000
	v_lshlrev_b32_e32 v150, 20, v150
	s_delay_alu instid0(VALU_DEP_1)
	v_or3_b32 v150, v160, v149, v150
.LBB2_5271:                             ;   in Loop: Header=BB2_5106 Depth=3
	s_or_b32 exec_lo, exec_lo, s34
	s_delay_alu instid0(VALU_DEP_1) | instskip(NEXT) | instid1(VALU_DEP_1)
	v_dual_max_f32 v149, v150, v150 :: v_dual_max_f32 v150, v151, v151
	v_min_f32_e32 v151, v150, v149
.LBB2_5272:                             ;   in Loop: Header=BB2_5106 Depth=3
	s_delay_alu instid0(VALU_DEP_1) | instskip(NEXT) | instid1(VALU_DEP_1)
	v_and_b32_e32 v149, 0x7f800000, v151
	v_cmp_ne_u32_e32 vcc_lo, 0x7f800000, v149
	v_mov_b32_e32 v149, 0x80
	s_and_saveexec_b32 s34, vcc_lo
	s_cbranch_execz .LBB2_5280
; %bb.5273:                             ;   in Loop: Header=BB2_5106 Depth=3
	v_mov_b32_e32 v149, 0
	s_mov_b32 s35, exec_lo
	v_cmpx_ne_u32_e32 0, v151
	s_cbranch_execz .LBB2_5279
; %bb.5274:                             ;   in Loop: Header=BB2_5106 Depth=3
	v_bfe_u32 v149, v151, 23, 8
	v_and_b32_e32 v150, 0x7fffff, v151
	s_delay_alu instid0(VALU_DEP_2) | instskip(SKIP_1) | instid1(VALU_DEP_3)
	v_sub_nc_u32_e32 v160, 0x78, v149
	v_cmp_gt_u32_e32 vcc_lo, 0x79, v149
	v_or_b32_e32 v161, 0x800000, v150
	s_delay_alu instid0(VALU_DEP_3) | instskip(SKIP_2) | instid1(VALU_DEP_3)
	v_cndmask_b32_e32 v160, 0, v160, vcc_lo
	v_cmp_eq_u32_e32 vcc_lo, 0, v149
	v_add_nc_u32_e32 v149, 0xffffff89, v149
	v_cndmask_b32_e64 v160, v160, 0x77, vcc_lo
	v_cndmask_b32_e32 v150, v161, v150, vcc_lo
	s_delay_alu instid0(VALU_DEP_3) | instskip(NEXT) | instid1(VALU_DEP_3)
	v_cndmask_b32_e64 v149, v149, 0xffffff8a, vcc_lo
	v_lshl_add_u32 v161, 0x100000, v160, -1
	s_delay_alu instid0(VALU_DEP_3) | instskip(SKIP_1) | instid1(VALU_DEP_4)
	v_lshrrev_b32_e32 v162, v160, v150
	v_lshlrev_b32_e64 v164, v160, 0x80000
	v_add_nc_u32_e32 v160, v160, v149
	s_delay_alu instid0(VALU_DEP_4) | instskip(NEXT) | instid1(VALU_DEP_4)
	v_and_b32_e32 v150, v161, v150
	v_bfe_u32 v163, v162, 20, 1
	s_delay_alu instid0(VALU_DEP_2) | instskip(NEXT) | instid1(VALU_DEP_2)
	v_cmp_eq_u32_e64 s14, v150, v164
	v_add_nc_u32_e32 v161, -1, v163
	s_delay_alu instid0(VALU_DEP_1) | instskip(SKIP_2) | instid1(VALU_DEP_2)
	v_cndmask_b32_e64 v150, 0, v161, s14
	v_lshrrev_b32_e32 v161, 23, v162
	s_mov_b32 s14, exec_lo
	v_add_nc_u32_e32 v150, v150, v162
	s_delay_alu instid0(VALU_DEP_2) | instskip(NEXT) | instid1(VALU_DEP_2)
	v_xor_b32_e32 v161, 1, v161
	v_and_b32_e32 v149, 0xfffff, v150
	s_delay_alu instid0(VALU_DEP_1) | instskip(NEXT) | instid1(VALU_DEP_3)
	v_add_nc_u32_e32 v150, v149, v162
                                        ; implicit-def: $vgpr149
	v_cmpx_ne_u32_e64 v160, v161
	s_xor_b32 s14, exec_lo, s14
; %bb.5275:                             ;   in Loop: Header=BB2_5106 Depth=3
	s_delay_alu instid0(VALU_DEP_2) | instskip(SKIP_2) | instid1(VALU_DEP_2)
	v_cmp_lt_u32_e32 vcc_lo, 0xffffff, v150
	v_sub_nc_u32_e32 v149, v160, v161
	v_cndmask_b32_e64 v160, 0, 1, vcc_lo
	v_add_co_ci_u32_e32 v149, vcc_lo, 0, v149, vcc_lo
	s_delay_alu instid0(VALU_DEP_2)
	v_lshrrev_b32_e32 v150, v160, v150
; %bb.5276:                             ;   in Loop: Header=BB2_5106 Depth=3
	s_and_not1_saveexec_b32 s14, s14
; %bb.5277:                             ;   in Loop: Header=BB2_5106 Depth=3
	s_delay_alu instid0(VALU_DEP_1)
	v_bfe_u32 v149, v150, 23, 1
; %bb.5278:                             ;   in Loop: Header=BB2_5106 Depth=3
	s_or_b32 exec_lo, exec_lo, s14
	v_lshrrev_b32_e32 v150, 20, v150
	s_delay_alu instid0(VALU_DEP_2) | instskip(SKIP_2) | instid1(VALU_DEP_2)
	v_cmp_gt_i32_e32 vcc_lo, 16, v149
	v_lshrrev_b32_e32 v151, 24, v151
	v_min_i32_e32 v160, 15, v149
	v_dual_cndmask_b32 v150, 7, v150 :: v_dual_and_b32 v151, 0x80, v151
	s_delay_alu instid0(VALU_DEP_1) | instskip(SKIP_1) | instid1(VALU_DEP_2)
	v_or_b32_e32 v149, v149, v150
	v_and_b32_e32 v161, 7, v150
	v_cmp_ne_u32_e32 vcc_lo, 0, v149
	v_lshlrev_b32_e32 v160, 3, v160
	s_delay_alu instid0(VALU_DEP_1) | instskip(NEXT) | instid1(VALU_DEP_1)
	v_or3_b32 v150, v160, v151, v161
	v_cndmask_b32_e32 v149, 0, v150, vcc_lo
.LBB2_5279:                             ;   in Loop: Header=BB2_5106 Depth=3
	s_or_b32 exec_lo, exec_lo, s35
.LBB2_5280:                             ;   in Loop: Header=BB2_5106 Depth=3
	s_delay_alu instid0(SALU_CYCLE_1)
	s_or_b32 exec_lo, exec_lo, s34
	v_lshrrev_b32_e32 v151, 16, v13
	v_lshrrev_b32_e32 v150, 16, v9
	s_and_b32 vcc_lo, exec_lo, s31
	s_cbranch_vccz .LBB2_5290
; %bb.5281:                             ;   in Loop: Header=BB2_5106 Depth=3
	s_delay_alu instid0(VALU_DEP_2) | instskip(SKIP_2) | instid1(VALU_DEP_1)
	v_and_b32_e32 v161, 0xff, v151
	s_mov_b32 s14, 0
	s_mov_b32 s35, exec_lo
                                        ; implicit-def: $sgpr34
	v_cmpx_lt_i16_e64 0x7f, v161
	s_xor_b32 s35, exec_lo, s35
	s_cbranch_execnz .LBB2_5664
; %bb.5282:                             ;   in Loop: Header=BB2_5106 Depth=3
	s_or_saveexec_b32 s35, s35
	v_mov_b32_e32 v160, s34
	s_xor_b32 exec_lo, exec_lo, s35
	s_cbranch_execnz .LBB2_5667
.LBB2_5283:                             ;   in Loop: Header=BB2_5106 Depth=3
	s_or_b32 exec_lo, exec_lo, s35
	s_and_saveexec_b32 s34, s14
	s_cbranch_execz .LBB2_5285
.LBB2_5284:                             ;   in Loop: Header=BB2_5106 Depth=3
	v_bfe_u32 v160, v13, 16, 3
	v_bfe_u32 v163, v13, 19, 4
	v_lshlrev_b32_e32 v164, 24, v151
	s_delay_alu instid0(VALU_DEP_3) | instskip(NEXT) | instid1(VALU_DEP_3)
	v_clz_i32_u32_e32 v161, v160
	v_cmp_eq_u32_e32 vcc_lo, 0, v163
	s_delay_alu instid0(VALU_DEP_2) | instskip(NEXT) | instid1(VALU_DEP_1)
	v_min_u32_e32 v161, 32, v161
	v_subrev_nc_u32_e32 v162, 28, v161
	v_sub_nc_u32_e32 v161, 29, v161
	s_delay_alu instid0(VALU_DEP_1) | instskip(NEXT) | instid1(VALU_DEP_1)
	v_dual_cndmask_b32 v161, v163, v161 :: v_dual_lshlrev_b32 v162, v162, v151
	v_and_b32_e32 v162, 7, v162
	s_delay_alu instid0(VALU_DEP_2) | instskip(NEXT) | instid1(VALU_DEP_2)
	v_lshl_add_u32 v161, v161, 23, 0x3b800000
	v_cndmask_b32_e32 v160, v160, v162, vcc_lo
	v_and_b32_e32 v162, 0x80000000, v164
	s_delay_alu instid0(VALU_DEP_2) | instskip(NEXT) | instid1(VALU_DEP_1)
	v_lshlrev_b32_e32 v160, 20, v160
	v_or3_b32 v160, v162, v161, v160
.LBB2_5285:                             ;   in Loop: Header=BB2_5106 Depth=3
	s_or_b32 exec_lo, exec_lo, s34
	v_and_b32_e32 v162, 0xff, v150
	s_mov_b32 s14, 0
	s_mov_b32 s35, exec_lo
                                        ; implicit-def: $sgpr34
	s_delay_alu instid0(VALU_DEP_1)
	v_cmpx_lt_i16_e64 0x7f, v162
	s_xor_b32 s35, exec_lo, s35
	s_cbranch_execnz .LBB2_5668
; %bb.5286:                             ;   in Loop: Header=BB2_5106 Depth=3
	s_or_saveexec_b32 s35, s35
	v_mov_b32_e32 v161, s34
	s_xor_b32 exec_lo, exec_lo, s35
	s_cbranch_execnz .LBB2_5671
.LBB2_5287:                             ;   in Loop: Header=BB2_5106 Depth=3
	s_or_b32 exec_lo, exec_lo, s35
	s_and_saveexec_b32 s34, s14
	s_cbranch_execz .LBB2_5289
.LBB2_5288:                             ;   in Loop: Header=BB2_5106 Depth=3
	v_bfe_u32 v161, v9, 16, 3
	v_bfe_u32 v164, v9, 19, 4
	v_lshlrev_b32_e32 v165, 24, v150
	s_delay_alu instid0(VALU_DEP_3) | instskip(NEXT) | instid1(VALU_DEP_3)
	v_clz_i32_u32_e32 v162, v161
	v_cmp_eq_u32_e32 vcc_lo, 0, v164
	s_delay_alu instid0(VALU_DEP_2) | instskip(NEXT) | instid1(VALU_DEP_1)
	v_min_u32_e32 v162, 32, v162
	v_subrev_nc_u32_e32 v163, 28, v162
	v_sub_nc_u32_e32 v162, 29, v162
	s_delay_alu instid0(VALU_DEP_2) | instskip(NEXT) | instid1(VALU_DEP_1)
	v_lshlrev_b32_e32 v163, v163, v150
	v_dual_cndmask_b32 v162, v164, v162 :: v_dual_and_b32 v163, 7, v163
	s_delay_alu instid0(VALU_DEP_1) | instskip(NEXT) | instid1(VALU_DEP_2)
	v_lshl_add_u32 v162, v162, 23, 0x3b800000
	v_cndmask_b32_e32 v161, v161, v163, vcc_lo
	v_and_b32_e32 v163, 0x80000000, v165
	s_delay_alu instid0(VALU_DEP_2) | instskip(NEXT) | instid1(VALU_DEP_1)
	v_lshlrev_b32_e32 v161, 20, v161
	v_or3_b32 v161, v163, v162, v161
.LBB2_5289:                             ;   in Loop: Header=BB2_5106 Depth=3
	s_or_b32 exec_lo, exec_lo, s34
	s_delay_alu instid0(VALU_DEP_1) | instskip(SKIP_1) | instid1(VALU_DEP_1)
	v_dual_max_f32 v161, v161, v161 :: v_dual_max_f32 v160, v160, v160
	s_mov_b32 s14, 0
	v_max_f32_e32 v160, v160, v161
	s_branch .LBB2_5291
.LBB2_5290:                             ;   in Loop: Header=BB2_5106 Depth=3
	s_mov_b32 s14, -1
                                        ; implicit-def: $vgpr160
.LBB2_5291:                             ;   in Loop: Header=BB2_5106 Depth=3
	s_delay_alu instid0(SALU_CYCLE_1)
	s_and_b32 vcc_lo, exec_lo, s14
	s_cbranch_vccz .LBB2_5301
; %bb.5292:                             ;   in Loop: Header=BB2_5106 Depth=3
	v_and_b32_e32 v161, 0xff, v151
	s_mov_b32 s14, 0
	s_mov_b32 s35, exec_lo
                                        ; implicit-def: $sgpr34
	s_delay_alu instid0(VALU_DEP_1)
	v_cmpx_lt_i16_e64 0x7f, v161
	s_xor_b32 s35, exec_lo, s35
	s_cbranch_execnz .LBB2_5672
; %bb.5293:                             ;   in Loop: Header=BB2_5106 Depth=3
	s_or_saveexec_b32 s35, s35
	v_mov_b32_e32 v160, s34
	s_xor_b32 exec_lo, exec_lo, s35
	s_cbranch_execnz .LBB2_5675
.LBB2_5294:                             ;   in Loop: Header=BB2_5106 Depth=3
	s_or_b32 exec_lo, exec_lo, s35
	s_and_saveexec_b32 s34, s14
	s_cbranch_execz .LBB2_5296
.LBB2_5295:                             ;   in Loop: Header=BB2_5106 Depth=3
	v_bfe_u32 v160, v13, 16, 3
	v_bfe_u32 v163, v13, 19, 4
	s_delay_alu instid0(VALU_DEP_2) | instskip(NEXT) | instid1(VALU_DEP_2)
	v_clz_i32_u32_e32 v161, v160
	v_cmp_eq_u32_e32 vcc_lo, 0, v163
	s_delay_alu instid0(VALU_DEP_2) | instskip(NEXT) | instid1(VALU_DEP_1)
	v_min_u32_e32 v161, 32, v161
	v_subrev_nc_u32_e32 v162, 28, v161
	v_sub_nc_u32_e32 v161, 29, v161
	s_delay_alu instid0(VALU_DEP_1) | instskip(NEXT) | instid1(VALU_DEP_1)
	v_dual_cndmask_b32 v161, v163, v161 :: v_dual_lshlrev_b32 v162, v162, v151
	v_and_b32_e32 v162, 7, v162
	v_lshlrev_b32_e32 v151, 24, v151
	s_delay_alu instid0(VALU_DEP_3) | instskip(NEXT) | instid1(VALU_DEP_2)
	v_lshl_add_u32 v161, v161, 23, 0x3b800000
	v_dual_cndmask_b32 v160, v160, v162 :: v_dual_and_b32 v151, 0x80000000, v151
	s_delay_alu instid0(VALU_DEP_1) | instskip(NEXT) | instid1(VALU_DEP_1)
	v_lshlrev_b32_e32 v160, 20, v160
	v_or3_b32 v160, v151, v161, v160
.LBB2_5296:                             ;   in Loop: Header=BB2_5106 Depth=3
	s_or_b32 exec_lo, exec_lo, s34
	v_and_b32_e32 v161, 0xff, v150
	s_mov_b32 s14, 0
	s_mov_b32 s35, exec_lo
                                        ; implicit-def: $sgpr34
	s_delay_alu instid0(VALU_DEP_1)
	v_cmpx_lt_i16_e64 0x7f, v161
	s_xor_b32 s35, exec_lo, s35
	s_cbranch_execnz .LBB2_5676
; %bb.5297:                             ;   in Loop: Header=BB2_5106 Depth=3
	s_or_saveexec_b32 s35, s35
	v_mov_b32_e32 v151, s34
	s_xor_b32 exec_lo, exec_lo, s35
	s_cbranch_execnz .LBB2_5679
.LBB2_5298:                             ;   in Loop: Header=BB2_5106 Depth=3
	s_or_b32 exec_lo, exec_lo, s35
	s_and_saveexec_b32 s34, s14
	s_cbranch_execz .LBB2_5300
.LBB2_5299:                             ;   in Loop: Header=BB2_5106 Depth=3
	v_bfe_u32 v151, v9, 16, 3
	v_bfe_u32 v163, v9, 19, 4
	s_delay_alu instid0(VALU_DEP_2) | instskip(NEXT) | instid1(VALU_DEP_2)
	v_clz_i32_u32_e32 v161, v151
	v_cmp_eq_u32_e32 vcc_lo, 0, v163
	s_delay_alu instid0(VALU_DEP_2) | instskip(NEXT) | instid1(VALU_DEP_1)
	v_min_u32_e32 v161, 32, v161
	v_subrev_nc_u32_e32 v162, 28, v161
	v_sub_nc_u32_e32 v161, 29, v161
	s_delay_alu instid0(VALU_DEP_1) | instskip(SKIP_1) | instid1(VALU_DEP_2)
	v_dual_cndmask_b32 v161, v163, v161 :: v_dual_lshlrev_b32 v162, v162, v150
	v_lshlrev_b32_e32 v150, 24, v150
	v_and_b32_e32 v162, 7, v162
	s_delay_alu instid0(VALU_DEP_3) | instskip(NEXT) | instid1(VALU_DEP_3)
	v_lshl_add_u32 v161, v161, 23, 0x3b800000
	v_and_b32_e32 v150, 0x80000000, v150
	s_delay_alu instid0(VALU_DEP_3) | instskip(NEXT) | instid1(VALU_DEP_1)
	v_cndmask_b32_e32 v151, v151, v162, vcc_lo
	v_lshlrev_b32_e32 v151, 20, v151
	s_delay_alu instid0(VALU_DEP_1)
	v_or3_b32 v151, v150, v161, v151
.LBB2_5300:                             ;   in Loop: Header=BB2_5106 Depth=3
	s_or_b32 exec_lo, exec_lo, s34
	s_delay_alu instid0(VALU_DEP_1) | instskip(NEXT) | instid1(VALU_DEP_1)
	v_dual_max_f32 v150, v151, v151 :: v_dual_max_f32 v151, v160, v160
	v_min_f32_e32 v160, v151, v150
.LBB2_5301:                             ;   in Loop: Header=BB2_5106 Depth=3
	s_delay_alu instid0(VALU_DEP_1) | instskip(NEXT) | instid1(VALU_DEP_1)
	v_and_b32_e32 v150, 0x7f800000, v160
	v_cmp_ne_u32_e32 vcc_lo, 0x7f800000, v150
	v_mov_b32_e32 v150, 0x80
	s_and_saveexec_b32 s34, vcc_lo
	s_cbranch_execz .LBB2_5309
; %bb.5302:                             ;   in Loop: Header=BB2_5106 Depth=3
	v_mov_b32_e32 v150, 0
	s_mov_b32 s35, exec_lo
	v_cmpx_ne_u32_e32 0, v160
	s_cbranch_execz .LBB2_5308
; %bb.5303:                             ;   in Loop: Header=BB2_5106 Depth=3
	v_bfe_u32 v150, v160, 23, 8
	v_and_b32_e32 v151, 0x7fffff, v160
	s_delay_alu instid0(VALU_DEP_2) | instskip(SKIP_1) | instid1(VALU_DEP_3)
	v_sub_nc_u32_e32 v161, 0x78, v150
	v_cmp_gt_u32_e32 vcc_lo, 0x79, v150
	v_or_b32_e32 v162, 0x800000, v151
	s_delay_alu instid0(VALU_DEP_3) | instskip(SKIP_2) | instid1(VALU_DEP_3)
	v_cndmask_b32_e32 v161, 0, v161, vcc_lo
	v_cmp_eq_u32_e32 vcc_lo, 0, v150
	v_add_nc_u32_e32 v150, 0xffffff89, v150
	v_cndmask_b32_e64 v161, v161, 0x77, vcc_lo
	v_cndmask_b32_e32 v151, v162, v151, vcc_lo
	s_delay_alu instid0(VALU_DEP_3) | instskip(NEXT) | instid1(VALU_DEP_3)
	v_cndmask_b32_e64 v150, v150, 0xffffff8a, vcc_lo
	v_lshl_add_u32 v162, 0x100000, v161, -1
	s_delay_alu instid0(VALU_DEP_3) | instskip(SKIP_1) | instid1(VALU_DEP_4)
	v_lshrrev_b32_e32 v163, v161, v151
	v_lshlrev_b32_e64 v165, v161, 0x80000
	v_add_nc_u32_e32 v161, v161, v150
	s_delay_alu instid0(VALU_DEP_4) | instskip(NEXT) | instid1(VALU_DEP_4)
	v_and_b32_e32 v151, v162, v151
	v_bfe_u32 v164, v163, 20, 1
	s_delay_alu instid0(VALU_DEP_2) | instskip(NEXT) | instid1(VALU_DEP_2)
	v_cmp_eq_u32_e64 s14, v151, v165
	v_add_nc_u32_e32 v162, -1, v164
	s_delay_alu instid0(VALU_DEP_1) | instskip(SKIP_2) | instid1(VALU_DEP_2)
	v_cndmask_b32_e64 v151, 0, v162, s14
	v_lshrrev_b32_e32 v162, 23, v163
	s_mov_b32 s14, exec_lo
	v_add_nc_u32_e32 v151, v151, v163
	s_delay_alu instid0(VALU_DEP_2) | instskip(NEXT) | instid1(VALU_DEP_2)
	v_xor_b32_e32 v162, 1, v162
	v_and_b32_e32 v150, 0xfffff, v151
	s_delay_alu instid0(VALU_DEP_1) | instskip(NEXT) | instid1(VALU_DEP_3)
	v_add_nc_u32_e32 v151, v150, v163
                                        ; implicit-def: $vgpr150
	v_cmpx_ne_u32_e64 v161, v162
	s_xor_b32 s14, exec_lo, s14
; %bb.5304:                             ;   in Loop: Header=BB2_5106 Depth=3
	s_delay_alu instid0(VALU_DEP_2) | instskip(SKIP_2) | instid1(VALU_DEP_2)
	v_cmp_lt_u32_e32 vcc_lo, 0xffffff, v151
	v_sub_nc_u32_e32 v150, v161, v162
	v_cndmask_b32_e64 v161, 0, 1, vcc_lo
	v_add_co_ci_u32_e32 v150, vcc_lo, 0, v150, vcc_lo
	s_delay_alu instid0(VALU_DEP_2)
	v_lshrrev_b32_e32 v151, v161, v151
; %bb.5305:                             ;   in Loop: Header=BB2_5106 Depth=3
	s_and_not1_saveexec_b32 s14, s14
; %bb.5306:                             ;   in Loop: Header=BB2_5106 Depth=3
	s_delay_alu instid0(VALU_DEP_1)
	v_bfe_u32 v150, v151, 23, 1
; %bb.5307:                             ;   in Loop: Header=BB2_5106 Depth=3
	s_or_b32 exec_lo, exec_lo, s14
	v_lshrrev_b32_e32 v151, 20, v151
	s_delay_alu instid0(VALU_DEP_2) | instskip(SKIP_2) | instid1(VALU_DEP_2)
	v_cmp_gt_i32_e32 vcc_lo, 16, v150
	v_lshrrev_b32_e32 v160, 24, v160
	v_min_i32_e32 v161, 15, v150
	v_dual_cndmask_b32 v151, 7, v151 :: v_dual_and_b32 v160, 0x80, v160
	s_delay_alu instid0(VALU_DEP_1) | instskip(SKIP_1) | instid1(VALU_DEP_2)
	v_or_b32_e32 v150, v150, v151
	v_and_b32_e32 v162, 7, v151
	v_cmp_ne_u32_e32 vcc_lo, 0, v150
	v_lshlrev_b32_e32 v161, 3, v161
	s_delay_alu instid0(VALU_DEP_1) | instskip(NEXT) | instid1(VALU_DEP_1)
	v_and_b32_e32 v161, 0xf8, v161
	v_or3_b32 v151, v161, v160, v162
	s_delay_alu instid0(VALU_DEP_1)
	v_cndmask_b32_e32 v150, 0, v151, vcc_lo
.LBB2_5308:                             ;   in Loop: Header=BB2_5106 Depth=3
	s_or_b32 exec_lo, exec_lo, s35
.LBB2_5309:                             ;   in Loop: Header=BB2_5106 Depth=3
	s_delay_alu instid0(SALU_CYCLE_1)
	s_or_b32 exec_lo, exec_lo, s34
	v_lshrrev_b32_e32 v160, 24, v13
	v_lshrrev_b32_e32 v151, 24, v9
	s_and_b32 vcc_lo, exec_lo, s31
	s_cbranch_vccz .LBB2_5319
; %bb.5310:                             ;   in Loop: Header=BB2_5106 Depth=3
	s_mov_b32 s14, 0
	s_mov_b32 s35, exec_lo
                                        ; implicit-def: $sgpr34
	v_cmpx_lt_i16_e64 0x7f, v160
	s_xor_b32 s35, exec_lo, s35
	s_cbranch_execnz .LBB2_5680
; %bb.5311:                             ;   in Loop: Header=BB2_5106 Depth=3
	s_or_saveexec_b32 s35, s35
	v_mov_b32_e32 v161, s34
	s_xor_b32 exec_lo, exec_lo, s35
	s_cbranch_execnz .LBB2_5683
.LBB2_5312:                             ;   in Loop: Header=BB2_5106 Depth=3
	s_or_b32 exec_lo, exec_lo, s35
	s_and_saveexec_b32 s34, s14
	s_cbranch_execz .LBB2_5314
.LBB2_5313:                             ;   in Loop: Header=BB2_5106 Depth=3
	v_bfe_u32 v161, v13, 24, 3
	v_bfe_u32 v164, v13, 27, 4
	s_delay_alu instid0(VALU_DEP_2) | instskip(NEXT) | instid1(VALU_DEP_2)
	v_clz_i32_u32_e32 v162, v161
	v_cmp_eq_u32_e32 vcc_lo, 0, v164
	s_delay_alu instid0(VALU_DEP_2) | instskip(NEXT) | instid1(VALU_DEP_1)
	v_min_u32_e32 v162, 32, v162
	v_subrev_nc_u32_e32 v163, 28, v162
	v_sub_nc_u32_e32 v162, 29, v162
	s_delay_alu instid0(VALU_DEP_1) | instskip(NEXT) | instid1(VALU_DEP_1)
	v_dual_cndmask_b32 v162, v164, v162 :: v_dual_lshlrev_b32 v163, v163, v160
	v_and_b32_e32 v163, 7, v163
	s_delay_alu instid0(VALU_DEP_2) | instskip(NEXT) | instid1(VALU_DEP_2)
	v_lshl_add_u32 v162, v162, 23, 0x3b800000
	v_cndmask_b32_e32 v161, v161, v163, vcc_lo
	v_and_b32_e32 v163, 0x80000000, v13
	s_delay_alu instid0(VALU_DEP_2) | instskip(NEXT) | instid1(VALU_DEP_1)
	v_lshlrev_b32_e32 v161, 20, v161
	v_or3_b32 v161, v163, v162, v161
.LBB2_5314:                             ;   in Loop: Header=BB2_5106 Depth=3
	s_or_b32 exec_lo, exec_lo, s34
	s_mov_b32 s14, 0
	s_mov_b32 s35, exec_lo
                                        ; implicit-def: $sgpr34
	v_cmpx_lt_i16_e64 0x7f, v151
	s_xor_b32 s35, exec_lo, s35
	s_cbranch_execnz .LBB2_5684
; %bb.5315:                             ;   in Loop: Header=BB2_5106 Depth=3
	s_or_saveexec_b32 s35, s35
	v_mov_b32_e32 v162, s34
	s_xor_b32 exec_lo, exec_lo, s35
	s_cbranch_execnz .LBB2_5687
.LBB2_5316:                             ;   in Loop: Header=BB2_5106 Depth=3
	s_or_b32 exec_lo, exec_lo, s35
	s_and_saveexec_b32 s34, s14
	s_cbranch_execz .LBB2_5318
.LBB2_5317:                             ;   in Loop: Header=BB2_5106 Depth=3
	v_bfe_u32 v162, v9, 24, 3
	v_bfe_u32 v165, v9, 27, 4
	s_delay_alu instid0(VALU_DEP_2) | instskip(NEXT) | instid1(VALU_DEP_2)
	v_clz_i32_u32_e32 v163, v162
	v_cmp_eq_u32_e32 vcc_lo, 0, v165
	s_delay_alu instid0(VALU_DEP_2) | instskip(NEXT) | instid1(VALU_DEP_1)
	v_min_u32_e32 v163, 32, v163
	v_subrev_nc_u32_e32 v164, 28, v163
	v_sub_nc_u32_e32 v163, 29, v163
	s_delay_alu instid0(VALU_DEP_2) | instskip(NEXT) | instid1(VALU_DEP_1)
	v_lshlrev_b32_e32 v164, v164, v151
	v_dual_cndmask_b32 v163, v165, v163 :: v_dual_and_b32 v164, 7, v164
	s_delay_alu instid0(VALU_DEP_1) | instskip(NEXT) | instid1(VALU_DEP_2)
	v_lshl_add_u32 v163, v163, 23, 0x3b800000
	v_cndmask_b32_e32 v162, v162, v164, vcc_lo
	v_and_b32_e32 v164, 0x80000000, v9
	s_delay_alu instid0(VALU_DEP_2) | instskip(NEXT) | instid1(VALU_DEP_1)
	v_lshlrev_b32_e32 v162, 20, v162
	v_or3_b32 v162, v164, v163, v162
.LBB2_5318:                             ;   in Loop: Header=BB2_5106 Depth=3
	s_or_b32 exec_lo, exec_lo, s34
	s_delay_alu instid0(VALU_DEP_1) | instskip(SKIP_1) | instid1(VALU_DEP_1)
	v_dual_max_f32 v162, v162, v162 :: v_dual_max_f32 v161, v161, v161
	s_mov_b32 s14, 0
	v_max_f32_e32 v161, v161, v162
	s_branch .LBB2_5320
.LBB2_5319:                             ;   in Loop: Header=BB2_5106 Depth=3
	s_mov_b32 s14, -1
                                        ; implicit-def: $vgpr161
.LBB2_5320:                             ;   in Loop: Header=BB2_5106 Depth=3
	s_delay_alu instid0(SALU_CYCLE_1)
	s_and_b32 vcc_lo, exec_lo, s14
	s_cbranch_vccz .LBB2_5330
; %bb.5321:                             ;   in Loop: Header=BB2_5106 Depth=3
	s_mov_b32 s14, 0
	s_mov_b32 s35, exec_lo
                                        ; implicit-def: $sgpr34
	v_cmpx_lt_i16_e64 0x7f, v160
	s_xor_b32 s35, exec_lo, s35
	s_cbranch_execnz .LBB2_5688
; %bb.5322:                             ;   in Loop: Header=BB2_5106 Depth=3
	s_or_saveexec_b32 s35, s35
	v_mov_b32_e32 v161, s34
	s_xor_b32 exec_lo, exec_lo, s35
	s_cbranch_execnz .LBB2_5691
.LBB2_5323:                             ;   in Loop: Header=BB2_5106 Depth=3
	s_or_b32 exec_lo, exec_lo, s35
	s_and_saveexec_b32 s34, s14
	s_cbranch_execz .LBB2_5325
.LBB2_5324:                             ;   in Loop: Header=BB2_5106 Depth=3
	v_bfe_u32 v161, v13, 24, 3
	s_delay_alu instid0(VALU_DEP_1) | instskip(NEXT) | instid1(VALU_DEP_1)
	v_clz_i32_u32_e32 v162, v161
	v_min_u32_e32 v162, 32, v162
	s_delay_alu instid0(VALU_DEP_1) | instskip(SKIP_1) | instid1(VALU_DEP_2)
	v_subrev_nc_u32_e32 v163, 28, v162
	v_sub_nc_u32_e32 v162, 29, v162
	v_lshlrev_b32_e32 v160, v163, v160
	v_bfe_u32 v163, v13, 27, 4
	v_and_b32_e32 v13, 0x80000000, v13
	s_delay_alu instid0(VALU_DEP_3) | instskip(NEXT) | instid1(VALU_DEP_3)
	v_and_b32_e32 v160, 7, v160
	v_cmp_eq_u32_e32 vcc_lo, 0, v163
	v_cndmask_b32_e32 v162, v163, v162, vcc_lo
	s_delay_alu instid0(VALU_DEP_3) | instskip(NEXT) | instid1(VALU_DEP_2)
	v_cndmask_b32_e32 v160, v161, v160, vcc_lo
	v_lshl_add_u32 v161, v162, 23, 0x3b800000
	s_delay_alu instid0(VALU_DEP_2) | instskip(NEXT) | instid1(VALU_DEP_1)
	v_lshlrev_b32_e32 v160, 20, v160
	v_or3_b32 v161, v13, v161, v160
.LBB2_5325:                             ;   in Loop: Header=BB2_5106 Depth=3
	s_or_b32 exec_lo, exec_lo, s34
	s_mov_b32 s14, 0
	s_mov_b32 s35, exec_lo
                                        ; implicit-def: $sgpr34
	v_cmpx_lt_i16_e64 0x7f, v151
	s_xor_b32 s35, exec_lo, s35
	s_cbranch_execnz .LBB2_5692
; %bb.5326:                             ;   in Loop: Header=BB2_5106 Depth=3
	s_or_saveexec_b32 s35, s35
	v_mov_b32_e32 v13, s34
	s_xor_b32 exec_lo, exec_lo, s35
	s_cbranch_execnz .LBB2_5695
.LBB2_5327:                             ;   in Loop: Header=BB2_5106 Depth=3
	s_or_b32 exec_lo, exec_lo, s35
	s_and_saveexec_b32 s34, s14
	s_cbranch_execz .LBB2_5329
.LBB2_5328:                             ;   in Loop: Header=BB2_5106 Depth=3
	v_bfe_u32 v13, v9, 24, 3
	s_delay_alu instid0(VALU_DEP_1) | instskip(NEXT) | instid1(VALU_DEP_1)
	v_clz_i32_u32_e32 v160, v13
	v_min_u32_e32 v160, 32, v160
	s_delay_alu instid0(VALU_DEP_1) | instskip(SKIP_1) | instid1(VALU_DEP_2)
	v_subrev_nc_u32_e32 v162, 28, v160
	v_sub_nc_u32_e32 v160, 29, v160
	v_lshlrev_b32_e32 v151, v162, v151
	v_bfe_u32 v162, v9, 27, 4
	v_and_b32_e32 v9, 0x80000000, v9
	s_delay_alu instid0(VALU_DEP_2) | instskip(NEXT) | instid1(VALU_DEP_4)
	v_cmp_eq_u32_e32 vcc_lo, 0, v162
	v_dual_cndmask_b32 v160, v162, v160 :: v_dual_and_b32 v151, 7, v151
	s_delay_alu instid0(VALU_DEP_1) | instskip(NEXT) | instid1(VALU_DEP_2)
	v_cndmask_b32_e32 v13, v13, v151, vcc_lo
	v_lshl_add_u32 v151, v160, 23, 0x3b800000
	s_delay_alu instid0(VALU_DEP_2) | instskip(NEXT) | instid1(VALU_DEP_1)
	v_lshlrev_b32_e32 v13, 20, v13
	v_or3_b32 v13, v9, v151, v13
.LBB2_5329:                             ;   in Loop: Header=BB2_5106 Depth=3
	s_or_b32 exec_lo, exec_lo, s34
	s_delay_alu instid0(VALU_DEP_1) | instskip(SKIP_1) | instid1(VALU_DEP_1)
	v_max_f32_e32 v9, v13, v13
	v_max_f32_e32 v13, v161, v161
	v_min_f32_e32 v161, v13, v9
.LBB2_5330:                             ;   in Loop: Header=BB2_5106 Depth=3
	s_delay_alu instid0(VALU_DEP_1) | instskip(NEXT) | instid1(VALU_DEP_1)
	v_and_b32_e32 v9, 0x7f800000, v161
	v_cmp_ne_u32_e32 vcc_lo, 0x7f800000, v9
	v_mov_b32_e32 v9, 0x8000
	s_and_saveexec_b32 s34, vcc_lo
	s_cbranch_execz .LBB2_5338
; %bb.5331:                             ;   in Loop: Header=BB2_5106 Depth=3
	v_mov_b32_e32 v9, 0
	s_mov_b32 s35, exec_lo
	v_cmpx_ne_u32_e32 0, v161
	s_cbranch_execz .LBB2_5337
; %bb.5332:                             ;   in Loop: Header=BB2_5106 Depth=3
	v_bfe_u32 v9, v161, 23, 8
	v_and_b32_e32 v13, 0x7fffff, v161
	s_delay_alu instid0(VALU_DEP_2) | instskip(SKIP_1) | instid1(VALU_DEP_3)
	v_sub_nc_u32_e32 v151, 0x78, v9
	v_cmp_gt_u32_e32 vcc_lo, 0x79, v9
	v_or_b32_e32 v160, 0x800000, v13
	s_delay_alu instid0(VALU_DEP_3) | instskip(SKIP_2) | instid1(VALU_DEP_3)
	v_cndmask_b32_e32 v151, 0, v151, vcc_lo
	v_cmp_eq_u32_e32 vcc_lo, 0, v9
	v_add_nc_u32_e32 v9, 0xffffff89, v9
	v_cndmask_b32_e64 v151, v151, 0x77, vcc_lo
	v_cndmask_b32_e32 v13, v160, v13, vcc_lo
	s_delay_alu instid0(VALU_DEP_3) | instskip(NEXT) | instid1(VALU_DEP_3)
	v_cndmask_b32_e64 v9, v9, 0xffffff8a, vcc_lo
	v_lshl_add_u32 v160, 0x100000, v151, -1
	s_delay_alu instid0(VALU_DEP_3) | instskip(SKIP_1) | instid1(VALU_DEP_4)
	v_lshrrev_b32_e32 v162, v151, v13
	v_lshlrev_b32_e64 v164, v151, 0x80000
	v_add_nc_u32_e32 v151, v151, v9
	s_delay_alu instid0(VALU_DEP_4) | instskip(NEXT) | instid1(VALU_DEP_4)
	v_and_b32_e32 v13, v160, v13
	v_bfe_u32 v163, v162, 20, 1
	s_delay_alu instid0(VALU_DEP_2) | instskip(NEXT) | instid1(VALU_DEP_2)
	v_cmp_eq_u32_e64 s14, v13, v164
	v_add_nc_u32_e32 v160, -1, v163
	s_delay_alu instid0(VALU_DEP_1) | instskip(SKIP_2) | instid1(VALU_DEP_2)
	v_cndmask_b32_e64 v13, 0, v160, s14
	v_lshrrev_b32_e32 v160, 23, v162
	s_mov_b32 s14, exec_lo
	v_add_nc_u32_e32 v13, v13, v162
	s_delay_alu instid0(VALU_DEP_2) | instskip(NEXT) | instid1(VALU_DEP_2)
	v_xor_b32_e32 v160, 1, v160
	v_and_b32_e32 v9, 0xfffff, v13
	s_delay_alu instid0(VALU_DEP_1) | instskip(NEXT) | instid1(VALU_DEP_3)
	v_add_nc_u32_e32 v13, v9, v162
                                        ; implicit-def: $vgpr9
	v_cmpx_ne_u32_e64 v151, v160
	s_xor_b32 s14, exec_lo, s14
; %bb.5333:                             ;   in Loop: Header=BB2_5106 Depth=3
	s_delay_alu instid0(VALU_DEP_2) | instskip(SKIP_2) | instid1(VALU_DEP_2)
	v_cmp_lt_u32_e32 vcc_lo, 0xffffff, v13
	v_sub_nc_u32_e32 v9, v151, v160
	v_cndmask_b32_e64 v151, 0, 1, vcc_lo
	v_add_co_ci_u32_e32 v9, vcc_lo, 0, v9, vcc_lo
	s_delay_alu instid0(VALU_DEP_2)
	v_lshrrev_b32_e32 v13, v151, v13
; %bb.5334:                             ;   in Loop: Header=BB2_5106 Depth=3
	s_and_not1_saveexec_b32 s14, s14
; %bb.5335:                             ;   in Loop: Header=BB2_5106 Depth=3
	s_delay_alu instid0(VALU_DEP_1)
	v_bfe_u32 v9, v13, 23, 1
; %bb.5336:                             ;   in Loop: Header=BB2_5106 Depth=3
	s_or_b32 exec_lo, exec_lo, s14
	v_lshrrev_b32_e32 v13, 20, v13
	s_delay_alu instid0(VALU_DEP_2) | instskip(SKIP_2) | instid1(VALU_DEP_3)
	v_min_i32_e32 v151, 15, v9
	v_cmp_gt_i32_e32 vcc_lo, 16, v9
	v_lshrrev_b32_e32 v160, 24, v161
	v_lshlrev_b32_e32 v151, 3, v151
	s_delay_alu instid0(VALU_DEP_2) | instskip(NEXT) | instid1(VALU_DEP_2)
	v_dual_cndmask_b32 v13, 7, v13 :: v_dual_and_b32 v160, 0x80, v160
	v_and_b32_e32 v151, 0xf8, v151
	s_delay_alu instid0(VALU_DEP_2) | instskip(SKIP_1) | instid1(VALU_DEP_2)
	v_and_b32_e32 v161, 7, v13
	v_or_b32_e32 v9, v9, v13
	v_or3_b32 v151, v160, v151, v161
	s_delay_alu instid0(VALU_DEP_2) | instskip(NEXT) | instid1(VALU_DEP_2)
	v_cmp_ne_u32_e32 vcc_lo, 0, v9
	v_lshlrev_b32_e32 v13, 8, v151
	s_delay_alu instid0(VALU_DEP_1)
	v_cndmask_b32_e32 v9, 0, v13, vcc_lo
.LBB2_5337:                             ;   in Loop: Header=BB2_5106 Depth=3
	s_or_b32 exec_lo, exec_lo, s35
.LBB2_5338:                             ;   in Loop: Header=BB2_5106 Depth=3
	s_delay_alu instid0(SALU_CYCLE_1) | instskip(NEXT) | instid1(SALU_CYCLE_1)
	s_or_b32 exec_lo, exec_lo, s34
	s_and_b32 vcc_lo, exec_lo, s31
	s_cbranch_vccz .LBB2_5348
; %bb.5339:                             ;   in Loop: Header=BB2_5106 Depth=3
	v_and_b32_e32 v151, 0xff, v14
	s_mov_b32 s14, 0
	s_mov_b32 s35, exec_lo
                                        ; implicit-def: $sgpr34
	s_delay_alu instid0(VALU_DEP_1)
	v_cmpx_lt_i16_e64 0x7f, v151
	s_xor_b32 s35, exec_lo, s35
	s_cbranch_execnz .LBB2_5696
; %bb.5340:                             ;   in Loop: Header=BB2_5106 Depth=3
	s_or_saveexec_b32 s35, s35
	v_mov_b32_e32 v13, s34
	s_xor_b32 exec_lo, exec_lo, s35
	s_cbranch_execnz .LBB2_5699
.LBB2_5341:                             ;   in Loop: Header=BB2_5106 Depth=3
	s_or_b32 exec_lo, exec_lo, s35
	s_and_saveexec_b32 s34, s14
	s_cbranch_execz .LBB2_5343
.LBB2_5342:                             ;   in Loop: Header=BB2_5106 Depth=3
	v_and_b32_e32 v13, 7, v14
	v_bfe_u32 v161, v14, 3, 4
	s_delay_alu instid0(VALU_DEP_2) | instskip(NEXT) | instid1(VALU_DEP_2)
	v_clz_i32_u32_e32 v151, v13
	v_cmp_eq_u32_e32 vcc_lo, 0, v161
	s_delay_alu instid0(VALU_DEP_2) | instskip(NEXT) | instid1(VALU_DEP_1)
	v_min_u32_e32 v151, 32, v151
	v_subrev_nc_u32_e32 v160, 28, v151
	v_sub_nc_u32_e32 v151, 29, v151
	s_delay_alu instid0(VALU_DEP_1) | instskip(NEXT) | instid1(VALU_DEP_1)
	v_dual_cndmask_b32 v151, v161, v151 :: v_dual_lshlrev_b32 v160, v160, v14
	v_and_b32_e32 v160, 7, v160
	v_lshlrev_b32_e32 v162, 24, v14
	s_delay_alu instid0(VALU_DEP_3) | instskip(NEXT) | instid1(VALU_DEP_2)
	v_lshl_add_u32 v151, v151, 23, 0x3b800000
	v_dual_cndmask_b32 v13, v13, v160 :: v_dual_and_b32 v160, 0x80000000, v162
	s_delay_alu instid0(VALU_DEP_1) | instskip(NEXT) | instid1(VALU_DEP_1)
	v_lshlrev_b32_e32 v13, 20, v13
	v_or3_b32 v13, v160, v151, v13
.LBB2_5343:                             ;   in Loop: Header=BB2_5106 Depth=3
	s_or_b32 exec_lo, exec_lo, s34
	v_and_b32_e32 v160, 0xff, v10
	s_mov_b32 s14, 0
	s_mov_b32 s35, exec_lo
                                        ; implicit-def: $sgpr34
	s_delay_alu instid0(VALU_DEP_1)
	v_cmpx_lt_i16_e64 0x7f, v160
	s_xor_b32 s35, exec_lo, s35
	s_cbranch_execnz .LBB2_5700
; %bb.5344:                             ;   in Loop: Header=BB2_5106 Depth=3
	s_or_saveexec_b32 s35, s35
	v_mov_b32_e32 v151, s34
	s_xor_b32 exec_lo, exec_lo, s35
	s_cbranch_execnz .LBB2_5703
.LBB2_5345:                             ;   in Loop: Header=BB2_5106 Depth=3
	s_or_b32 exec_lo, exec_lo, s35
	s_and_saveexec_b32 s34, s14
	s_cbranch_execz .LBB2_5347
.LBB2_5346:                             ;   in Loop: Header=BB2_5106 Depth=3
	v_bfe_u32 v162, v10, 3, 4
	v_lshlrev_b32_e32 v163, 24, v10
	s_delay_alu instid0(VALU_DEP_2) | instskip(SKIP_1) | instid1(VALU_DEP_1)
	v_cmp_eq_u32_e32 vcc_lo, 0, v162
	v_and_b32_e32 v151, 7, v10
	v_clz_i32_u32_e32 v160, v151
	s_delay_alu instid0(VALU_DEP_1) | instskip(NEXT) | instid1(VALU_DEP_1)
	v_min_u32_e32 v160, 32, v160
	v_subrev_nc_u32_e32 v161, 28, v160
	v_sub_nc_u32_e32 v160, 29, v160
	s_delay_alu instid0(VALU_DEP_1) | instskip(NEXT) | instid1(VALU_DEP_1)
	v_dual_cndmask_b32 v160, v162, v160 :: v_dual_lshlrev_b32 v161, v161, v10
	v_and_b32_e32 v161, 7, v161
	s_delay_alu instid0(VALU_DEP_2) | instskip(NEXT) | instid1(VALU_DEP_2)
	v_lshl_add_u32 v160, v160, 23, 0x3b800000
	v_cndmask_b32_e32 v151, v151, v161, vcc_lo
	v_and_b32_e32 v161, 0x80000000, v163
	s_delay_alu instid0(VALU_DEP_2) | instskip(NEXT) | instid1(VALU_DEP_1)
	v_lshlrev_b32_e32 v151, 20, v151
	v_or3_b32 v151, v161, v160, v151
.LBB2_5347:                             ;   in Loop: Header=BB2_5106 Depth=3
	s_or_b32 exec_lo, exec_lo, s34
	s_delay_alu instid0(VALU_DEP_1) | instskip(SKIP_2) | instid1(VALU_DEP_1)
	v_max_f32_e32 v151, v151, v151
	v_max_f32_e32 v13, v13, v13
	s_mov_b32 s14, 0
	v_max_f32_e32 v151, v13, v151
	s_branch .LBB2_5349
.LBB2_5348:                             ;   in Loop: Header=BB2_5106 Depth=3
	s_mov_b32 s14, -1
                                        ; implicit-def: $vgpr151
.LBB2_5349:                             ;   in Loop: Header=BB2_5106 Depth=3
	s_delay_alu instid0(SALU_CYCLE_1)
	s_and_b32 vcc_lo, exec_lo, s14
	s_cbranch_vccz .LBB2_5359
; %bb.5350:                             ;   in Loop: Header=BB2_5106 Depth=3
	v_and_b32_e32 v151, 0xff, v14
	s_mov_b32 s14, 0
	s_mov_b32 s35, exec_lo
                                        ; implicit-def: $sgpr34
	s_delay_alu instid0(VALU_DEP_1)
	v_cmpx_lt_i16_e64 0x7f, v151
	s_xor_b32 s35, exec_lo, s35
	s_cbranch_execnz .LBB2_5704
; %bb.5351:                             ;   in Loop: Header=BB2_5106 Depth=3
	s_or_saveexec_b32 s35, s35
	v_mov_b32_e32 v13, s34
	s_xor_b32 exec_lo, exec_lo, s35
	s_cbranch_execnz .LBB2_5707
.LBB2_5352:                             ;   in Loop: Header=BB2_5106 Depth=3
	s_or_b32 exec_lo, exec_lo, s35
	s_and_saveexec_b32 s34, s14
	s_cbranch_execz .LBB2_5354
.LBB2_5353:                             ;   in Loop: Header=BB2_5106 Depth=3
	v_and_b32_e32 v13, 7, v14
	v_bfe_u32 v161, v14, 3, 4
	s_delay_alu instid0(VALU_DEP_2) | instskip(NEXT) | instid1(VALU_DEP_2)
	v_clz_i32_u32_e32 v151, v13
	v_cmp_eq_u32_e32 vcc_lo, 0, v161
	s_delay_alu instid0(VALU_DEP_2) | instskip(NEXT) | instid1(VALU_DEP_1)
	v_min_u32_e32 v151, 32, v151
	v_subrev_nc_u32_e32 v160, 28, v151
	v_sub_nc_u32_e32 v151, 29, v151
	s_delay_alu instid0(VALU_DEP_1) | instskip(NEXT) | instid1(VALU_DEP_1)
	v_dual_cndmask_b32 v151, v161, v151 :: v_dual_lshlrev_b32 v160, v160, v14
	v_and_b32_e32 v160, 7, v160
	v_lshlrev_b32_e32 v162, 24, v14
	s_delay_alu instid0(VALU_DEP_3) | instskip(NEXT) | instid1(VALU_DEP_2)
	v_lshl_add_u32 v151, v151, 23, 0x3b800000
	v_dual_cndmask_b32 v13, v13, v160 :: v_dual_and_b32 v160, 0x80000000, v162
	s_delay_alu instid0(VALU_DEP_1) | instskip(NEXT) | instid1(VALU_DEP_1)
	v_lshlrev_b32_e32 v13, 20, v13
	v_or3_b32 v13, v160, v151, v13
.LBB2_5354:                             ;   in Loop: Header=BB2_5106 Depth=3
	s_or_b32 exec_lo, exec_lo, s34
	v_and_b32_e32 v160, 0xff, v10
	s_mov_b32 s14, 0
	s_mov_b32 s35, exec_lo
                                        ; implicit-def: $sgpr34
	s_delay_alu instid0(VALU_DEP_1)
	v_cmpx_lt_i16_e64 0x7f, v160
	s_xor_b32 s35, exec_lo, s35
	s_cbranch_execnz .LBB2_5708
; %bb.5355:                             ;   in Loop: Header=BB2_5106 Depth=3
	s_or_saveexec_b32 s35, s35
	v_mov_b32_e32 v151, s34
	s_xor_b32 exec_lo, exec_lo, s35
	s_cbranch_execnz .LBB2_5711
.LBB2_5356:                             ;   in Loop: Header=BB2_5106 Depth=3
	s_or_b32 exec_lo, exec_lo, s35
	s_and_saveexec_b32 s34, s14
	s_cbranch_execz .LBB2_5358
.LBB2_5357:                             ;   in Loop: Header=BB2_5106 Depth=3
	v_bfe_u32 v162, v10, 3, 4
	v_lshlrev_b32_e32 v163, 24, v10
	s_delay_alu instid0(VALU_DEP_2) | instskip(SKIP_1) | instid1(VALU_DEP_1)
	v_cmp_eq_u32_e32 vcc_lo, 0, v162
	v_and_b32_e32 v151, 7, v10
	v_clz_i32_u32_e32 v160, v151
	s_delay_alu instid0(VALU_DEP_1) | instskip(NEXT) | instid1(VALU_DEP_1)
	v_min_u32_e32 v160, 32, v160
	v_subrev_nc_u32_e32 v161, 28, v160
	v_sub_nc_u32_e32 v160, 29, v160
	s_delay_alu instid0(VALU_DEP_1) | instskip(NEXT) | instid1(VALU_DEP_1)
	v_dual_cndmask_b32 v160, v162, v160 :: v_dual_lshlrev_b32 v161, v161, v10
	v_and_b32_e32 v161, 7, v161
	s_delay_alu instid0(VALU_DEP_2) | instskip(NEXT) | instid1(VALU_DEP_2)
	v_lshl_add_u32 v160, v160, 23, 0x3b800000
	v_cndmask_b32_e32 v151, v151, v161, vcc_lo
	v_and_b32_e32 v161, 0x80000000, v163
	s_delay_alu instid0(VALU_DEP_2) | instskip(NEXT) | instid1(VALU_DEP_1)
	v_lshlrev_b32_e32 v151, 20, v151
	v_or3_b32 v151, v161, v160, v151
.LBB2_5358:                             ;   in Loop: Header=BB2_5106 Depth=3
	s_or_b32 exec_lo, exec_lo, s34
	s_delay_alu instid0(VALU_DEP_1) | instskip(SKIP_1) | instid1(VALU_DEP_1)
	v_max_f32_e32 v151, v151, v151
	v_max_f32_e32 v13, v13, v13
	v_min_f32_e32 v151, v13, v151
.LBB2_5359:                             ;   in Loop: Header=BB2_5106 Depth=3
	s_delay_alu instid0(VALU_DEP_1) | instskip(NEXT) | instid1(VALU_DEP_1)
	v_and_b32_e32 v13, 0x7f800000, v151
	v_cmp_ne_u32_e32 vcc_lo, 0x7f800000, v13
	v_mov_b32_e32 v13, 0x80
	s_and_saveexec_b32 s34, vcc_lo
	s_cbranch_execz .LBB2_5367
; %bb.5360:                             ;   in Loop: Header=BB2_5106 Depth=3
	v_mov_b32_e32 v13, 0
	s_mov_b32 s35, exec_lo
	v_cmpx_ne_u32_e32 0, v151
	s_cbranch_execz .LBB2_5366
; %bb.5361:                             ;   in Loop: Header=BB2_5106 Depth=3
	v_bfe_u32 v13, v151, 23, 8
	s_delay_alu instid0(VALU_DEP_1) | instskip(SKIP_1) | instid1(VALU_DEP_2)
	v_sub_nc_u32_e32 v161, 0x78, v13
	v_cmp_gt_u32_e32 vcc_lo, 0x79, v13
	v_dual_cndmask_b32 v161, 0, v161 :: v_dual_and_b32 v160, 0x7fffff, v151
	s_delay_alu instid0(VALU_DEP_1) | instskip(SKIP_2) | instid1(VALU_DEP_4)
	v_or_b32_e32 v162, 0x800000, v160
	v_cmp_eq_u32_e32 vcc_lo, 0, v13
	v_add_nc_u32_e32 v13, 0xffffff89, v13
	v_cndmask_b32_e64 v161, v161, 0x77, vcc_lo
	s_delay_alu instid0(VALU_DEP_4) | instskip(NEXT) | instid1(VALU_DEP_3)
	v_cndmask_b32_e32 v160, v162, v160, vcc_lo
	v_cndmask_b32_e64 v13, v13, 0xffffff8a, vcc_lo
	s_delay_alu instid0(VALU_DEP_3) | instskip(NEXT) | instid1(VALU_DEP_3)
	v_lshl_add_u32 v162, 0x100000, v161, -1
	v_lshrrev_b32_e32 v163, v161, v160
	v_lshlrev_b32_e64 v165, v161, 0x80000
	s_delay_alu instid0(VALU_DEP_4) | instskip(NEXT) | instid1(VALU_DEP_4)
	v_add_nc_u32_e32 v161, v161, v13
	v_and_b32_e32 v160, v162, v160
	s_delay_alu instid0(VALU_DEP_4) | instskip(NEXT) | instid1(VALU_DEP_2)
	v_bfe_u32 v164, v163, 20, 1
	v_cmp_eq_u32_e64 s14, v160, v165
	s_delay_alu instid0(VALU_DEP_2) | instskip(NEXT) | instid1(VALU_DEP_1)
	v_add_nc_u32_e32 v162, -1, v164
	v_cndmask_b32_e64 v160, 0, v162, s14
	v_lshrrev_b32_e32 v162, 23, v163
	s_mov_b32 s14, exec_lo
	s_delay_alu instid0(VALU_DEP_2) | instskip(NEXT) | instid1(VALU_DEP_2)
	v_add_nc_u32_e32 v160, v160, v163
	v_xor_b32_e32 v162, 1, v162
	s_delay_alu instid0(VALU_DEP_2) | instskip(NEXT) | instid1(VALU_DEP_1)
	v_and_b32_e32 v13, 0xfffff, v160
	v_add_nc_u32_e32 v160, v13, v163
                                        ; implicit-def: $vgpr13
	s_delay_alu instid0(VALU_DEP_3)
	v_cmpx_ne_u32_e64 v161, v162
	s_xor_b32 s14, exec_lo, s14
; %bb.5362:                             ;   in Loop: Header=BB2_5106 Depth=3
	s_delay_alu instid0(VALU_DEP_2) | instskip(SKIP_2) | instid1(VALU_DEP_2)
	v_cmp_lt_u32_e32 vcc_lo, 0xffffff, v160
	v_sub_nc_u32_e32 v13, v161, v162
	v_cndmask_b32_e64 v161, 0, 1, vcc_lo
	v_add_co_ci_u32_e32 v13, vcc_lo, 0, v13, vcc_lo
	s_delay_alu instid0(VALU_DEP_2)
	v_lshrrev_b32_e32 v160, v161, v160
; %bb.5363:                             ;   in Loop: Header=BB2_5106 Depth=3
	s_and_not1_saveexec_b32 s14, s14
; %bb.5364:                             ;   in Loop: Header=BB2_5106 Depth=3
	s_delay_alu instid0(VALU_DEP_1)
	v_bfe_u32 v13, v160, 23, 1
; %bb.5365:                             ;   in Loop: Header=BB2_5106 Depth=3
	s_or_b32 exec_lo, exec_lo, s14
	v_lshrrev_b32_e32 v160, 20, v160
	s_delay_alu instid0(VALU_DEP_2) | instskip(SKIP_2) | instid1(VALU_DEP_2)
	v_cmp_gt_i32_e32 vcc_lo, 16, v13
	v_lshrrev_b32_e32 v151, 24, v151
	v_min_i32_e32 v161, 15, v13
	v_dual_cndmask_b32 v160, 7, v160 :: v_dual_and_b32 v151, 0x80, v151
	s_delay_alu instid0(VALU_DEP_2) | instskip(NEXT) | instid1(VALU_DEP_2)
	v_lshlrev_b32_e32 v161, 3, v161
	v_or_b32_e32 v13, v13, v160
	s_delay_alu instid0(VALU_DEP_1) | instskip(SKIP_1) | instid1(VALU_DEP_1)
	v_cmp_ne_u32_e32 vcc_lo, 0, v13
	v_and_b32_e32 v162, 7, v160
	v_or3_b32 v151, v161, v151, v162
	s_delay_alu instid0(VALU_DEP_1)
	v_cndmask_b32_e32 v13, 0, v151, vcc_lo
.LBB2_5366:                             ;   in Loop: Header=BB2_5106 Depth=3
	s_or_b32 exec_lo, exec_lo, s35
.LBB2_5367:                             ;   in Loop: Header=BB2_5106 Depth=3
	s_delay_alu instid0(SALU_CYCLE_1)
	s_or_b32 exec_lo, exec_lo, s34
	v_lshrrev_b16 v160, 8, v14
	v_lshrrev_b16 v151, 8, v10
	s_and_b32 vcc_lo, exec_lo, s31
	s_cbranch_vccz .LBB2_5377
; %bb.5368:                             ;   in Loop: Header=BB2_5106 Depth=3
	s_mov_b32 s14, 0
	s_mov_b32 s35, exec_lo
                                        ; implicit-def: $sgpr34
	v_cmpx_lt_i16_e64 0x7f, v160
	s_xor_b32 s35, exec_lo, s35
	s_cbranch_execnz .LBB2_5712
; %bb.5369:                             ;   in Loop: Header=BB2_5106 Depth=3
	s_or_saveexec_b32 s35, s35
	v_mov_b32_e32 v161, s34
	s_xor_b32 exec_lo, exec_lo, s35
	s_cbranch_execnz .LBB2_5715
.LBB2_5370:                             ;   in Loop: Header=BB2_5106 Depth=3
	s_or_b32 exec_lo, exec_lo, s35
	s_and_saveexec_b32 s34, s14
	s_cbranch_execz .LBB2_5372
.LBB2_5371:                             ;   in Loop: Header=BB2_5106 Depth=3
	v_and_b32_e32 v161, 0xffff, v160
	s_delay_alu instid0(VALU_DEP_1) | instskip(NEXT) | instid1(VALU_DEP_1)
	v_and_b32_e32 v162, 7, v161
	v_clz_i32_u32_e32 v163, v162
	s_delay_alu instid0(VALU_DEP_1) | instskip(NEXT) | instid1(VALU_DEP_1)
	v_min_u32_e32 v163, 32, v163
	v_subrev_nc_u32_e32 v164, 28, v163
	v_sub_nc_u32_e32 v163, 29, v163
	s_delay_alu instid0(VALU_DEP_2) | instskip(SKIP_1) | instid1(VALU_DEP_2)
	v_lshlrev_b32_e32 v164, v164, v161
	v_bfe_u32 v161, v161, 3, 4
	v_and_b32_e32 v164, 7, v164
	s_delay_alu instid0(VALU_DEP_2) | instskip(SKIP_1) | instid1(VALU_DEP_3)
	v_cmp_eq_u32_e32 vcc_lo, 0, v161
	v_cndmask_b32_e32 v161, v161, v163, vcc_lo
	v_dual_cndmask_b32 v162, v162, v164 :: v_dual_lshlrev_b32 v165, 16, v14
	s_delay_alu instid0(VALU_DEP_2) | instskip(NEXT) | instid1(VALU_DEP_2)
	v_lshl_add_u32 v161, v161, 23, 0x3b800000
	v_and_b32_e32 v163, 0x80000000, v165
	s_delay_alu instid0(VALU_DEP_3) | instskip(NEXT) | instid1(VALU_DEP_1)
	v_lshlrev_b32_e32 v162, 20, v162
	v_or3_b32 v161, v163, v161, v162
.LBB2_5372:                             ;   in Loop: Header=BB2_5106 Depth=3
	s_or_b32 exec_lo, exec_lo, s34
	s_mov_b32 s14, 0
	s_mov_b32 s35, exec_lo
                                        ; implicit-def: $sgpr34
	v_cmpx_lt_i16_e64 0x7f, v151
	s_xor_b32 s35, exec_lo, s35
	s_cbranch_execnz .LBB2_5716
; %bb.5373:                             ;   in Loop: Header=BB2_5106 Depth=3
	s_or_saveexec_b32 s35, s35
	v_mov_b32_e32 v162, s34
	s_xor_b32 exec_lo, exec_lo, s35
	s_cbranch_execnz .LBB2_5719
.LBB2_5374:                             ;   in Loop: Header=BB2_5106 Depth=3
	s_or_b32 exec_lo, exec_lo, s35
	s_and_saveexec_b32 s34, s14
	s_cbranch_execz .LBB2_5376
.LBB2_5375:                             ;   in Loop: Header=BB2_5106 Depth=3
	v_and_b32_e32 v162, 0xffff, v151
	v_lshlrev_b32_e32 v166, 16, v10
	s_delay_alu instid0(VALU_DEP_2) | instskip(NEXT) | instid1(VALU_DEP_1)
	v_and_b32_e32 v163, 7, v162
	v_clz_i32_u32_e32 v164, v163
	s_delay_alu instid0(VALU_DEP_1) | instskip(NEXT) | instid1(VALU_DEP_1)
	v_min_u32_e32 v164, 32, v164
	v_subrev_nc_u32_e32 v165, 28, v164
	v_sub_nc_u32_e32 v164, 29, v164
	s_delay_alu instid0(VALU_DEP_2) | instskip(SKIP_1) | instid1(VALU_DEP_2)
	v_lshlrev_b32_e32 v165, v165, v162
	v_bfe_u32 v162, v162, 3, 4
	v_and_b32_e32 v165, 7, v165
	s_delay_alu instid0(VALU_DEP_2) | instskip(NEXT) | instid1(VALU_DEP_2)
	v_cmp_eq_u32_e32 vcc_lo, 0, v162
	v_dual_cndmask_b32 v162, v162, v164 :: v_dual_cndmask_b32 v163, v163, v165
	v_and_b32_e32 v164, 0x80000000, v166
	s_delay_alu instid0(VALU_DEP_2) | instskip(NEXT) | instid1(VALU_DEP_3)
	v_lshl_add_u32 v162, v162, 23, 0x3b800000
	v_lshlrev_b32_e32 v163, 20, v163
	s_delay_alu instid0(VALU_DEP_1)
	v_or3_b32 v162, v164, v162, v163
.LBB2_5376:                             ;   in Loop: Header=BB2_5106 Depth=3
	s_or_b32 exec_lo, exec_lo, s34
	s_delay_alu instid0(VALU_DEP_1) | instskip(SKIP_1) | instid1(VALU_DEP_1)
	v_dual_max_f32 v162, v162, v162 :: v_dual_max_f32 v161, v161, v161
	s_mov_b32 s14, 0
	v_max_f32_e32 v161, v161, v162
	s_branch .LBB2_5378
.LBB2_5377:                             ;   in Loop: Header=BB2_5106 Depth=3
	s_mov_b32 s14, -1
                                        ; implicit-def: $vgpr161
.LBB2_5378:                             ;   in Loop: Header=BB2_5106 Depth=3
	s_delay_alu instid0(SALU_CYCLE_1)
	s_and_b32 vcc_lo, exec_lo, s14
	s_cbranch_vccz .LBB2_5388
; %bb.5379:                             ;   in Loop: Header=BB2_5106 Depth=3
	s_mov_b32 s14, 0
	s_mov_b32 s35, exec_lo
                                        ; implicit-def: $sgpr34
	v_cmpx_lt_i16_e64 0x7f, v160
	s_xor_b32 s35, exec_lo, s35
	s_cbranch_execnz .LBB2_5720
; %bb.5380:                             ;   in Loop: Header=BB2_5106 Depth=3
	s_or_saveexec_b32 s35, s35
	v_mov_b32_e32 v161, s34
	s_xor_b32 exec_lo, exec_lo, s35
	s_cbranch_execnz .LBB2_5723
.LBB2_5381:                             ;   in Loop: Header=BB2_5106 Depth=3
	s_or_b32 exec_lo, exec_lo, s35
	s_and_saveexec_b32 s34, s14
	s_cbranch_execz .LBB2_5383
.LBB2_5382:                             ;   in Loop: Header=BB2_5106 Depth=3
	v_and_b32_e32 v160, 0xffff, v160
	v_lshlrev_b32_e32 v164, 16, v14
	s_delay_alu instid0(VALU_DEP_2) | instskip(NEXT) | instid1(VALU_DEP_1)
	v_and_b32_e32 v161, 7, v160
	v_clz_i32_u32_e32 v162, v161
	s_delay_alu instid0(VALU_DEP_1) | instskip(NEXT) | instid1(VALU_DEP_1)
	v_min_u32_e32 v162, 32, v162
	v_subrev_nc_u32_e32 v163, 28, v162
	v_sub_nc_u32_e32 v162, 29, v162
	s_delay_alu instid0(VALU_DEP_2) | instskip(SKIP_1) | instid1(VALU_DEP_2)
	v_lshlrev_b32_e32 v163, v163, v160
	v_bfe_u32 v160, v160, 3, 4
	v_and_b32_e32 v163, 7, v163
	s_delay_alu instid0(VALU_DEP_2) | instskip(NEXT) | instid1(VALU_DEP_2)
	v_cmp_eq_u32_e32 vcc_lo, 0, v160
	v_dual_cndmask_b32 v160, v160, v162 :: v_dual_cndmask_b32 v161, v161, v163
	v_and_b32_e32 v162, 0x80000000, v164
	s_delay_alu instid0(VALU_DEP_2) | instskip(NEXT) | instid1(VALU_DEP_3)
	v_lshl_add_u32 v160, v160, 23, 0x3b800000
	v_lshlrev_b32_e32 v161, 20, v161
	s_delay_alu instid0(VALU_DEP_1)
	v_or3_b32 v161, v162, v160, v161
.LBB2_5383:                             ;   in Loop: Header=BB2_5106 Depth=3
	s_or_b32 exec_lo, exec_lo, s34
	s_mov_b32 s14, 0
	s_mov_b32 s35, exec_lo
                                        ; implicit-def: $sgpr34
	v_cmpx_lt_i16_e64 0x7f, v151
	s_xor_b32 s35, exec_lo, s35
	s_cbranch_execnz .LBB2_5724
; %bb.5384:                             ;   in Loop: Header=BB2_5106 Depth=3
	s_or_saveexec_b32 s35, s35
	v_mov_b32_e32 v160, s34
	s_xor_b32 exec_lo, exec_lo, s35
	s_cbranch_execnz .LBB2_5727
.LBB2_5385:                             ;   in Loop: Header=BB2_5106 Depth=3
	s_or_b32 exec_lo, exec_lo, s35
	s_and_saveexec_b32 s34, s14
	s_cbranch_execz .LBB2_5387
.LBB2_5386:                             ;   in Loop: Header=BB2_5106 Depth=3
	v_and_b32_e32 v151, 0xffff, v151
	v_lshlrev_b32_e32 v164, 16, v10
	s_delay_alu instid0(VALU_DEP_2) | instskip(NEXT) | instid1(VALU_DEP_1)
	v_and_b32_e32 v160, 7, v151
	v_clz_i32_u32_e32 v162, v160
	s_delay_alu instid0(VALU_DEP_1) | instskip(NEXT) | instid1(VALU_DEP_1)
	v_min_u32_e32 v162, 32, v162
	v_subrev_nc_u32_e32 v163, 28, v162
	v_sub_nc_u32_e32 v162, 29, v162
	s_delay_alu instid0(VALU_DEP_2) | instskip(SKIP_1) | instid1(VALU_DEP_2)
	v_lshlrev_b32_e32 v163, v163, v151
	v_bfe_u32 v151, v151, 3, 4
	v_and_b32_e32 v163, 7, v163
	s_delay_alu instid0(VALU_DEP_2) | instskip(NEXT) | instid1(VALU_DEP_2)
	v_cmp_eq_u32_e32 vcc_lo, 0, v151
	v_dual_cndmask_b32 v151, v151, v162 :: v_dual_cndmask_b32 v160, v160, v163
	v_and_b32_e32 v162, 0x80000000, v164
	s_delay_alu instid0(VALU_DEP_2) | instskip(NEXT) | instid1(VALU_DEP_3)
	v_lshl_add_u32 v151, v151, 23, 0x3b800000
	v_lshlrev_b32_e32 v160, 20, v160
	s_delay_alu instid0(VALU_DEP_1)
	v_or3_b32 v160, v162, v151, v160
.LBB2_5387:                             ;   in Loop: Header=BB2_5106 Depth=3
	s_or_b32 exec_lo, exec_lo, s34
	s_delay_alu instid0(VALU_DEP_1) | instskip(NEXT) | instid1(VALU_DEP_1)
	v_dual_max_f32 v151, v160, v160 :: v_dual_max_f32 v160, v161, v161
	v_min_f32_e32 v161, v160, v151
.LBB2_5388:                             ;   in Loop: Header=BB2_5106 Depth=3
	s_delay_alu instid0(VALU_DEP_1) | instskip(NEXT) | instid1(VALU_DEP_1)
	v_and_b32_e32 v151, 0x7f800000, v161
	v_cmp_ne_u32_e32 vcc_lo, 0x7f800000, v151
	v_mov_b32_e32 v151, 0x80
	s_and_saveexec_b32 s34, vcc_lo
	s_cbranch_execz .LBB2_5396
; %bb.5389:                             ;   in Loop: Header=BB2_5106 Depth=3
	v_mov_b32_e32 v151, 0
	s_mov_b32 s35, exec_lo
	v_cmpx_ne_u32_e32 0, v161
	s_cbranch_execz .LBB2_5395
; %bb.5390:                             ;   in Loop: Header=BB2_5106 Depth=3
	v_bfe_u32 v151, v161, 23, 8
	v_and_b32_e32 v160, 0x7fffff, v161
	s_delay_alu instid0(VALU_DEP_2) | instskip(SKIP_1) | instid1(VALU_DEP_3)
	v_sub_nc_u32_e32 v162, 0x78, v151
	v_cmp_gt_u32_e32 vcc_lo, 0x79, v151
	v_or_b32_e32 v163, 0x800000, v160
	s_delay_alu instid0(VALU_DEP_3) | instskip(SKIP_2) | instid1(VALU_DEP_3)
	v_cndmask_b32_e32 v162, 0, v162, vcc_lo
	v_cmp_eq_u32_e32 vcc_lo, 0, v151
	v_add_nc_u32_e32 v151, 0xffffff89, v151
	v_cndmask_b32_e64 v162, v162, 0x77, vcc_lo
	v_cndmask_b32_e32 v160, v163, v160, vcc_lo
	s_delay_alu instid0(VALU_DEP_3) | instskip(NEXT) | instid1(VALU_DEP_3)
	v_cndmask_b32_e64 v151, v151, 0xffffff8a, vcc_lo
	v_lshl_add_u32 v163, 0x100000, v162, -1
	s_delay_alu instid0(VALU_DEP_3) | instskip(SKIP_1) | instid1(VALU_DEP_4)
	v_lshrrev_b32_e32 v164, v162, v160
	v_lshlrev_b32_e64 v166, v162, 0x80000
	v_add_nc_u32_e32 v162, v162, v151
	s_delay_alu instid0(VALU_DEP_4) | instskip(NEXT) | instid1(VALU_DEP_4)
	v_and_b32_e32 v160, v163, v160
	v_bfe_u32 v165, v164, 20, 1
	s_delay_alu instid0(VALU_DEP_2) | instskip(NEXT) | instid1(VALU_DEP_2)
	v_cmp_eq_u32_e64 s14, v160, v166
	v_add_nc_u32_e32 v163, -1, v165
	s_delay_alu instid0(VALU_DEP_1) | instskip(SKIP_2) | instid1(VALU_DEP_2)
	v_cndmask_b32_e64 v160, 0, v163, s14
	v_lshrrev_b32_e32 v163, 23, v164
	s_mov_b32 s14, exec_lo
	v_add_nc_u32_e32 v160, v160, v164
	s_delay_alu instid0(VALU_DEP_2) | instskip(NEXT) | instid1(VALU_DEP_2)
	v_xor_b32_e32 v163, 1, v163
	v_and_b32_e32 v151, 0xfffff, v160
	s_delay_alu instid0(VALU_DEP_1) | instskip(NEXT) | instid1(VALU_DEP_3)
	v_add_nc_u32_e32 v160, v151, v164
                                        ; implicit-def: $vgpr151
	v_cmpx_ne_u32_e64 v162, v163
	s_xor_b32 s14, exec_lo, s14
; %bb.5391:                             ;   in Loop: Header=BB2_5106 Depth=3
	s_delay_alu instid0(VALU_DEP_2) | instskip(SKIP_2) | instid1(VALU_DEP_2)
	v_cmp_lt_u32_e32 vcc_lo, 0xffffff, v160
	v_sub_nc_u32_e32 v151, v162, v163
	v_cndmask_b32_e64 v162, 0, 1, vcc_lo
	v_add_co_ci_u32_e32 v151, vcc_lo, 0, v151, vcc_lo
	s_delay_alu instid0(VALU_DEP_2)
	v_lshrrev_b32_e32 v160, v162, v160
; %bb.5392:                             ;   in Loop: Header=BB2_5106 Depth=3
	s_and_not1_saveexec_b32 s14, s14
; %bb.5393:                             ;   in Loop: Header=BB2_5106 Depth=3
	s_delay_alu instid0(VALU_DEP_1)
	v_bfe_u32 v151, v160, 23, 1
; %bb.5394:                             ;   in Loop: Header=BB2_5106 Depth=3
	s_or_b32 exec_lo, exec_lo, s14
	v_lshrrev_b32_e32 v160, 20, v160
	s_delay_alu instid0(VALU_DEP_2) | instskip(SKIP_2) | instid1(VALU_DEP_2)
	v_cmp_gt_i32_e32 vcc_lo, 16, v151
	v_lshrrev_b32_e32 v161, 24, v161
	v_min_i32_e32 v162, 15, v151
	v_dual_cndmask_b32 v160, 7, v160 :: v_dual_and_b32 v161, 0x80, v161
	s_delay_alu instid0(VALU_DEP_1) | instskip(SKIP_1) | instid1(VALU_DEP_2)
	v_or_b32_e32 v151, v151, v160
	v_and_b32_e32 v163, 7, v160
	v_cmp_ne_u32_e32 vcc_lo, 0, v151
	v_lshlrev_b32_e32 v162, 3, v162
	s_delay_alu instid0(VALU_DEP_1) | instskip(NEXT) | instid1(VALU_DEP_1)
	v_or3_b32 v160, v162, v161, v163
	v_cndmask_b32_e32 v151, 0, v160, vcc_lo
.LBB2_5395:                             ;   in Loop: Header=BB2_5106 Depth=3
	s_or_b32 exec_lo, exec_lo, s35
.LBB2_5396:                             ;   in Loop: Header=BB2_5106 Depth=3
	s_delay_alu instid0(SALU_CYCLE_1)
	s_or_b32 exec_lo, exec_lo, s34
	v_lshrrev_b32_e32 v161, 16, v14
	v_lshrrev_b32_e32 v160, 16, v10
	s_and_b32 vcc_lo, exec_lo, s31
	s_cbranch_vccz .LBB2_5406
; %bb.5397:                             ;   in Loop: Header=BB2_5106 Depth=3
	s_delay_alu instid0(VALU_DEP_2) | instskip(SKIP_2) | instid1(VALU_DEP_1)
	v_and_b32_e32 v163, 0xff, v161
	s_mov_b32 s14, 0
	s_mov_b32 s35, exec_lo
                                        ; implicit-def: $sgpr34
	v_cmpx_lt_i16_e64 0x7f, v163
	s_xor_b32 s35, exec_lo, s35
	s_cbranch_execnz .LBB2_5728
; %bb.5398:                             ;   in Loop: Header=BB2_5106 Depth=3
	s_or_saveexec_b32 s35, s35
	v_mov_b32_e32 v162, s34
	s_xor_b32 exec_lo, exec_lo, s35
	s_cbranch_execnz .LBB2_5731
.LBB2_5399:                             ;   in Loop: Header=BB2_5106 Depth=3
	s_or_b32 exec_lo, exec_lo, s35
	s_and_saveexec_b32 s34, s14
	s_cbranch_execz .LBB2_5401
.LBB2_5400:                             ;   in Loop: Header=BB2_5106 Depth=3
	v_bfe_u32 v162, v14, 16, 3
	v_bfe_u32 v165, v14, 19, 4
	v_lshlrev_b32_e32 v166, 24, v161
	s_delay_alu instid0(VALU_DEP_3) | instskip(NEXT) | instid1(VALU_DEP_3)
	v_clz_i32_u32_e32 v163, v162
	v_cmp_eq_u32_e32 vcc_lo, 0, v165
	s_delay_alu instid0(VALU_DEP_2) | instskip(NEXT) | instid1(VALU_DEP_1)
	v_min_u32_e32 v163, 32, v163
	v_subrev_nc_u32_e32 v164, 28, v163
	v_sub_nc_u32_e32 v163, 29, v163
	s_delay_alu instid0(VALU_DEP_1) | instskip(NEXT) | instid1(VALU_DEP_1)
	v_dual_cndmask_b32 v163, v165, v163 :: v_dual_lshlrev_b32 v164, v164, v161
	v_and_b32_e32 v164, 7, v164
	s_delay_alu instid0(VALU_DEP_2) | instskip(NEXT) | instid1(VALU_DEP_2)
	v_lshl_add_u32 v163, v163, 23, 0x3b800000
	v_cndmask_b32_e32 v162, v162, v164, vcc_lo
	v_and_b32_e32 v164, 0x80000000, v166
	s_delay_alu instid0(VALU_DEP_2) | instskip(NEXT) | instid1(VALU_DEP_1)
	v_lshlrev_b32_e32 v162, 20, v162
	v_or3_b32 v162, v164, v163, v162
.LBB2_5401:                             ;   in Loop: Header=BB2_5106 Depth=3
	s_or_b32 exec_lo, exec_lo, s34
	v_and_b32_e32 v164, 0xff, v160
	s_mov_b32 s14, 0
	s_mov_b32 s35, exec_lo
                                        ; implicit-def: $sgpr34
	s_delay_alu instid0(VALU_DEP_1)
	v_cmpx_lt_i16_e64 0x7f, v164
	s_xor_b32 s35, exec_lo, s35
	s_cbranch_execnz .LBB2_5732
; %bb.5402:                             ;   in Loop: Header=BB2_5106 Depth=3
	s_or_saveexec_b32 s35, s35
	v_mov_b32_e32 v163, s34
	s_xor_b32 exec_lo, exec_lo, s35
	s_cbranch_execnz .LBB2_5735
.LBB2_5403:                             ;   in Loop: Header=BB2_5106 Depth=3
	s_or_b32 exec_lo, exec_lo, s35
	s_and_saveexec_b32 s34, s14
	s_cbranch_execz .LBB2_5405
.LBB2_5404:                             ;   in Loop: Header=BB2_5106 Depth=3
	v_bfe_u32 v163, v10, 16, 3
	v_bfe_u32 v166, v10, 19, 4
	v_lshlrev_b32_e32 v167, 24, v160
	s_delay_alu instid0(VALU_DEP_3) | instskip(NEXT) | instid1(VALU_DEP_3)
	v_clz_i32_u32_e32 v164, v163
	v_cmp_eq_u32_e32 vcc_lo, 0, v166
	s_delay_alu instid0(VALU_DEP_2) | instskip(NEXT) | instid1(VALU_DEP_1)
	v_min_u32_e32 v164, 32, v164
	v_subrev_nc_u32_e32 v165, 28, v164
	v_sub_nc_u32_e32 v164, 29, v164
	s_delay_alu instid0(VALU_DEP_2) | instskip(NEXT) | instid1(VALU_DEP_1)
	v_lshlrev_b32_e32 v165, v165, v160
	v_dual_cndmask_b32 v164, v166, v164 :: v_dual_and_b32 v165, 7, v165
	s_delay_alu instid0(VALU_DEP_1) | instskip(NEXT) | instid1(VALU_DEP_2)
	v_lshl_add_u32 v164, v164, 23, 0x3b800000
	v_cndmask_b32_e32 v163, v163, v165, vcc_lo
	v_and_b32_e32 v165, 0x80000000, v167
	s_delay_alu instid0(VALU_DEP_2) | instskip(NEXT) | instid1(VALU_DEP_1)
	v_lshlrev_b32_e32 v163, 20, v163
	v_or3_b32 v163, v165, v164, v163
.LBB2_5405:                             ;   in Loop: Header=BB2_5106 Depth=3
	s_or_b32 exec_lo, exec_lo, s34
	s_delay_alu instid0(VALU_DEP_1) | instskip(SKIP_1) | instid1(VALU_DEP_1)
	v_dual_max_f32 v163, v163, v163 :: v_dual_max_f32 v162, v162, v162
	s_mov_b32 s14, 0
	v_max_f32_e32 v162, v162, v163
	s_branch .LBB2_5407
.LBB2_5406:                             ;   in Loop: Header=BB2_5106 Depth=3
	s_mov_b32 s14, -1
                                        ; implicit-def: $vgpr162
.LBB2_5407:                             ;   in Loop: Header=BB2_5106 Depth=3
	s_delay_alu instid0(SALU_CYCLE_1)
	s_and_b32 vcc_lo, exec_lo, s14
	s_cbranch_vccz .LBB2_5417
; %bb.5408:                             ;   in Loop: Header=BB2_5106 Depth=3
	v_and_b32_e32 v163, 0xff, v161
	s_mov_b32 s14, 0
	s_mov_b32 s35, exec_lo
                                        ; implicit-def: $sgpr34
	s_delay_alu instid0(VALU_DEP_1)
	v_cmpx_lt_i16_e64 0x7f, v163
	s_xor_b32 s35, exec_lo, s35
	s_cbranch_execnz .LBB2_5736
; %bb.5409:                             ;   in Loop: Header=BB2_5106 Depth=3
	s_or_saveexec_b32 s35, s35
	v_mov_b32_e32 v162, s34
	s_xor_b32 exec_lo, exec_lo, s35
	s_cbranch_execnz .LBB2_5739
.LBB2_5410:                             ;   in Loop: Header=BB2_5106 Depth=3
	s_or_b32 exec_lo, exec_lo, s35
	s_and_saveexec_b32 s34, s14
	s_cbranch_execz .LBB2_5412
.LBB2_5411:                             ;   in Loop: Header=BB2_5106 Depth=3
	v_bfe_u32 v162, v14, 16, 3
	v_bfe_u32 v165, v14, 19, 4
	s_delay_alu instid0(VALU_DEP_2) | instskip(NEXT) | instid1(VALU_DEP_2)
	v_clz_i32_u32_e32 v163, v162
	v_cmp_eq_u32_e32 vcc_lo, 0, v165
	s_delay_alu instid0(VALU_DEP_2) | instskip(NEXT) | instid1(VALU_DEP_1)
	v_min_u32_e32 v163, 32, v163
	v_subrev_nc_u32_e32 v164, 28, v163
	v_sub_nc_u32_e32 v163, 29, v163
	s_delay_alu instid0(VALU_DEP_1) | instskip(NEXT) | instid1(VALU_DEP_1)
	v_dual_cndmask_b32 v163, v165, v163 :: v_dual_lshlrev_b32 v164, v164, v161
	v_and_b32_e32 v164, 7, v164
	v_lshlrev_b32_e32 v161, 24, v161
	s_delay_alu instid0(VALU_DEP_3) | instskip(NEXT) | instid1(VALU_DEP_2)
	v_lshl_add_u32 v163, v163, 23, 0x3b800000
	v_dual_cndmask_b32 v162, v162, v164 :: v_dual_and_b32 v161, 0x80000000, v161
	s_delay_alu instid0(VALU_DEP_1) | instskip(NEXT) | instid1(VALU_DEP_1)
	v_lshlrev_b32_e32 v162, 20, v162
	v_or3_b32 v162, v161, v163, v162
.LBB2_5412:                             ;   in Loop: Header=BB2_5106 Depth=3
	s_or_b32 exec_lo, exec_lo, s34
	v_and_b32_e32 v163, 0xff, v160
	s_mov_b32 s14, 0
	s_mov_b32 s35, exec_lo
                                        ; implicit-def: $sgpr34
	s_delay_alu instid0(VALU_DEP_1)
	v_cmpx_lt_i16_e64 0x7f, v163
	s_xor_b32 s35, exec_lo, s35
	s_cbranch_execnz .LBB2_5740
; %bb.5413:                             ;   in Loop: Header=BB2_5106 Depth=3
	s_or_saveexec_b32 s35, s35
	v_mov_b32_e32 v161, s34
	s_xor_b32 exec_lo, exec_lo, s35
	s_cbranch_execnz .LBB2_5743
.LBB2_5414:                             ;   in Loop: Header=BB2_5106 Depth=3
	s_or_b32 exec_lo, exec_lo, s35
	s_and_saveexec_b32 s34, s14
	s_cbranch_execz .LBB2_5416
.LBB2_5415:                             ;   in Loop: Header=BB2_5106 Depth=3
	v_bfe_u32 v161, v10, 16, 3
	v_bfe_u32 v165, v10, 19, 4
	s_delay_alu instid0(VALU_DEP_2) | instskip(NEXT) | instid1(VALU_DEP_2)
	v_clz_i32_u32_e32 v163, v161
	v_cmp_eq_u32_e32 vcc_lo, 0, v165
	s_delay_alu instid0(VALU_DEP_2) | instskip(NEXT) | instid1(VALU_DEP_1)
	v_min_u32_e32 v163, 32, v163
	v_subrev_nc_u32_e32 v164, 28, v163
	v_sub_nc_u32_e32 v163, 29, v163
	s_delay_alu instid0(VALU_DEP_1) | instskip(SKIP_1) | instid1(VALU_DEP_2)
	v_dual_cndmask_b32 v163, v165, v163 :: v_dual_lshlrev_b32 v164, v164, v160
	v_lshlrev_b32_e32 v160, 24, v160
	v_and_b32_e32 v164, 7, v164
	s_delay_alu instid0(VALU_DEP_3) | instskip(NEXT) | instid1(VALU_DEP_3)
	v_lshl_add_u32 v163, v163, 23, 0x3b800000
	v_and_b32_e32 v160, 0x80000000, v160
	s_delay_alu instid0(VALU_DEP_3) | instskip(NEXT) | instid1(VALU_DEP_1)
	v_cndmask_b32_e32 v161, v161, v164, vcc_lo
	v_lshlrev_b32_e32 v161, 20, v161
	s_delay_alu instid0(VALU_DEP_1)
	v_or3_b32 v161, v160, v163, v161
.LBB2_5416:                             ;   in Loop: Header=BB2_5106 Depth=3
	s_or_b32 exec_lo, exec_lo, s34
	s_delay_alu instid0(VALU_DEP_1) | instskip(NEXT) | instid1(VALU_DEP_1)
	v_dual_max_f32 v160, v161, v161 :: v_dual_max_f32 v161, v162, v162
	v_min_f32_e32 v162, v161, v160
.LBB2_5417:                             ;   in Loop: Header=BB2_5106 Depth=3
	s_delay_alu instid0(VALU_DEP_1) | instskip(NEXT) | instid1(VALU_DEP_1)
	v_and_b32_e32 v160, 0x7f800000, v162
	v_cmp_ne_u32_e32 vcc_lo, 0x7f800000, v160
	v_mov_b32_e32 v160, 0x80
	s_and_saveexec_b32 s34, vcc_lo
	s_cbranch_execz .LBB2_5425
; %bb.5418:                             ;   in Loop: Header=BB2_5106 Depth=3
	v_mov_b32_e32 v160, 0
	s_mov_b32 s35, exec_lo
	v_cmpx_ne_u32_e32 0, v162
	s_cbranch_execz .LBB2_5424
; %bb.5419:                             ;   in Loop: Header=BB2_5106 Depth=3
	v_bfe_u32 v160, v162, 23, 8
	v_and_b32_e32 v161, 0x7fffff, v162
	s_delay_alu instid0(VALU_DEP_2) | instskip(SKIP_1) | instid1(VALU_DEP_3)
	v_sub_nc_u32_e32 v163, 0x78, v160
	v_cmp_gt_u32_e32 vcc_lo, 0x79, v160
	v_or_b32_e32 v164, 0x800000, v161
	s_delay_alu instid0(VALU_DEP_3) | instskip(SKIP_2) | instid1(VALU_DEP_3)
	v_cndmask_b32_e32 v163, 0, v163, vcc_lo
	v_cmp_eq_u32_e32 vcc_lo, 0, v160
	v_add_nc_u32_e32 v160, 0xffffff89, v160
	v_cndmask_b32_e64 v163, v163, 0x77, vcc_lo
	v_cndmask_b32_e32 v161, v164, v161, vcc_lo
	s_delay_alu instid0(VALU_DEP_3) | instskip(NEXT) | instid1(VALU_DEP_3)
	v_cndmask_b32_e64 v160, v160, 0xffffff8a, vcc_lo
	v_lshl_add_u32 v164, 0x100000, v163, -1
	s_delay_alu instid0(VALU_DEP_3) | instskip(SKIP_1) | instid1(VALU_DEP_4)
	v_lshrrev_b32_e32 v165, v163, v161
	v_lshlrev_b32_e64 v167, v163, 0x80000
	v_add_nc_u32_e32 v163, v163, v160
	s_delay_alu instid0(VALU_DEP_4) | instskip(NEXT) | instid1(VALU_DEP_4)
	v_and_b32_e32 v161, v164, v161
	v_bfe_u32 v166, v165, 20, 1
	s_delay_alu instid0(VALU_DEP_2) | instskip(NEXT) | instid1(VALU_DEP_2)
	v_cmp_eq_u32_e64 s14, v161, v167
	v_add_nc_u32_e32 v164, -1, v166
	s_delay_alu instid0(VALU_DEP_1) | instskip(SKIP_2) | instid1(VALU_DEP_2)
	v_cndmask_b32_e64 v161, 0, v164, s14
	v_lshrrev_b32_e32 v164, 23, v165
	s_mov_b32 s14, exec_lo
	v_add_nc_u32_e32 v161, v161, v165
	s_delay_alu instid0(VALU_DEP_2) | instskip(NEXT) | instid1(VALU_DEP_2)
	v_xor_b32_e32 v164, 1, v164
	v_and_b32_e32 v160, 0xfffff, v161
	s_delay_alu instid0(VALU_DEP_1) | instskip(NEXT) | instid1(VALU_DEP_3)
	v_add_nc_u32_e32 v161, v160, v165
                                        ; implicit-def: $vgpr160
	v_cmpx_ne_u32_e64 v163, v164
	s_xor_b32 s14, exec_lo, s14
; %bb.5420:                             ;   in Loop: Header=BB2_5106 Depth=3
	s_delay_alu instid0(VALU_DEP_2) | instskip(SKIP_2) | instid1(VALU_DEP_2)
	v_cmp_lt_u32_e32 vcc_lo, 0xffffff, v161
	v_sub_nc_u32_e32 v160, v163, v164
	v_cndmask_b32_e64 v163, 0, 1, vcc_lo
	v_add_co_ci_u32_e32 v160, vcc_lo, 0, v160, vcc_lo
	s_delay_alu instid0(VALU_DEP_2)
	v_lshrrev_b32_e32 v161, v163, v161
; %bb.5421:                             ;   in Loop: Header=BB2_5106 Depth=3
	s_and_not1_saveexec_b32 s14, s14
; %bb.5422:                             ;   in Loop: Header=BB2_5106 Depth=3
	s_delay_alu instid0(VALU_DEP_1)
	v_bfe_u32 v160, v161, 23, 1
; %bb.5423:                             ;   in Loop: Header=BB2_5106 Depth=3
	s_or_b32 exec_lo, exec_lo, s14
	v_lshrrev_b32_e32 v161, 20, v161
	s_delay_alu instid0(VALU_DEP_2) | instskip(SKIP_2) | instid1(VALU_DEP_2)
	v_cmp_gt_i32_e32 vcc_lo, 16, v160
	v_lshrrev_b32_e32 v162, 24, v162
	v_min_i32_e32 v163, 15, v160
	v_dual_cndmask_b32 v161, 7, v161 :: v_dual_and_b32 v162, 0x80, v162
	s_delay_alu instid0(VALU_DEP_1) | instskip(SKIP_1) | instid1(VALU_DEP_2)
	v_or_b32_e32 v160, v160, v161
	v_and_b32_e32 v164, 7, v161
	v_cmp_ne_u32_e32 vcc_lo, 0, v160
	v_lshlrev_b32_e32 v163, 3, v163
	s_delay_alu instid0(VALU_DEP_1) | instskip(NEXT) | instid1(VALU_DEP_1)
	v_or3_b32 v161, v163, v162, v164
	v_cndmask_b32_e32 v160, 0, v161, vcc_lo
.LBB2_5424:                             ;   in Loop: Header=BB2_5106 Depth=3
	s_or_b32 exec_lo, exec_lo, s35
.LBB2_5425:                             ;   in Loop: Header=BB2_5106 Depth=3
	s_delay_alu instid0(SALU_CYCLE_1)
	s_or_b32 exec_lo, exec_lo, s34
	v_lshrrev_b32_e32 v162, 24, v14
	v_lshrrev_b32_e32 v161, 24, v10
	s_and_b32 vcc_lo, exec_lo, s31
	s_cbranch_vccz .LBB2_5435
; %bb.5426:                             ;   in Loop: Header=BB2_5106 Depth=3
	s_mov_b32 s14, 0
	s_mov_b32 s35, exec_lo
                                        ; implicit-def: $sgpr34
	v_cmpx_lt_i16_e64 0x7f, v162
	s_xor_b32 s35, exec_lo, s35
	s_cbranch_execnz .LBB2_5744
; %bb.5427:                             ;   in Loop: Header=BB2_5106 Depth=3
	s_or_saveexec_b32 s35, s35
	v_mov_b32_e32 v163, s34
	s_xor_b32 exec_lo, exec_lo, s35
	s_cbranch_execnz .LBB2_5747
.LBB2_5428:                             ;   in Loop: Header=BB2_5106 Depth=3
	s_or_b32 exec_lo, exec_lo, s35
	s_and_saveexec_b32 s34, s14
	s_cbranch_execz .LBB2_5430
.LBB2_5429:                             ;   in Loop: Header=BB2_5106 Depth=3
	v_bfe_u32 v163, v14, 24, 3
	v_bfe_u32 v166, v14, 27, 4
	s_delay_alu instid0(VALU_DEP_2) | instskip(NEXT) | instid1(VALU_DEP_2)
	v_clz_i32_u32_e32 v164, v163
	v_cmp_eq_u32_e32 vcc_lo, 0, v166
	s_delay_alu instid0(VALU_DEP_2) | instskip(NEXT) | instid1(VALU_DEP_1)
	v_min_u32_e32 v164, 32, v164
	v_subrev_nc_u32_e32 v165, 28, v164
	v_sub_nc_u32_e32 v164, 29, v164
	s_delay_alu instid0(VALU_DEP_1) | instskip(NEXT) | instid1(VALU_DEP_1)
	v_dual_cndmask_b32 v164, v166, v164 :: v_dual_lshlrev_b32 v165, v165, v162
	v_and_b32_e32 v165, 7, v165
	s_delay_alu instid0(VALU_DEP_2) | instskip(NEXT) | instid1(VALU_DEP_2)
	v_lshl_add_u32 v164, v164, 23, 0x3b800000
	v_cndmask_b32_e32 v163, v163, v165, vcc_lo
	v_and_b32_e32 v165, 0x80000000, v14
	s_delay_alu instid0(VALU_DEP_2) | instskip(NEXT) | instid1(VALU_DEP_1)
	v_lshlrev_b32_e32 v163, 20, v163
	v_or3_b32 v163, v165, v164, v163
.LBB2_5430:                             ;   in Loop: Header=BB2_5106 Depth=3
	s_or_b32 exec_lo, exec_lo, s34
	s_mov_b32 s14, 0
	s_mov_b32 s35, exec_lo
                                        ; implicit-def: $sgpr34
	v_cmpx_lt_i16_e64 0x7f, v161
	s_xor_b32 s35, exec_lo, s35
	s_cbranch_execnz .LBB2_5748
; %bb.5431:                             ;   in Loop: Header=BB2_5106 Depth=3
	s_or_saveexec_b32 s35, s35
	v_mov_b32_e32 v164, s34
	s_xor_b32 exec_lo, exec_lo, s35
	s_cbranch_execnz .LBB2_5751
.LBB2_5432:                             ;   in Loop: Header=BB2_5106 Depth=3
	s_or_b32 exec_lo, exec_lo, s35
	s_and_saveexec_b32 s34, s14
	s_cbranch_execz .LBB2_5434
.LBB2_5433:                             ;   in Loop: Header=BB2_5106 Depth=3
	v_bfe_u32 v164, v10, 24, 3
	v_bfe_u32 v167, v10, 27, 4
	s_delay_alu instid0(VALU_DEP_2) | instskip(NEXT) | instid1(VALU_DEP_2)
	v_clz_i32_u32_e32 v165, v164
	v_cmp_eq_u32_e32 vcc_lo, 0, v167
	s_delay_alu instid0(VALU_DEP_2) | instskip(NEXT) | instid1(VALU_DEP_1)
	v_min_u32_e32 v165, 32, v165
	v_subrev_nc_u32_e32 v166, 28, v165
	v_sub_nc_u32_e32 v165, 29, v165
	s_delay_alu instid0(VALU_DEP_2) | instskip(NEXT) | instid1(VALU_DEP_1)
	v_lshlrev_b32_e32 v166, v166, v161
	v_dual_cndmask_b32 v165, v167, v165 :: v_dual_and_b32 v166, 7, v166
	s_delay_alu instid0(VALU_DEP_1) | instskip(NEXT) | instid1(VALU_DEP_2)
	v_lshl_add_u32 v165, v165, 23, 0x3b800000
	v_cndmask_b32_e32 v164, v164, v166, vcc_lo
	v_and_b32_e32 v166, 0x80000000, v10
	s_delay_alu instid0(VALU_DEP_2) | instskip(NEXT) | instid1(VALU_DEP_1)
	v_lshlrev_b32_e32 v164, 20, v164
	v_or3_b32 v164, v166, v165, v164
.LBB2_5434:                             ;   in Loop: Header=BB2_5106 Depth=3
	s_or_b32 exec_lo, exec_lo, s34
	s_delay_alu instid0(VALU_DEP_1) | instskip(SKIP_1) | instid1(VALU_DEP_1)
	v_dual_max_f32 v164, v164, v164 :: v_dual_max_f32 v163, v163, v163
	s_mov_b32 s14, 0
	v_max_f32_e32 v163, v163, v164
	s_branch .LBB2_5436
.LBB2_5435:                             ;   in Loop: Header=BB2_5106 Depth=3
	s_mov_b32 s14, -1
                                        ; implicit-def: $vgpr163
.LBB2_5436:                             ;   in Loop: Header=BB2_5106 Depth=3
	s_delay_alu instid0(SALU_CYCLE_1)
	s_and_b32 vcc_lo, exec_lo, s14
	s_cbranch_vccz .LBB2_5446
; %bb.5437:                             ;   in Loop: Header=BB2_5106 Depth=3
	s_mov_b32 s14, 0
	s_mov_b32 s35, exec_lo
                                        ; implicit-def: $sgpr34
	v_cmpx_lt_i16_e64 0x7f, v162
	s_xor_b32 s35, exec_lo, s35
	s_cbranch_execnz .LBB2_5752
; %bb.5438:                             ;   in Loop: Header=BB2_5106 Depth=3
	s_or_saveexec_b32 s35, s35
	v_mov_b32_e32 v163, s34
	s_xor_b32 exec_lo, exec_lo, s35
	s_cbranch_execnz .LBB2_5755
.LBB2_5439:                             ;   in Loop: Header=BB2_5106 Depth=3
	s_or_b32 exec_lo, exec_lo, s35
	s_and_saveexec_b32 s34, s14
	s_cbranch_execz .LBB2_5441
.LBB2_5440:                             ;   in Loop: Header=BB2_5106 Depth=3
	v_bfe_u32 v163, v14, 24, 3
	s_delay_alu instid0(VALU_DEP_1) | instskip(NEXT) | instid1(VALU_DEP_1)
	v_clz_i32_u32_e32 v164, v163
	v_min_u32_e32 v164, 32, v164
	s_delay_alu instid0(VALU_DEP_1) | instskip(SKIP_1) | instid1(VALU_DEP_2)
	v_subrev_nc_u32_e32 v165, 28, v164
	v_sub_nc_u32_e32 v164, 29, v164
	v_lshlrev_b32_e32 v162, v165, v162
	v_bfe_u32 v165, v14, 27, 4
	v_and_b32_e32 v14, 0x80000000, v14
	s_delay_alu instid0(VALU_DEP_3) | instskip(NEXT) | instid1(VALU_DEP_3)
	v_and_b32_e32 v162, 7, v162
	v_cmp_eq_u32_e32 vcc_lo, 0, v165
	v_cndmask_b32_e32 v164, v165, v164, vcc_lo
	s_delay_alu instid0(VALU_DEP_3) | instskip(NEXT) | instid1(VALU_DEP_2)
	v_cndmask_b32_e32 v162, v163, v162, vcc_lo
	v_lshl_add_u32 v163, v164, 23, 0x3b800000
	s_delay_alu instid0(VALU_DEP_2) | instskip(NEXT) | instid1(VALU_DEP_1)
	v_lshlrev_b32_e32 v162, 20, v162
	v_or3_b32 v163, v14, v163, v162
.LBB2_5441:                             ;   in Loop: Header=BB2_5106 Depth=3
	s_or_b32 exec_lo, exec_lo, s34
	s_mov_b32 s14, 0
	s_mov_b32 s35, exec_lo
                                        ; implicit-def: $sgpr34
	v_cmpx_lt_i16_e64 0x7f, v161
	s_xor_b32 s35, exec_lo, s35
	s_cbranch_execnz .LBB2_5756
; %bb.5442:                             ;   in Loop: Header=BB2_5106 Depth=3
	s_or_saveexec_b32 s35, s35
	v_mov_b32_e32 v14, s34
	s_xor_b32 exec_lo, exec_lo, s35
	s_cbranch_execnz .LBB2_5759
.LBB2_5443:                             ;   in Loop: Header=BB2_5106 Depth=3
	s_or_b32 exec_lo, exec_lo, s35
	s_and_saveexec_b32 s34, s14
	s_cbranch_execz .LBB2_5445
.LBB2_5444:                             ;   in Loop: Header=BB2_5106 Depth=3
	v_bfe_u32 v14, v10, 24, 3
	s_delay_alu instid0(VALU_DEP_1) | instskip(NEXT) | instid1(VALU_DEP_1)
	v_clz_i32_u32_e32 v162, v14
	v_min_u32_e32 v162, 32, v162
	s_delay_alu instid0(VALU_DEP_1) | instskip(SKIP_1) | instid1(VALU_DEP_2)
	v_subrev_nc_u32_e32 v164, 28, v162
	v_sub_nc_u32_e32 v162, 29, v162
	v_lshlrev_b32_e32 v161, v164, v161
	v_bfe_u32 v164, v10, 27, 4
	v_and_b32_e32 v10, 0x80000000, v10
	s_delay_alu instid0(VALU_DEP_2) | instskip(NEXT) | instid1(VALU_DEP_4)
	v_cmp_eq_u32_e32 vcc_lo, 0, v164
	v_dual_cndmask_b32 v162, v164, v162 :: v_dual_and_b32 v161, 7, v161
	s_delay_alu instid0(VALU_DEP_1) | instskip(NEXT) | instid1(VALU_DEP_2)
	v_cndmask_b32_e32 v14, v14, v161, vcc_lo
	v_lshl_add_u32 v161, v162, 23, 0x3b800000
	s_delay_alu instid0(VALU_DEP_2) | instskip(NEXT) | instid1(VALU_DEP_1)
	v_lshlrev_b32_e32 v14, 20, v14
	v_or3_b32 v14, v10, v161, v14
.LBB2_5445:                             ;   in Loop: Header=BB2_5106 Depth=3
	s_or_b32 exec_lo, exec_lo, s34
	s_delay_alu instid0(VALU_DEP_1) | instskip(SKIP_1) | instid1(VALU_DEP_1)
	v_max_f32_e32 v10, v14, v14
	v_max_f32_e32 v14, v163, v163
	v_min_f32_e32 v163, v14, v10
.LBB2_5446:                             ;   in Loop: Header=BB2_5106 Depth=3
	s_delay_alu instid0(VALU_DEP_1) | instskip(NEXT) | instid1(VALU_DEP_1)
	v_and_b32_e32 v10, 0x7f800000, v163
	v_cmp_ne_u32_e32 vcc_lo, 0x7f800000, v10
	v_mov_b32_e32 v10, 0x80
	s_and_saveexec_b32 s34, vcc_lo
	s_cbranch_execz .LBB2_5454
; %bb.5447:                             ;   in Loop: Header=BB2_5106 Depth=3
	v_mov_b32_e32 v10, 0
	s_mov_b32 s35, exec_lo
	v_cmpx_ne_u32_e32 0, v163
	s_cbranch_execz .LBB2_5453
; %bb.5448:                             ;   in Loop: Header=BB2_5106 Depth=3
	v_bfe_u32 v10, v163, 23, 8
	s_delay_alu instid0(VALU_DEP_1) | instskip(SKIP_1) | instid1(VALU_DEP_2)
	v_sub_nc_u32_e32 v161, 0x78, v10
	v_cmp_gt_u32_e32 vcc_lo, 0x79, v10
	v_dual_cndmask_b32 v161, 0, v161 :: v_dual_and_b32 v14, 0x7fffff, v163
	s_delay_alu instid0(VALU_DEP_1) | instskip(SKIP_2) | instid1(VALU_DEP_4)
	v_or_b32_e32 v162, 0x800000, v14
	v_cmp_eq_u32_e32 vcc_lo, 0, v10
	v_add_nc_u32_e32 v10, 0xffffff89, v10
	v_cndmask_b32_e64 v161, v161, 0x77, vcc_lo
	s_delay_alu instid0(VALU_DEP_4) | instskip(NEXT) | instid1(VALU_DEP_3)
	v_cndmask_b32_e32 v14, v162, v14, vcc_lo
	v_cndmask_b32_e64 v10, v10, 0xffffff8a, vcc_lo
	s_delay_alu instid0(VALU_DEP_3) | instskip(NEXT) | instid1(VALU_DEP_3)
	v_lshl_add_u32 v162, 0x100000, v161, -1
	v_lshrrev_b32_e32 v164, v161, v14
	v_lshlrev_b32_e64 v166, v161, 0x80000
	s_delay_alu instid0(VALU_DEP_4) | instskip(NEXT) | instid1(VALU_DEP_4)
	v_add_nc_u32_e32 v161, v161, v10
	v_and_b32_e32 v14, v162, v14
	s_delay_alu instid0(VALU_DEP_4) | instskip(NEXT) | instid1(VALU_DEP_2)
	v_bfe_u32 v165, v164, 20, 1
	v_cmp_eq_u32_e64 s14, v14, v166
	s_delay_alu instid0(VALU_DEP_2) | instskip(NEXT) | instid1(VALU_DEP_1)
	v_add_nc_u32_e32 v162, -1, v165
	v_cndmask_b32_e64 v14, 0, v162, s14
	v_lshrrev_b32_e32 v162, 23, v164
	s_mov_b32 s14, exec_lo
	s_delay_alu instid0(VALU_DEP_2) | instskip(NEXT) | instid1(VALU_DEP_2)
	v_add_nc_u32_e32 v14, v14, v164
	v_xor_b32_e32 v162, 1, v162
	s_delay_alu instid0(VALU_DEP_2) | instskip(NEXT) | instid1(VALU_DEP_1)
	v_and_b32_e32 v10, 0xfffff, v14
	v_add_nc_u32_e32 v14, v10, v164
                                        ; implicit-def: $vgpr10
	s_delay_alu instid0(VALU_DEP_3)
	v_cmpx_ne_u32_e64 v161, v162
	s_xor_b32 s14, exec_lo, s14
; %bb.5449:                             ;   in Loop: Header=BB2_5106 Depth=3
	s_delay_alu instid0(VALU_DEP_2) | instskip(SKIP_2) | instid1(VALU_DEP_2)
	v_cmp_lt_u32_e32 vcc_lo, 0xffffff, v14
	v_sub_nc_u32_e32 v10, v161, v162
	v_cndmask_b32_e64 v161, 0, 1, vcc_lo
	v_add_co_ci_u32_e32 v10, vcc_lo, 0, v10, vcc_lo
	s_delay_alu instid0(VALU_DEP_2)
	v_lshrrev_b32_e32 v14, v161, v14
; %bb.5450:                             ;   in Loop: Header=BB2_5106 Depth=3
	s_and_not1_saveexec_b32 s14, s14
; %bb.5451:                             ;   in Loop: Header=BB2_5106 Depth=3
	s_delay_alu instid0(VALU_DEP_1)
	v_bfe_u32 v10, v14, 23, 1
; %bb.5452:                             ;   in Loop: Header=BB2_5106 Depth=3
	s_or_b32 exec_lo, exec_lo, s14
	v_lshrrev_b32_e32 v14, 20, v14
	s_delay_alu instid0(VALU_DEP_2) | instskip(SKIP_2) | instid1(VALU_DEP_2)
	v_cmp_gt_i32_e32 vcc_lo, 16, v10
	v_lshrrev_b32_e32 v161, 24, v163
	v_min_i32_e32 v162, 15, v10
	v_dual_cndmask_b32 v14, 7, v14 :: v_dual_and_b32 v161, 0x80, v161
	s_delay_alu instid0(VALU_DEP_2) | instskip(NEXT) | instid1(VALU_DEP_2)
	v_lshlrev_b32_e32 v162, 3, v162
	v_and_b32_e32 v163, 7, v14
	v_or_b32_e32 v10, v10, v14
	s_delay_alu instid0(VALU_DEP_2) | instskip(NEXT) | instid1(VALU_DEP_2)
	v_or3_b32 v14, v162, v161, v163
	v_cmp_ne_u32_e32 vcc_lo, 0, v10
	s_delay_alu instid0(VALU_DEP_2)
	v_cndmask_b32_e32 v10, 0, v14, vcc_lo
.LBB2_5453:                             ;   in Loop: Header=BB2_5106 Depth=3
	s_or_b32 exec_lo, exec_lo, s35
.LBB2_5454:                             ;   in Loop: Header=BB2_5106 Depth=3
	s_delay_alu instid0(SALU_CYCLE_1) | instskip(NEXT) | instid1(SALU_CYCLE_1)
	s_or_b32 exec_lo, exec_lo, s34
	s_and_b32 vcc_lo, exec_lo, s31
	s_cbranch_vccz .LBB2_5464
; %bb.5455:                             ;   in Loop: Header=BB2_5106 Depth=3
	v_and_b32_e32 v161, 0xff, v15
	s_mov_b32 s14, 0
	s_mov_b32 s35, exec_lo
                                        ; implicit-def: $sgpr34
	s_delay_alu instid0(VALU_DEP_1)
	v_cmpx_lt_i16_e64 0x7f, v161
	s_xor_b32 s35, exec_lo, s35
	s_cbranch_execnz .LBB2_5760
; %bb.5456:                             ;   in Loop: Header=BB2_5106 Depth=3
	s_or_saveexec_b32 s35, s35
	v_mov_b32_e32 v14, s34
	s_xor_b32 exec_lo, exec_lo, s35
	s_cbranch_execnz .LBB2_5763
.LBB2_5457:                             ;   in Loop: Header=BB2_5106 Depth=3
	s_or_b32 exec_lo, exec_lo, s35
	s_and_saveexec_b32 s34, s14
	s_cbranch_execz .LBB2_5459
.LBB2_5458:                             ;   in Loop: Header=BB2_5106 Depth=3
	v_bfe_u32 v163, v15, 3, 4
	v_lshlrev_b32_e32 v164, 24, v15
	s_delay_alu instid0(VALU_DEP_2) | instskip(SKIP_1) | instid1(VALU_DEP_1)
	v_cmp_eq_u32_e32 vcc_lo, 0, v163
	v_and_b32_e32 v14, 7, v15
	v_clz_i32_u32_e32 v161, v14
	s_delay_alu instid0(VALU_DEP_1) | instskip(NEXT) | instid1(VALU_DEP_1)
	v_min_u32_e32 v161, 32, v161
	v_subrev_nc_u32_e32 v162, 28, v161
	v_sub_nc_u32_e32 v161, 29, v161
	s_delay_alu instid0(VALU_DEP_1) | instskip(NEXT) | instid1(VALU_DEP_1)
	v_dual_cndmask_b32 v161, v163, v161 :: v_dual_lshlrev_b32 v162, v162, v15
	v_and_b32_e32 v162, 7, v162
	s_delay_alu instid0(VALU_DEP_2) | instskip(NEXT) | instid1(VALU_DEP_2)
	v_lshl_add_u32 v161, v161, 23, 0x3b800000
	v_cndmask_b32_e32 v14, v14, v162, vcc_lo
	v_and_b32_e32 v162, 0x80000000, v164
	s_delay_alu instid0(VALU_DEP_2) | instskip(NEXT) | instid1(VALU_DEP_1)
	v_lshlrev_b32_e32 v14, 20, v14
	v_or3_b32 v14, v162, v161, v14
.LBB2_5459:                             ;   in Loop: Header=BB2_5106 Depth=3
	s_or_b32 exec_lo, exec_lo, s34
	v_and_b32_e32 v162, 0xff, v11
	s_mov_b32 s14, 0
	s_mov_b32 s35, exec_lo
                                        ; implicit-def: $sgpr34
	s_delay_alu instid0(VALU_DEP_1)
	v_cmpx_lt_i16_e64 0x7f, v162
	s_xor_b32 s35, exec_lo, s35
	s_cbranch_execnz .LBB2_5764
; %bb.5460:                             ;   in Loop: Header=BB2_5106 Depth=3
	s_or_saveexec_b32 s35, s35
	v_mov_b32_e32 v161, s34
	s_xor_b32 exec_lo, exec_lo, s35
	s_cbranch_execnz .LBB2_5767
.LBB2_5461:                             ;   in Loop: Header=BB2_5106 Depth=3
	s_or_b32 exec_lo, exec_lo, s35
	s_and_saveexec_b32 s34, s14
	s_cbranch_execz .LBB2_5463
.LBB2_5462:                             ;   in Loop: Header=BB2_5106 Depth=3
	v_bfe_u32 v164, v11, 3, 4
	v_lshlrev_b32_e32 v165, 24, v11
	s_delay_alu instid0(VALU_DEP_2) | instskip(SKIP_1) | instid1(VALU_DEP_1)
	v_cmp_eq_u32_e32 vcc_lo, 0, v164
	v_and_b32_e32 v161, 7, v11
	v_clz_i32_u32_e32 v162, v161
	s_delay_alu instid0(VALU_DEP_1) | instskip(NEXT) | instid1(VALU_DEP_1)
	v_min_u32_e32 v162, 32, v162
	v_subrev_nc_u32_e32 v163, 28, v162
	v_sub_nc_u32_e32 v162, 29, v162
	s_delay_alu instid0(VALU_DEP_1) | instskip(NEXT) | instid1(VALU_DEP_1)
	v_dual_cndmask_b32 v162, v164, v162 :: v_dual_lshlrev_b32 v163, v163, v11
	v_and_b32_e32 v163, 7, v163
	s_delay_alu instid0(VALU_DEP_2) | instskip(NEXT) | instid1(VALU_DEP_2)
	v_lshl_add_u32 v162, v162, 23, 0x3b800000
	v_cndmask_b32_e32 v161, v161, v163, vcc_lo
	v_and_b32_e32 v163, 0x80000000, v165
	s_delay_alu instid0(VALU_DEP_2) | instskip(NEXT) | instid1(VALU_DEP_1)
	v_lshlrev_b32_e32 v161, 20, v161
	v_or3_b32 v161, v163, v162, v161
.LBB2_5463:                             ;   in Loop: Header=BB2_5106 Depth=3
	s_or_b32 exec_lo, exec_lo, s34
	s_delay_alu instid0(VALU_DEP_1) | instskip(SKIP_1) | instid1(VALU_DEP_1)
	v_dual_max_f32 v161, v161, v161 :: v_dual_max_f32 v14, v14, v14
	s_mov_b32 s14, 0
	v_max_f32_e32 v161, v14, v161
	s_branch .LBB2_5465
.LBB2_5464:                             ;   in Loop: Header=BB2_5106 Depth=3
	s_mov_b32 s14, -1
                                        ; implicit-def: $vgpr161
.LBB2_5465:                             ;   in Loop: Header=BB2_5106 Depth=3
	s_delay_alu instid0(SALU_CYCLE_1)
	s_and_b32 vcc_lo, exec_lo, s14
	s_cbranch_vccz .LBB2_5475
; %bb.5466:                             ;   in Loop: Header=BB2_5106 Depth=3
	v_and_b32_e32 v161, 0xff, v15
	s_mov_b32 s14, 0
	s_mov_b32 s35, exec_lo
                                        ; implicit-def: $sgpr34
	s_delay_alu instid0(VALU_DEP_1)
	v_cmpx_lt_i16_e64 0x7f, v161
	s_xor_b32 s35, exec_lo, s35
	s_cbranch_execnz .LBB2_5768
; %bb.5467:                             ;   in Loop: Header=BB2_5106 Depth=3
	s_or_saveexec_b32 s35, s35
	v_mov_b32_e32 v14, s34
	s_xor_b32 exec_lo, exec_lo, s35
	s_cbranch_execnz .LBB2_5771
.LBB2_5468:                             ;   in Loop: Header=BB2_5106 Depth=3
	s_or_b32 exec_lo, exec_lo, s35
	s_and_saveexec_b32 s34, s14
	s_cbranch_execz .LBB2_5470
.LBB2_5469:                             ;   in Loop: Header=BB2_5106 Depth=3
	v_bfe_u32 v163, v15, 3, 4
	v_lshlrev_b32_e32 v164, 24, v15
	s_delay_alu instid0(VALU_DEP_2) | instskip(SKIP_1) | instid1(VALU_DEP_1)
	v_cmp_eq_u32_e32 vcc_lo, 0, v163
	v_and_b32_e32 v14, 7, v15
	v_clz_i32_u32_e32 v161, v14
	s_delay_alu instid0(VALU_DEP_1) | instskip(NEXT) | instid1(VALU_DEP_1)
	v_min_u32_e32 v161, 32, v161
	v_subrev_nc_u32_e32 v162, 28, v161
	v_sub_nc_u32_e32 v161, 29, v161
	s_delay_alu instid0(VALU_DEP_1) | instskip(NEXT) | instid1(VALU_DEP_1)
	v_dual_cndmask_b32 v161, v163, v161 :: v_dual_lshlrev_b32 v162, v162, v15
	v_and_b32_e32 v162, 7, v162
	s_delay_alu instid0(VALU_DEP_2) | instskip(NEXT) | instid1(VALU_DEP_2)
	v_lshl_add_u32 v161, v161, 23, 0x3b800000
	v_cndmask_b32_e32 v14, v14, v162, vcc_lo
	v_and_b32_e32 v162, 0x80000000, v164
	s_delay_alu instid0(VALU_DEP_2) | instskip(NEXT) | instid1(VALU_DEP_1)
	v_lshlrev_b32_e32 v14, 20, v14
	v_or3_b32 v14, v162, v161, v14
.LBB2_5470:                             ;   in Loop: Header=BB2_5106 Depth=3
	s_or_b32 exec_lo, exec_lo, s34
	v_and_b32_e32 v162, 0xff, v11
	s_mov_b32 s14, 0
	s_mov_b32 s35, exec_lo
                                        ; implicit-def: $sgpr34
	s_delay_alu instid0(VALU_DEP_1)
	v_cmpx_lt_i16_e64 0x7f, v162
	s_xor_b32 s35, exec_lo, s35
	s_cbranch_execnz .LBB2_5772
; %bb.5471:                             ;   in Loop: Header=BB2_5106 Depth=3
	s_or_saveexec_b32 s35, s35
	v_mov_b32_e32 v161, s34
	s_xor_b32 exec_lo, exec_lo, s35
	s_cbranch_execnz .LBB2_5775
.LBB2_5472:                             ;   in Loop: Header=BB2_5106 Depth=3
	s_or_b32 exec_lo, exec_lo, s35
	s_and_saveexec_b32 s34, s14
	s_cbranch_execz .LBB2_5474
.LBB2_5473:                             ;   in Loop: Header=BB2_5106 Depth=3
	v_bfe_u32 v164, v11, 3, 4
	v_lshlrev_b32_e32 v165, 24, v11
	s_delay_alu instid0(VALU_DEP_2) | instskip(SKIP_1) | instid1(VALU_DEP_1)
	v_cmp_eq_u32_e32 vcc_lo, 0, v164
	v_and_b32_e32 v161, 7, v11
	v_clz_i32_u32_e32 v162, v161
	s_delay_alu instid0(VALU_DEP_1) | instskip(NEXT) | instid1(VALU_DEP_1)
	v_min_u32_e32 v162, 32, v162
	v_subrev_nc_u32_e32 v163, 28, v162
	v_sub_nc_u32_e32 v162, 29, v162
	s_delay_alu instid0(VALU_DEP_1) | instskip(NEXT) | instid1(VALU_DEP_1)
	v_dual_cndmask_b32 v162, v164, v162 :: v_dual_lshlrev_b32 v163, v163, v11
	v_and_b32_e32 v163, 7, v163
	s_delay_alu instid0(VALU_DEP_2) | instskip(NEXT) | instid1(VALU_DEP_2)
	v_lshl_add_u32 v162, v162, 23, 0x3b800000
	v_cndmask_b32_e32 v161, v161, v163, vcc_lo
	v_and_b32_e32 v163, 0x80000000, v165
	s_delay_alu instid0(VALU_DEP_2) | instskip(NEXT) | instid1(VALU_DEP_1)
	v_lshlrev_b32_e32 v161, 20, v161
	v_or3_b32 v161, v163, v162, v161
.LBB2_5474:                             ;   in Loop: Header=BB2_5106 Depth=3
	s_or_b32 exec_lo, exec_lo, s34
	s_delay_alu instid0(VALU_DEP_1) | instskip(NEXT) | instid1(VALU_DEP_1)
	v_dual_max_f32 v161, v161, v161 :: v_dual_max_f32 v14, v14, v14
	v_min_f32_e32 v161, v14, v161
.LBB2_5475:                             ;   in Loop: Header=BB2_5106 Depth=3
	s_delay_alu instid0(VALU_DEP_1) | instskip(NEXT) | instid1(VALU_DEP_1)
	v_and_b32_e32 v14, 0x7f800000, v161
	v_cmp_ne_u32_e32 vcc_lo, 0x7f800000, v14
	v_mov_b32_e32 v14, 0x80
	s_and_saveexec_b32 s34, vcc_lo
	s_cbranch_execz .LBB2_5483
; %bb.5476:                             ;   in Loop: Header=BB2_5106 Depth=3
	v_mov_b32_e32 v14, 0
	s_mov_b32 s35, exec_lo
	v_cmpx_ne_u32_e32 0, v161
	s_cbranch_execz .LBB2_5482
; %bb.5477:                             ;   in Loop: Header=BB2_5106 Depth=3
	v_bfe_u32 v14, v161, 23, 8
	s_delay_alu instid0(VALU_DEP_1) | instskip(SKIP_1) | instid1(VALU_DEP_2)
	v_sub_nc_u32_e32 v163, 0x78, v14
	v_cmp_gt_u32_e32 vcc_lo, 0x79, v14
	v_dual_cndmask_b32 v163, 0, v163 :: v_dual_and_b32 v162, 0x7fffff, v161
	s_delay_alu instid0(VALU_DEP_1) | instskip(SKIP_2) | instid1(VALU_DEP_4)
	v_or_b32_e32 v164, 0x800000, v162
	v_cmp_eq_u32_e32 vcc_lo, 0, v14
	v_add_nc_u32_e32 v14, 0xffffff89, v14
	v_cndmask_b32_e64 v163, v163, 0x77, vcc_lo
	s_delay_alu instid0(VALU_DEP_4) | instskip(NEXT) | instid1(VALU_DEP_3)
	v_cndmask_b32_e32 v162, v164, v162, vcc_lo
	v_cndmask_b32_e64 v14, v14, 0xffffff8a, vcc_lo
	s_delay_alu instid0(VALU_DEP_3) | instskip(NEXT) | instid1(VALU_DEP_3)
	v_lshl_add_u32 v164, 0x100000, v163, -1
	v_lshrrev_b32_e32 v165, v163, v162
	v_lshlrev_b32_e64 v167, v163, 0x80000
	s_delay_alu instid0(VALU_DEP_4) | instskip(NEXT) | instid1(VALU_DEP_4)
	v_add_nc_u32_e32 v163, v163, v14
	v_and_b32_e32 v162, v164, v162
	s_delay_alu instid0(VALU_DEP_4) | instskip(NEXT) | instid1(VALU_DEP_2)
	v_bfe_u32 v166, v165, 20, 1
	v_cmp_eq_u32_e64 s14, v162, v167
	s_delay_alu instid0(VALU_DEP_2) | instskip(NEXT) | instid1(VALU_DEP_1)
	v_add_nc_u32_e32 v164, -1, v166
	v_cndmask_b32_e64 v162, 0, v164, s14
	v_lshrrev_b32_e32 v164, 23, v165
	s_mov_b32 s14, exec_lo
	s_delay_alu instid0(VALU_DEP_2) | instskip(NEXT) | instid1(VALU_DEP_2)
	v_add_nc_u32_e32 v162, v162, v165
	v_xor_b32_e32 v164, 1, v164
	s_delay_alu instid0(VALU_DEP_2) | instskip(NEXT) | instid1(VALU_DEP_1)
	v_and_b32_e32 v14, 0xfffff, v162
	v_add_nc_u32_e32 v162, v14, v165
                                        ; implicit-def: $vgpr14
	s_delay_alu instid0(VALU_DEP_3)
	v_cmpx_ne_u32_e64 v163, v164
	s_xor_b32 s14, exec_lo, s14
; %bb.5478:                             ;   in Loop: Header=BB2_5106 Depth=3
	s_delay_alu instid0(VALU_DEP_2) | instskip(SKIP_2) | instid1(VALU_DEP_2)
	v_cmp_lt_u32_e32 vcc_lo, 0xffffff, v162
	v_sub_nc_u32_e32 v14, v163, v164
	v_cndmask_b32_e64 v163, 0, 1, vcc_lo
	v_add_co_ci_u32_e32 v14, vcc_lo, 0, v14, vcc_lo
	s_delay_alu instid0(VALU_DEP_2)
	v_lshrrev_b32_e32 v162, v163, v162
; %bb.5479:                             ;   in Loop: Header=BB2_5106 Depth=3
	s_and_not1_saveexec_b32 s14, s14
; %bb.5480:                             ;   in Loop: Header=BB2_5106 Depth=3
	s_delay_alu instid0(VALU_DEP_1)
	v_bfe_u32 v14, v162, 23, 1
; %bb.5481:                             ;   in Loop: Header=BB2_5106 Depth=3
	s_or_b32 exec_lo, exec_lo, s14
	v_lshrrev_b32_e32 v162, 20, v162
	s_delay_alu instid0(VALU_DEP_2) | instskip(SKIP_2) | instid1(VALU_DEP_2)
	v_cmp_gt_i32_e32 vcc_lo, 16, v14
	v_lshrrev_b32_e32 v161, 24, v161
	v_min_i32_e32 v163, 15, v14
	v_dual_cndmask_b32 v162, 7, v162 :: v_dual_and_b32 v161, 0x80, v161
	s_delay_alu instid0(VALU_DEP_1) | instskip(SKIP_1) | instid1(VALU_DEP_2)
	v_or_b32_e32 v14, v14, v162
	v_and_b32_e32 v164, 7, v162
	v_cmp_ne_u32_e32 vcc_lo, 0, v14
	v_lshlrev_b32_e32 v163, 3, v163
	s_delay_alu instid0(VALU_DEP_1) | instskip(NEXT) | instid1(VALU_DEP_1)
	v_or3_b32 v161, v163, v161, v164
	v_cndmask_b32_e32 v14, 0, v161, vcc_lo
.LBB2_5482:                             ;   in Loop: Header=BB2_5106 Depth=3
	s_or_b32 exec_lo, exec_lo, s35
.LBB2_5483:                             ;   in Loop: Header=BB2_5106 Depth=3
	s_delay_alu instid0(SALU_CYCLE_1)
	s_or_b32 exec_lo, exec_lo, s34
	v_lshrrev_b16 v162, 8, v15
	v_lshrrev_b16 v161, 8, v11
	s_and_b32 vcc_lo, exec_lo, s31
	s_cbranch_vccz .LBB2_5493
; %bb.5484:                             ;   in Loop: Header=BB2_5106 Depth=3
	s_mov_b32 s14, 0
	s_mov_b32 s35, exec_lo
                                        ; implicit-def: $sgpr34
	v_cmpx_lt_i16_e64 0x7f, v162
	s_xor_b32 s35, exec_lo, s35
	s_cbranch_execnz .LBB2_5776
; %bb.5485:                             ;   in Loop: Header=BB2_5106 Depth=3
	s_or_saveexec_b32 s35, s35
	v_mov_b32_e32 v163, s34
	s_xor_b32 exec_lo, exec_lo, s35
	s_cbranch_execnz .LBB2_5779
.LBB2_5486:                             ;   in Loop: Header=BB2_5106 Depth=3
	s_or_b32 exec_lo, exec_lo, s35
	s_and_saveexec_b32 s34, s14
	s_cbranch_execz .LBB2_5488
.LBB2_5487:                             ;   in Loop: Header=BB2_5106 Depth=3
	v_and_b32_e32 v163, 0xffff, v162
	s_delay_alu instid0(VALU_DEP_1) | instskip(NEXT) | instid1(VALU_DEP_1)
	v_and_b32_e32 v164, 7, v163
	v_clz_i32_u32_e32 v165, v164
	s_delay_alu instid0(VALU_DEP_1) | instskip(NEXT) | instid1(VALU_DEP_1)
	v_min_u32_e32 v165, 32, v165
	v_subrev_nc_u32_e32 v166, 28, v165
	v_sub_nc_u32_e32 v165, 29, v165
	s_delay_alu instid0(VALU_DEP_2) | instskip(SKIP_1) | instid1(VALU_DEP_2)
	v_lshlrev_b32_e32 v166, v166, v163
	v_bfe_u32 v163, v163, 3, 4
	v_and_b32_e32 v166, 7, v166
	s_delay_alu instid0(VALU_DEP_2) | instskip(SKIP_1) | instid1(VALU_DEP_3)
	v_cmp_eq_u32_e32 vcc_lo, 0, v163
	v_cndmask_b32_e32 v163, v163, v165, vcc_lo
	v_dual_cndmask_b32 v164, v164, v166 :: v_dual_lshlrev_b32 v167, 16, v15
	s_delay_alu instid0(VALU_DEP_2) | instskip(NEXT) | instid1(VALU_DEP_2)
	v_lshl_add_u32 v163, v163, 23, 0x3b800000
	v_and_b32_e32 v165, 0x80000000, v167
	s_delay_alu instid0(VALU_DEP_3) | instskip(NEXT) | instid1(VALU_DEP_1)
	v_lshlrev_b32_e32 v164, 20, v164
	v_or3_b32 v163, v165, v163, v164
.LBB2_5488:                             ;   in Loop: Header=BB2_5106 Depth=3
	s_or_b32 exec_lo, exec_lo, s34
	s_mov_b32 s14, 0
	s_mov_b32 s35, exec_lo
                                        ; implicit-def: $sgpr34
	v_cmpx_lt_i16_e64 0x7f, v161
	s_xor_b32 s35, exec_lo, s35
	s_cbranch_execnz .LBB2_5780
; %bb.5489:                             ;   in Loop: Header=BB2_5106 Depth=3
	s_or_saveexec_b32 s35, s35
	v_mov_b32_e32 v164, s34
	s_xor_b32 exec_lo, exec_lo, s35
	s_cbranch_execnz .LBB2_5783
.LBB2_5490:                             ;   in Loop: Header=BB2_5106 Depth=3
	s_or_b32 exec_lo, exec_lo, s35
	s_and_saveexec_b32 s34, s14
	s_cbranch_execz .LBB2_5492
.LBB2_5491:                             ;   in Loop: Header=BB2_5106 Depth=3
	v_and_b32_e32 v164, 0xffff, v161
	v_lshlrev_b32_e32 v176, 16, v11
	s_delay_alu instid0(VALU_DEP_2) | instskip(NEXT) | instid1(VALU_DEP_1)
	v_and_b32_e32 v165, 7, v164
	v_clz_i32_u32_e32 v166, v165
	s_delay_alu instid0(VALU_DEP_1) | instskip(NEXT) | instid1(VALU_DEP_1)
	v_min_u32_e32 v166, 32, v166
	v_subrev_nc_u32_e32 v167, 28, v166
	v_sub_nc_u32_e32 v166, 29, v166
	s_delay_alu instid0(VALU_DEP_2) | instskip(SKIP_1) | instid1(VALU_DEP_2)
	v_lshlrev_b32_e32 v167, v167, v164
	v_bfe_u32 v164, v164, 3, 4
	v_and_b32_e32 v167, 7, v167
	s_delay_alu instid0(VALU_DEP_2) | instskip(NEXT) | instid1(VALU_DEP_2)
	v_cmp_eq_u32_e32 vcc_lo, 0, v164
	v_dual_cndmask_b32 v164, v164, v166 :: v_dual_cndmask_b32 v165, v165, v167
	v_and_b32_e32 v166, 0x80000000, v176
	s_delay_alu instid0(VALU_DEP_2) | instskip(NEXT) | instid1(VALU_DEP_3)
	v_lshl_add_u32 v164, v164, 23, 0x3b800000
	v_lshlrev_b32_e32 v165, 20, v165
	s_delay_alu instid0(VALU_DEP_1)
	v_or3_b32 v164, v166, v164, v165
.LBB2_5492:                             ;   in Loop: Header=BB2_5106 Depth=3
	s_or_b32 exec_lo, exec_lo, s34
	s_delay_alu instid0(VALU_DEP_1) | instskip(SKIP_1) | instid1(VALU_DEP_1)
	v_dual_max_f32 v164, v164, v164 :: v_dual_max_f32 v163, v163, v163
	s_mov_b32 s14, 0
	v_max_f32_e32 v163, v163, v164
	s_branch .LBB2_5494
.LBB2_5493:                             ;   in Loop: Header=BB2_5106 Depth=3
	s_mov_b32 s14, -1
                                        ; implicit-def: $vgpr163
.LBB2_5494:                             ;   in Loop: Header=BB2_5106 Depth=3
	s_delay_alu instid0(SALU_CYCLE_1)
	s_and_b32 vcc_lo, exec_lo, s14
	s_cbranch_vccz .LBB2_5504
; %bb.5495:                             ;   in Loop: Header=BB2_5106 Depth=3
	s_mov_b32 s14, 0
	s_mov_b32 s35, exec_lo
                                        ; implicit-def: $sgpr34
	v_cmpx_lt_i16_e64 0x7f, v162
	s_xor_b32 s35, exec_lo, s35
	s_cbranch_execnz .LBB2_5784
; %bb.5496:                             ;   in Loop: Header=BB2_5106 Depth=3
	s_or_saveexec_b32 s35, s35
	v_mov_b32_e32 v163, s34
	s_xor_b32 exec_lo, exec_lo, s35
	s_cbranch_execnz .LBB2_5787
.LBB2_5497:                             ;   in Loop: Header=BB2_5106 Depth=3
	s_or_b32 exec_lo, exec_lo, s35
	s_and_saveexec_b32 s34, s14
	s_cbranch_execz .LBB2_5499
.LBB2_5498:                             ;   in Loop: Header=BB2_5106 Depth=3
	v_and_b32_e32 v162, 0xffff, v162
	v_lshlrev_b32_e32 v166, 16, v15
	s_delay_alu instid0(VALU_DEP_2) | instskip(NEXT) | instid1(VALU_DEP_1)
	v_and_b32_e32 v163, 7, v162
	v_clz_i32_u32_e32 v164, v163
	s_delay_alu instid0(VALU_DEP_1) | instskip(NEXT) | instid1(VALU_DEP_1)
	v_min_u32_e32 v164, 32, v164
	v_subrev_nc_u32_e32 v165, 28, v164
	v_sub_nc_u32_e32 v164, 29, v164
	s_delay_alu instid0(VALU_DEP_2) | instskip(SKIP_1) | instid1(VALU_DEP_2)
	v_lshlrev_b32_e32 v165, v165, v162
	v_bfe_u32 v162, v162, 3, 4
	v_and_b32_e32 v165, 7, v165
	s_delay_alu instid0(VALU_DEP_2) | instskip(NEXT) | instid1(VALU_DEP_2)
	v_cmp_eq_u32_e32 vcc_lo, 0, v162
	v_dual_cndmask_b32 v162, v162, v164 :: v_dual_cndmask_b32 v163, v163, v165
	v_and_b32_e32 v164, 0x80000000, v166
	s_delay_alu instid0(VALU_DEP_2) | instskip(NEXT) | instid1(VALU_DEP_3)
	v_lshl_add_u32 v162, v162, 23, 0x3b800000
	v_lshlrev_b32_e32 v163, 20, v163
	s_delay_alu instid0(VALU_DEP_1)
	v_or3_b32 v163, v164, v162, v163
.LBB2_5499:                             ;   in Loop: Header=BB2_5106 Depth=3
	s_or_b32 exec_lo, exec_lo, s34
	s_mov_b32 s14, 0
	s_mov_b32 s35, exec_lo
                                        ; implicit-def: $sgpr34
	v_cmpx_lt_i16_e64 0x7f, v161
	s_xor_b32 s35, exec_lo, s35
	s_cbranch_execnz .LBB2_5788
; %bb.5500:                             ;   in Loop: Header=BB2_5106 Depth=3
	s_or_saveexec_b32 s35, s35
	v_mov_b32_e32 v162, s34
	s_xor_b32 exec_lo, exec_lo, s35
	s_cbranch_execnz .LBB2_5791
.LBB2_5501:                             ;   in Loop: Header=BB2_5106 Depth=3
	s_or_b32 exec_lo, exec_lo, s35
	s_and_saveexec_b32 s34, s14
	s_cbranch_execz .LBB2_5503
.LBB2_5502:                             ;   in Loop: Header=BB2_5106 Depth=3
	v_and_b32_e32 v161, 0xffff, v161
	v_lshlrev_b32_e32 v166, 16, v11
	s_delay_alu instid0(VALU_DEP_2) | instskip(NEXT) | instid1(VALU_DEP_1)
	v_and_b32_e32 v162, 7, v161
	v_clz_i32_u32_e32 v164, v162
	s_delay_alu instid0(VALU_DEP_1) | instskip(NEXT) | instid1(VALU_DEP_1)
	v_min_u32_e32 v164, 32, v164
	v_subrev_nc_u32_e32 v165, 28, v164
	v_sub_nc_u32_e32 v164, 29, v164
	s_delay_alu instid0(VALU_DEP_2) | instskip(SKIP_1) | instid1(VALU_DEP_2)
	v_lshlrev_b32_e32 v165, v165, v161
	v_bfe_u32 v161, v161, 3, 4
	v_and_b32_e32 v165, 7, v165
	s_delay_alu instid0(VALU_DEP_2) | instskip(NEXT) | instid1(VALU_DEP_2)
	v_cmp_eq_u32_e32 vcc_lo, 0, v161
	v_dual_cndmask_b32 v161, v161, v164 :: v_dual_cndmask_b32 v162, v162, v165
	v_and_b32_e32 v164, 0x80000000, v166
	s_delay_alu instid0(VALU_DEP_2) | instskip(NEXT) | instid1(VALU_DEP_3)
	v_lshl_add_u32 v161, v161, 23, 0x3b800000
	v_lshlrev_b32_e32 v162, 20, v162
	s_delay_alu instid0(VALU_DEP_1)
	v_or3_b32 v162, v164, v161, v162
.LBB2_5503:                             ;   in Loop: Header=BB2_5106 Depth=3
	s_or_b32 exec_lo, exec_lo, s34
	s_delay_alu instid0(VALU_DEP_1) | instskip(NEXT) | instid1(VALU_DEP_1)
	v_dual_max_f32 v161, v162, v162 :: v_dual_max_f32 v162, v163, v163
	v_min_f32_e32 v163, v162, v161
.LBB2_5504:                             ;   in Loop: Header=BB2_5106 Depth=3
	s_delay_alu instid0(VALU_DEP_1) | instskip(NEXT) | instid1(VALU_DEP_1)
	v_and_b32_e32 v161, 0x7f800000, v163
	v_cmp_ne_u32_e32 vcc_lo, 0x7f800000, v161
	v_mov_b32_e32 v161, 0x80
	s_and_saveexec_b32 s34, vcc_lo
	s_cbranch_execz .LBB2_5512
; %bb.5505:                             ;   in Loop: Header=BB2_5106 Depth=3
	v_mov_b32_e32 v161, 0
	s_mov_b32 s35, exec_lo
	v_cmpx_ne_u32_e32 0, v163
	s_cbranch_execz .LBB2_5511
; %bb.5506:                             ;   in Loop: Header=BB2_5106 Depth=3
	v_bfe_u32 v161, v163, 23, 8
	v_and_b32_e32 v162, 0x7fffff, v163
	s_delay_alu instid0(VALU_DEP_2) | instskip(SKIP_1) | instid1(VALU_DEP_3)
	v_sub_nc_u32_e32 v164, 0x78, v161
	v_cmp_gt_u32_e32 vcc_lo, 0x79, v161
	v_or_b32_e32 v165, 0x800000, v162
	s_delay_alu instid0(VALU_DEP_3) | instskip(SKIP_2) | instid1(VALU_DEP_3)
	v_cndmask_b32_e32 v164, 0, v164, vcc_lo
	v_cmp_eq_u32_e32 vcc_lo, 0, v161
	v_add_nc_u32_e32 v161, 0xffffff89, v161
	v_cndmask_b32_e64 v164, v164, 0x77, vcc_lo
	v_cndmask_b32_e32 v162, v165, v162, vcc_lo
	s_delay_alu instid0(VALU_DEP_3) | instskip(NEXT) | instid1(VALU_DEP_3)
	v_cndmask_b32_e64 v161, v161, 0xffffff8a, vcc_lo
	v_lshl_add_u32 v165, 0x100000, v164, -1
	s_delay_alu instid0(VALU_DEP_3) | instskip(SKIP_1) | instid1(VALU_DEP_4)
	v_lshrrev_b32_e32 v166, v164, v162
	v_lshlrev_b32_e64 v176, v164, 0x80000
	v_add_nc_u32_e32 v164, v164, v161
	s_delay_alu instid0(VALU_DEP_4) | instskip(NEXT) | instid1(VALU_DEP_4)
	v_and_b32_e32 v162, v165, v162
	v_bfe_u32 v167, v166, 20, 1
	s_delay_alu instid0(VALU_DEP_2) | instskip(NEXT) | instid1(VALU_DEP_2)
	v_cmp_eq_u32_e64 s14, v162, v176
	v_add_nc_u32_e32 v165, -1, v167
	s_delay_alu instid0(VALU_DEP_1) | instskip(SKIP_2) | instid1(VALU_DEP_2)
	v_cndmask_b32_e64 v162, 0, v165, s14
	v_lshrrev_b32_e32 v165, 23, v166
	s_mov_b32 s14, exec_lo
	v_add_nc_u32_e32 v162, v162, v166
	s_delay_alu instid0(VALU_DEP_2) | instskip(NEXT) | instid1(VALU_DEP_2)
	v_xor_b32_e32 v165, 1, v165
	v_and_b32_e32 v161, 0xfffff, v162
	s_delay_alu instid0(VALU_DEP_1) | instskip(NEXT) | instid1(VALU_DEP_3)
	v_add_nc_u32_e32 v162, v161, v166
                                        ; implicit-def: $vgpr161
	v_cmpx_ne_u32_e64 v164, v165
	s_xor_b32 s14, exec_lo, s14
; %bb.5507:                             ;   in Loop: Header=BB2_5106 Depth=3
	s_delay_alu instid0(VALU_DEP_2) | instskip(SKIP_2) | instid1(VALU_DEP_2)
	v_cmp_lt_u32_e32 vcc_lo, 0xffffff, v162
	v_sub_nc_u32_e32 v161, v164, v165
	v_cndmask_b32_e64 v164, 0, 1, vcc_lo
	v_add_co_ci_u32_e32 v161, vcc_lo, 0, v161, vcc_lo
	s_delay_alu instid0(VALU_DEP_2)
	v_lshrrev_b32_e32 v162, v164, v162
; %bb.5508:                             ;   in Loop: Header=BB2_5106 Depth=3
	s_and_not1_saveexec_b32 s14, s14
; %bb.5509:                             ;   in Loop: Header=BB2_5106 Depth=3
	s_delay_alu instid0(VALU_DEP_1)
	v_bfe_u32 v161, v162, 23, 1
; %bb.5510:                             ;   in Loop: Header=BB2_5106 Depth=3
	s_or_b32 exec_lo, exec_lo, s14
	v_lshrrev_b32_e32 v162, 20, v162
	s_delay_alu instid0(VALU_DEP_2) | instskip(SKIP_2) | instid1(VALU_DEP_2)
	v_cmp_gt_i32_e32 vcc_lo, 16, v161
	v_lshrrev_b32_e32 v163, 24, v163
	v_min_i32_e32 v164, 15, v161
	v_dual_cndmask_b32 v162, 7, v162 :: v_dual_and_b32 v163, 0x80, v163
	s_delay_alu instid0(VALU_DEP_1) | instskip(SKIP_1) | instid1(VALU_DEP_2)
	v_or_b32_e32 v161, v161, v162
	v_and_b32_e32 v165, 7, v162
	v_cmp_ne_u32_e32 vcc_lo, 0, v161
	v_lshlrev_b32_e32 v164, 3, v164
	s_delay_alu instid0(VALU_DEP_1) | instskip(NEXT) | instid1(VALU_DEP_1)
	v_or3_b32 v162, v164, v163, v165
	v_cndmask_b32_e32 v161, 0, v162, vcc_lo
.LBB2_5511:                             ;   in Loop: Header=BB2_5106 Depth=3
	s_or_b32 exec_lo, exec_lo, s35
.LBB2_5512:                             ;   in Loop: Header=BB2_5106 Depth=3
	s_delay_alu instid0(SALU_CYCLE_1)
	s_or_b32 exec_lo, exec_lo, s34
	v_lshrrev_b32_e32 v163, 16, v15
	v_lshrrev_b32_e32 v162, 16, v11
	s_and_b32 vcc_lo, exec_lo, s31
	s_cbranch_vccz .LBB2_5522
; %bb.5513:                             ;   in Loop: Header=BB2_5106 Depth=3
	s_delay_alu instid0(VALU_DEP_2) | instskip(SKIP_2) | instid1(VALU_DEP_1)
	v_and_b32_e32 v165, 0xff, v163
	s_mov_b32 s14, 0
	s_mov_b32 s35, exec_lo
                                        ; implicit-def: $sgpr34
	v_cmpx_lt_i16_e64 0x7f, v165
	s_xor_b32 s35, exec_lo, s35
	s_cbranch_execnz .LBB2_5792
; %bb.5514:                             ;   in Loop: Header=BB2_5106 Depth=3
	s_or_saveexec_b32 s35, s35
	v_mov_b32_e32 v164, s34
	s_xor_b32 exec_lo, exec_lo, s35
	s_cbranch_execnz .LBB2_5795
.LBB2_5515:                             ;   in Loop: Header=BB2_5106 Depth=3
	s_or_b32 exec_lo, exec_lo, s35
	s_and_saveexec_b32 s34, s14
	s_cbranch_execz .LBB2_5517
.LBB2_5516:                             ;   in Loop: Header=BB2_5106 Depth=3
	v_bfe_u32 v164, v15, 16, 3
	v_bfe_u32 v167, v15, 19, 4
	v_lshlrev_b32_e32 v176, 24, v163
	s_delay_alu instid0(VALU_DEP_3) | instskip(NEXT) | instid1(VALU_DEP_3)
	v_clz_i32_u32_e32 v165, v164
	v_cmp_eq_u32_e32 vcc_lo, 0, v167
	s_delay_alu instid0(VALU_DEP_2) | instskip(NEXT) | instid1(VALU_DEP_1)
	v_min_u32_e32 v165, 32, v165
	v_subrev_nc_u32_e32 v166, 28, v165
	v_sub_nc_u32_e32 v165, 29, v165
	s_delay_alu instid0(VALU_DEP_1) | instskip(NEXT) | instid1(VALU_DEP_1)
	v_dual_cndmask_b32 v165, v167, v165 :: v_dual_lshlrev_b32 v166, v166, v163
	v_and_b32_e32 v166, 7, v166
	s_delay_alu instid0(VALU_DEP_2) | instskip(NEXT) | instid1(VALU_DEP_2)
	v_lshl_add_u32 v165, v165, 23, 0x3b800000
	v_cndmask_b32_e32 v164, v164, v166, vcc_lo
	v_and_b32_e32 v166, 0x80000000, v176
	s_delay_alu instid0(VALU_DEP_2) | instskip(NEXT) | instid1(VALU_DEP_1)
	v_lshlrev_b32_e32 v164, 20, v164
	v_or3_b32 v164, v166, v165, v164
.LBB2_5517:                             ;   in Loop: Header=BB2_5106 Depth=3
	s_or_b32 exec_lo, exec_lo, s34
	v_and_b32_e32 v166, 0xff, v162
	s_mov_b32 s14, 0
	s_mov_b32 s35, exec_lo
                                        ; implicit-def: $sgpr34
	s_delay_alu instid0(VALU_DEP_1)
	v_cmpx_lt_i16_e64 0x7f, v166
	s_xor_b32 s35, exec_lo, s35
	s_cbranch_execnz .LBB2_5796
; %bb.5518:                             ;   in Loop: Header=BB2_5106 Depth=3
	s_or_saveexec_b32 s35, s35
	v_mov_b32_e32 v165, s34
	s_xor_b32 exec_lo, exec_lo, s35
	s_cbranch_execnz .LBB2_5799
.LBB2_5519:                             ;   in Loop: Header=BB2_5106 Depth=3
	s_or_b32 exec_lo, exec_lo, s35
	s_and_saveexec_b32 s34, s14
	s_cbranch_execz .LBB2_5521
.LBB2_5520:                             ;   in Loop: Header=BB2_5106 Depth=3
	v_bfe_u32 v165, v11, 16, 3
	v_bfe_u32 v176, v11, 19, 4
	v_lshlrev_b32_e32 v177, 24, v162
	s_delay_alu instid0(VALU_DEP_3) | instskip(NEXT) | instid1(VALU_DEP_3)
	v_clz_i32_u32_e32 v166, v165
	v_cmp_eq_u32_e32 vcc_lo, 0, v176
	s_delay_alu instid0(VALU_DEP_2) | instskip(NEXT) | instid1(VALU_DEP_1)
	v_min_u32_e32 v166, 32, v166
	v_subrev_nc_u32_e32 v167, 28, v166
	v_sub_nc_u32_e32 v166, 29, v166
	s_delay_alu instid0(VALU_DEP_2) | instskip(NEXT) | instid1(VALU_DEP_1)
	v_lshlrev_b32_e32 v167, v167, v162
	v_dual_cndmask_b32 v166, v176, v166 :: v_dual_and_b32 v167, 7, v167
	s_delay_alu instid0(VALU_DEP_1) | instskip(NEXT) | instid1(VALU_DEP_2)
	v_lshl_add_u32 v166, v166, 23, 0x3b800000
	v_cndmask_b32_e32 v165, v165, v167, vcc_lo
	v_and_b32_e32 v167, 0x80000000, v177
	s_delay_alu instid0(VALU_DEP_2) | instskip(NEXT) | instid1(VALU_DEP_1)
	v_lshlrev_b32_e32 v165, 20, v165
	v_or3_b32 v165, v167, v166, v165
.LBB2_5521:                             ;   in Loop: Header=BB2_5106 Depth=3
	s_or_b32 exec_lo, exec_lo, s34
	s_delay_alu instid0(VALU_DEP_1) | instskip(SKIP_1) | instid1(VALU_DEP_1)
	v_dual_max_f32 v165, v165, v165 :: v_dual_max_f32 v164, v164, v164
	s_mov_b32 s14, 0
	v_max_f32_e32 v164, v164, v165
	s_branch .LBB2_5523
.LBB2_5522:                             ;   in Loop: Header=BB2_5106 Depth=3
	s_mov_b32 s14, -1
                                        ; implicit-def: $vgpr164
.LBB2_5523:                             ;   in Loop: Header=BB2_5106 Depth=3
	s_delay_alu instid0(SALU_CYCLE_1)
	s_and_b32 vcc_lo, exec_lo, s14
	s_cbranch_vccz .LBB2_5533
; %bb.5524:                             ;   in Loop: Header=BB2_5106 Depth=3
	v_and_b32_e32 v165, 0xff, v163
	s_mov_b32 s14, 0
	s_mov_b32 s35, exec_lo
                                        ; implicit-def: $sgpr34
	s_delay_alu instid0(VALU_DEP_1)
	v_cmpx_lt_i16_e64 0x7f, v165
	s_xor_b32 s35, exec_lo, s35
	s_cbranch_execnz .LBB2_5800
; %bb.5525:                             ;   in Loop: Header=BB2_5106 Depth=3
	s_or_saveexec_b32 s35, s35
	v_mov_b32_e32 v164, s34
	s_xor_b32 exec_lo, exec_lo, s35
	s_cbranch_execnz .LBB2_5803
.LBB2_5526:                             ;   in Loop: Header=BB2_5106 Depth=3
	s_or_b32 exec_lo, exec_lo, s35
	s_and_saveexec_b32 s34, s14
	s_cbranch_execz .LBB2_5528
.LBB2_5527:                             ;   in Loop: Header=BB2_5106 Depth=3
	v_bfe_u32 v164, v15, 16, 3
	v_bfe_u32 v167, v15, 19, 4
	s_delay_alu instid0(VALU_DEP_2) | instskip(NEXT) | instid1(VALU_DEP_2)
	v_clz_i32_u32_e32 v165, v164
	v_cmp_eq_u32_e32 vcc_lo, 0, v167
	s_delay_alu instid0(VALU_DEP_2) | instskip(NEXT) | instid1(VALU_DEP_1)
	v_min_u32_e32 v165, 32, v165
	v_subrev_nc_u32_e32 v166, 28, v165
	v_sub_nc_u32_e32 v165, 29, v165
	s_delay_alu instid0(VALU_DEP_1) | instskip(NEXT) | instid1(VALU_DEP_1)
	v_dual_cndmask_b32 v165, v167, v165 :: v_dual_lshlrev_b32 v166, v166, v163
	v_and_b32_e32 v166, 7, v166
	v_lshlrev_b32_e32 v163, 24, v163
	s_delay_alu instid0(VALU_DEP_3) | instskip(NEXT) | instid1(VALU_DEP_2)
	v_lshl_add_u32 v165, v165, 23, 0x3b800000
	v_dual_cndmask_b32 v164, v164, v166 :: v_dual_and_b32 v163, 0x80000000, v163
	s_delay_alu instid0(VALU_DEP_1) | instskip(NEXT) | instid1(VALU_DEP_1)
	v_lshlrev_b32_e32 v164, 20, v164
	v_or3_b32 v164, v163, v165, v164
.LBB2_5528:                             ;   in Loop: Header=BB2_5106 Depth=3
	s_or_b32 exec_lo, exec_lo, s34
	v_and_b32_e32 v165, 0xff, v162
	s_mov_b32 s14, 0
	s_mov_b32 s35, exec_lo
                                        ; implicit-def: $sgpr34
	s_delay_alu instid0(VALU_DEP_1)
	v_cmpx_lt_i16_e64 0x7f, v165
	s_xor_b32 s35, exec_lo, s35
	s_cbranch_execnz .LBB2_5804
; %bb.5529:                             ;   in Loop: Header=BB2_5106 Depth=3
	s_or_saveexec_b32 s35, s35
	v_mov_b32_e32 v163, s34
	s_xor_b32 exec_lo, exec_lo, s35
	s_cbranch_execnz .LBB2_5807
.LBB2_5530:                             ;   in Loop: Header=BB2_5106 Depth=3
	s_or_b32 exec_lo, exec_lo, s35
	s_and_saveexec_b32 s34, s14
	s_cbranch_execz .LBB2_5532
.LBB2_5531:                             ;   in Loop: Header=BB2_5106 Depth=3
	v_bfe_u32 v163, v11, 16, 3
	v_bfe_u32 v167, v11, 19, 4
	s_delay_alu instid0(VALU_DEP_2) | instskip(NEXT) | instid1(VALU_DEP_2)
	v_clz_i32_u32_e32 v165, v163
	v_cmp_eq_u32_e32 vcc_lo, 0, v167
	s_delay_alu instid0(VALU_DEP_2) | instskip(NEXT) | instid1(VALU_DEP_1)
	v_min_u32_e32 v165, 32, v165
	v_subrev_nc_u32_e32 v166, 28, v165
	v_sub_nc_u32_e32 v165, 29, v165
	s_delay_alu instid0(VALU_DEP_1) | instskip(SKIP_1) | instid1(VALU_DEP_2)
	v_dual_cndmask_b32 v165, v167, v165 :: v_dual_lshlrev_b32 v166, v166, v162
	v_lshlrev_b32_e32 v162, 24, v162
	v_and_b32_e32 v166, 7, v166
	s_delay_alu instid0(VALU_DEP_3) | instskip(NEXT) | instid1(VALU_DEP_3)
	v_lshl_add_u32 v165, v165, 23, 0x3b800000
	v_and_b32_e32 v162, 0x80000000, v162
	s_delay_alu instid0(VALU_DEP_3) | instskip(NEXT) | instid1(VALU_DEP_1)
	v_cndmask_b32_e32 v163, v163, v166, vcc_lo
	v_lshlrev_b32_e32 v163, 20, v163
	s_delay_alu instid0(VALU_DEP_1)
	v_or3_b32 v163, v162, v165, v163
.LBB2_5532:                             ;   in Loop: Header=BB2_5106 Depth=3
	s_or_b32 exec_lo, exec_lo, s34
	s_delay_alu instid0(VALU_DEP_1) | instskip(NEXT) | instid1(VALU_DEP_1)
	v_dual_max_f32 v162, v163, v163 :: v_dual_max_f32 v163, v164, v164
	v_min_f32_e32 v164, v163, v162
.LBB2_5533:                             ;   in Loop: Header=BB2_5106 Depth=3
	s_delay_alu instid0(VALU_DEP_1) | instskip(NEXT) | instid1(VALU_DEP_1)
	v_and_b32_e32 v162, 0x7f800000, v164
	v_cmp_ne_u32_e32 vcc_lo, 0x7f800000, v162
	v_mov_b32_e32 v162, 0x80
	s_and_saveexec_b32 s34, vcc_lo
	s_cbranch_execz .LBB2_5541
; %bb.5534:                             ;   in Loop: Header=BB2_5106 Depth=3
	v_mov_b32_e32 v162, 0
	s_mov_b32 s35, exec_lo
	v_cmpx_ne_u32_e32 0, v164
	s_cbranch_execz .LBB2_5540
; %bb.5535:                             ;   in Loop: Header=BB2_5106 Depth=3
	v_bfe_u32 v162, v164, 23, 8
	v_and_b32_e32 v163, 0x7fffff, v164
	s_delay_alu instid0(VALU_DEP_2) | instskip(SKIP_1) | instid1(VALU_DEP_3)
	v_sub_nc_u32_e32 v165, 0x78, v162
	v_cmp_gt_u32_e32 vcc_lo, 0x79, v162
	v_or_b32_e32 v166, 0x800000, v163
	s_delay_alu instid0(VALU_DEP_3) | instskip(SKIP_2) | instid1(VALU_DEP_3)
	v_cndmask_b32_e32 v165, 0, v165, vcc_lo
	v_cmp_eq_u32_e32 vcc_lo, 0, v162
	v_add_nc_u32_e32 v162, 0xffffff89, v162
	v_cndmask_b32_e64 v165, v165, 0x77, vcc_lo
	v_cndmask_b32_e32 v163, v166, v163, vcc_lo
	s_delay_alu instid0(VALU_DEP_3) | instskip(NEXT) | instid1(VALU_DEP_3)
	v_cndmask_b32_e64 v162, v162, 0xffffff8a, vcc_lo
	v_lshl_add_u32 v166, 0x100000, v165, -1
	s_delay_alu instid0(VALU_DEP_3) | instskip(SKIP_1) | instid1(VALU_DEP_4)
	v_lshrrev_b32_e32 v167, v165, v163
	v_lshlrev_b32_e64 v177, v165, 0x80000
	v_add_nc_u32_e32 v165, v165, v162
	s_delay_alu instid0(VALU_DEP_4) | instskip(NEXT) | instid1(VALU_DEP_4)
	v_and_b32_e32 v163, v166, v163
	v_bfe_u32 v176, v167, 20, 1
	s_delay_alu instid0(VALU_DEP_2) | instskip(NEXT) | instid1(VALU_DEP_2)
	v_cmp_eq_u32_e64 s14, v163, v177
	v_add_nc_u32_e32 v166, -1, v176
	s_delay_alu instid0(VALU_DEP_1) | instskip(SKIP_2) | instid1(VALU_DEP_2)
	v_cndmask_b32_e64 v163, 0, v166, s14
	v_lshrrev_b32_e32 v166, 23, v167
	s_mov_b32 s14, exec_lo
	v_add_nc_u32_e32 v163, v163, v167
	s_delay_alu instid0(VALU_DEP_2) | instskip(NEXT) | instid1(VALU_DEP_2)
	v_xor_b32_e32 v166, 1, v166
	v_and_b32_e32 v162, 0xfffff, v163
	s_delay_alu instid0(VALU_DEP_1) | instskip(NEXT) | instid1(VALU_DEP_3)
	v_add_nc_u32_e32 v163, v162, v167
                                        ; implicit-def: $vgpr162
	v_cmpx_ne_u32_e64 v165, v166
	s_xor_b32 s14, exec_lo, s14
; %bb.5536:                             ;   in Loop: Header=BB2_5106 Depth=3
	s_delay_alu instid0(VALU_DEP_2) | instskip(SKIP_2) | instid1(VALU_DEP_2)
	v_cmp_lt_u32_e32 vcc_lo, 0xffffff, v163
	v_sub_nc_u32_e32 v162, v165, v166
	v_cndmask_b32_e64 v165, 0, 1, vcc_lo
	v_add_co_ci_u32_e32 v162, vcc_lo, 0, v162, vcc_lo
	s_delay_alu instid0(VALU_DEP_2)
	v_lshrrev_b32_e32 v163, v165, v163
; %bb.5537:                             ;   in Loop: Header=BB2_5106 Depth=3
	s_and_not1_saveexec_b32 s14, s14
; %bb.5538:                             ;   in Loop: Header=BB2_5106 Depth=3
	s_delay_alu instid0(VALU_DEP_1)
	v_bfe_u32 v162, v163, 23, 1
; %bb.5539:                             ;   in Loop: Header=BB2_5106 Depth=3
	s_or_b32 exec_lo, exec_lo, s14
	v_lshrrev_b32_e32 v163, 20, v163
	s_delay_alu instid0(VALU_DEP_2) | instskip(SKIP_2) | instid1(VALU_DEP_2)
	v_cmp_gt_i32_e32 vcc_lo, 16, v162
	v_lshrrev_b32_e32 v164, 24, v164
	v_min_i32_e32 v165, 15, v162
	v_dual_cndmask_b32 v163, 7, v163 :: v_dual_and_b32 v164, 0x80, v164
	s_delay_alu instid0(VALU_DEP_1) | instskip(SKIP_1) | instid1(VALU_DEP_2)
	v_or_b32_e32 v162, v162, v163
	v_and_b32_e32 v166, 7, v163
	v_cmp_ne_u32_e32 vcc_lo, 0, v162
	v_lshlrev_b32_e32 v165, 3, v165
	s_delay_alu instid0(VALU_DEP_1) | instskip(NEXT) | instid1(VALU_DEP_1)
	v_and_b32_e32 v165, 0xf8, v165
	v_or3_b32 v163, v165, v164, v166
	s_delay_alu instid0(VALU_DEP_1)
	v_cndmask_b32_e32 v162, 0, v163, vcc_lo
.LBB2_5540:                             ;   in Loop: Header=BB2_5106 Depth=3
	s_or_b32 exec_lo, exec_lo, s35
.LBB2_5541:                             ;   in Loop: Header=BB2_5106 Depth=3
	s_delay_alu instid0(SALU_CYCLE_1)
	s_or_b32 exec_lo, exec_lo, s34
	v_lshrrev_b32_e32 v164, 24, v15
	v_lshrrev_b32_e32 v163, 24, v11
	s_and_b32 vcc_lo, exec_lo, s31
	s_cbranch_vccz .LBB2_5551
; %bb.5542:                             ;   in Loop: Header=BB2_5106 Depth=3
	s_mov_b32 s14, 0
	s_mov_b32 s35, exec_lo
                                        ; implicit-def: $sgpr34
	v_cmpx_lt_i16_e64 0x7f, v164
	s_xor_b32 s35, exec_lo, s35
	s_cbranch_execnz .LBB2_5808
; %bb.5543:                             ;   in Loop: Header=BB2_5106 Depth=3
	s_or_saveexec_b32 s35, s35
	v_mov_b32_e32 v165, s34
	s_xor_b32 exec_lo, exec_lo, s35
	s_cbranch_execnz .LBB2_5811
.LBB2_5544:                             ;   in Loop: Header=BB2_5106 Depth=3
	s_or_b32 exec_lo, exec_lo, s35
	s_and_saveexec_b32 s34, s14
	s_cbranch_execz .LBB2_5546
.LBB2_5545:                             ;   in Loop: Header=BB2_5106 Depth=3
	v_bfe_u32 v165, v15, 24, 3
	v_bfe_u32 v176, v15, 27, 4
	s_delay_alu instid0(VALU_DEP_2) | instskip(NEXT) | instid1(VALU_DEP_2)
	v_clz_i32_u32_e32 v166, v165
	v_cmp_eq_u32_e32 vcc_lo, 0, v176
	s_delay_alu instid0(VALU_DEP_2) | instskip(NEXT) | instid1(VALU_DEP_1)
	v_min_u32_e32 v166, 32, v166
	v_subrev_nc_u32_e32 v167, 28, v166
	v_sub_nc_u32_e32 v166, 29, v166
	s_delay_alu instid0(VALU_DEP_1) | instskip(NEXT) | instid1(VALU_DEP_1)
	v_dual_cndmask_b32 v166, v176, v166 :: v_dual_lshlrev_b32 v167, v167, v164
	v_and_b32_e32 v167, 7, v167
	s_delay_alu instid0(VALU_DEP_2) | instskip(NEXT) | instid1(VALU_DEP_2)
	v_lshl_add_u32 v166, v166, 23, 0x3b800000
	v_cndmask_b32_e32 v165, v165, v167, vcc_lo
	v_and_b32_e32 v167, 0x80000000, v15
	s_delay_alu instid0(VALU_DEP_2) | instskip(NEXT) | instid1(VALU_DEP_1)
	v_lshlrev_b32_e32 v165, 20, v165
	v_or3_b32 v165, v167, v166, v165
.LBB2_5546:                             ;   in Loop: Header=BB2_5106 Depth=3
	s_or_b32 exec_lo, exec_lo, s34
	s_mov_b32 s14, 0
	s_mov_b32 s35, exec_lo
                                        ; implicit-def: $sgpr34
	v_cmpx_lt_i16_e64 0x7f, v163
	s_xor_b32 s35, exec_lo, s35
	s_cbranch_execnz .LBB2_5812
; %bb.5547:                             ;   in Loop: Header=BB2_5106 Depth=3
	s_or_saveexec_b32 s35, s35
	v_mov_b32_e32 v166, s34
	s_xor_b32 exec_lo, exec_lo, s35
	s_cbranch_execnz .LBB2_5815
.LBB2_5548:                             ;   in Loop: Header=BB2_5106 Depth=3
	s_or_b32 exec_lo, exec_lo, s35
	s_and_saveexec_b32 s34, s14
	s_cbranch_execz .LBB2_5550
.LBB2_5549:                             ;   in Loop: Header=BB2_5106 Depth=3
	v_bfe_u32 v166, v11, 24, 3
	v_bfe_u32 v177, v11, 27, 4
	s_delay_alu instid0(VALU_DEP_2) | instskip(NEXT) | instid1(VALU_DEP_2)
	v_clz_i32_u32_e32 v167, v166
	v_cmp_eq_u32_e32 vcc_lo, 0, v177
	s_delay_alu instid0(VALU_DEP_2) | instskip(NEXT) | instid1(VALU_DEP_1)
	v_min_u32_e32 v167, 32, v167
	v_subrev_nc_u32_e32 v176, 28, v167
	v_sub_nc_u32_e32 v167, 29, v167
	s_delay_alu instid0(VALU_DEP_2) | instskip(NEXT) | instid1(VALU_DEP_1)
	v_lshlrev_b32_e32 v176, v176, v163
	v_dual_cndmask_b32 v167, v177, v167 :: v_dual_and_b32 v176, 7, v176
	s_delay_alu instid0(VALU_DEP_1) | instskip(NEXT) | instid1(VALU_DEP_2)
	v_lshl_add_u32 v167, v167, 23, 0x3b800000
	v_cndmask_b32_e32 v166, v166, v176, vcc_lo
	v_and_b32_e32 v176, 0x80000000, v11
	s_delay_alu instid0(VALU_DEP_2) | instskip(NEXT) | instid1(VALU_DEP_1)
	v_lshlrev_b32_e32 v166, 20, v166
	v_or3_b32 v166, v176, v167, v166
.LBB2_5550:                             ;   in Loop: Header=BB2_5106 Depth=3
	s_or_b32 exec_lo, exec_lo, s34
	s_delay_alu instid0(VALU_DEP_1) | instskip(SKIP_1) | instid1(VALU_DEP_1)
	v_dual_max_f32 v166, v166, v166 :: v_dual_max_f32 v165, v165, v165
	s_mov_b32 s14, 0
	v_max_f32_e32 v165, v165, v166
	s_branch .LBB2_5552
.LBB2_5551:                             ;   in Loop: Header=BB2_5106 Depth=3
	s_mov_b32 s14, -1
                                        ; implicit-def: $vgpr165
.LBB2_5552:                             ;   in Loop: Header=BB2_5106 Depth=3
	s_delay_alu instid0(SALU_CYCLE_1)
	s_and_b32 vcc_lo, exec_lo, s14
	s_cbranch_vccz .LBB2_5562
; %bb.5553:                             ;   in Loop: Header=BB2_5106 Depth=3
	s_mov_b32 s14, 0
	s_mov_b32 s35, exec_lo
                                        ; implicit-def: $sgpr34
	v_cmpx_lt_i16_e64 0x7f, v164
	s_xor_b32 s35, exec_lo, s35
	s_cbranch_execnz .LBB2_5816
; %bb.5554:                             ;   in Loop: Header=BB2_5106 Depth=3
	s_or_saveexec_b32 s35, s35
	v_mov_b32_e32 v165, s34
	s_xor_b32 exec_lo, exec_lo, s35
	s_cbranch_execnz .LBB2_5819
.LBB2_5555:                             ;   in Loop: Header=BB2_5106 Depth=3
	s_or_b32 exec_lo, exec_lo, s35
	s_and_saveexec_b32 s34, s14
	s_cbranch_execz .LBB2_5557
.LBB2_5556:                             ;   in Loop: Header=BB2_5106 Depth=3
	v_bfe_u32 v165, v15, 24, 3
	s_delay_alu instid0(VALU_DEP_1) | instskip(NEXT) | instid1(VALU_DEP_1)
	v_clz_i32_u32_e32 v166, v165
	v_min_u32_e32 v166, 32, v166
	s_delay_alu instid0(VALU_DEP_1) | instskip(SKIP_1) | instid1(VALU_DEP_2)
	v_subrev_nc_u32_e32 v167, 28, v166
	v_sub_nc_u32_e32 v166, 29, v166
	v_lshlrev_b32_e32 v164, v167, v164
	v_bfe_u32 v167, v15, 27, 4
	v_and_b32_e32 v15, 0x80000000, v15
	s_delay_alu instid0(VALU_DEP_3) | instskip(NEXT) | instid1(VALU_DEP_3)
	v_and_b32_e32 v164, 7, v164
	v_cmp_eq_u32_e32 vcc_lo, 0, v167
	v_cndmask_b32_e32 v166, v167, v166, vcc_lo
	s_delay_alu instid0(VALU_DEP_3) | instskip(NEXT) | instid1(VALU_DEP_2)
	v_cndmask_b32_e32 v164, v165, v164, vcc_lo
	v_lshl_add_u32 v165, v166, 23, 0x3b800000
	s_delay_alu instid0(VALU_DEP_2) | instskip(NEXT) | instid1(VALU_DEP_1)
	v_lshlrev_b32_e32 v164, 20, v164
	v_or3_b32 v165, v15, v165, v164
.LBB2_5557:                             ;   in Loop: Header=BB2_5106 Depth=3
	s_or_b32 exec_lo, exec_lo, s34
	s_mov_b32 s14, 0
	s_mov_b32 s35, exec_lo
                                        ; implicit-def: $sgpr34
	v_cmpx_lt_i16_e64 0x7f, v163
	s_xor_b32 s35, exec_lo, s35
	s_cbranch_execnz .LBB2_5820
; %bb.5558:                             ;   in Loop: Header=BB2_5106 Depth=3
	s_or_saveexec_b32 s35, s35
	v_mov_b32_e32 v15, s34
	s_xor_b32 exec_lo, exec_lo, s35
	s_cbranch_execnz .LBB2_5823
.LBB2_5559:                             ;   in Loop: Header=BB2_5106 Depth=3
	s_or_b32 exec_lo, exec_lo, s35
	s_and_saveexec_b32 s34, s14
	s_cbranch_execz .LBB2_5561
.LBB2_5560:                             ;   in Loop: Header=BB2_5106 Depth=3
	v_bfe_u32 v15, v11, 24, 3
	s_delay_alu instid0(VALU_DEP_1) | instskip(NEXT) | instid1(VALU_DEP_1)
	v_clz_i32_u32_e32 v164, v15
	v_min_u32_e32 v164, 32, v164
	s_delay_alu instid0(VALU_DEP_1) | instskip(SKIP_1) | instid1(VALU_DEP_2)
	v_subrev_nc_u32_e32 v166, 28, v164
	v_sub_nc_u32_e32 v164, 29, v164
	v_lshlrev_b32_e32 v163, v166, v163
	v_bfe_u32 v166, v11, 27, 4
	v_and_b32_e32 v11, 0x80000000, v11
	s_delay_alu instid0(VALU_DEP_2) | instskip(NEXT) | instid1(VALU_DEP_4)
	v_cmp_eq_u32_e32 vcc_lo, 0, v166
	v_dual_cndmask_b32 v164, v166, v164 :: v_dual_and_b32 v163, 7, v163
	s_delay_alu instid0(VALU_DEP_1) | instskip(NEXT) | instid1(VALU_DEP_2)
	v_cndmask_b32_e32 v15, v15, v163, vcc_lo
	v_lshl_add_u32 v163, v164, 23, 0x3b800000
	s_delay_alu instid0(VALU_DEP_2) | instskip(NEXT) | instid1(VALU_DEP_1)
	v_lshlrev_b32_e32 v15, 20, v15
	v_or3_b32 v15, v11, v163, v15
.LBB2_5561:                             ;   in Loop: Header=BB2_5106 Depth=3
	s_or_b32 exec_lo, exec_lo, s34
	s_delay_alu instid0(VALU_DEP_1) | instskip(SKIP_1) | instid1(VALU_DEP_1)
	v_max_f32_e32 v11, v15, v15
	v_max_f32_e32 v15, v165, v165
	v_min_f32_e32 v165, v15, v11
.LBB2_5562:                             ;   in Loop: Header=BB2_5106 Depth=3
	s_delay_alu instid0(VALU_DEP_1) | instskip(NEXT) | instid1(VALU_DEP_1)
	v_and_b32_e32 v11, 0x7f800000, v165
	v_cmp_ne_u32_e32 vcc_lo, 0x7f800000, v11
	v_mov_b32_e32 v11, 0x8000
	s_and_saveexec_b32 s34, vcc_lo
	s_cbranch_execz .LBB2_5105
; %bb.5563:                             ;   in Loop: Header=BB2_5106 Depth=3
	v_mov_b32_e32 v11, 0
	s_mov_b32 s35, exec_lo
	v_cmpx_ne_u32_e32 0, v165
	s_cbranch_execz .LBB2_5104
; %bb.5564:                             ;   in Loop: Header=BB2_5106 Depth=3
	v_bfe_u32 v11, v165, 23, 8
	v_and_b32_e32 v15, 0x7fffff, v165
	s_delay_alu instid0(VALU_DEP_2) | instskip(SKIP_1) | instid1(VALU_DEP_3)
	v_sub_nc_u32_e32 v163, 0x78, v11
	v_cmp_gt_u32_e32 vcc_lo, 0x79, v11
	v_or_b32_e32 v164, 0x800000, v15
	s_delay_alu instid0(VALU_DEP_3) | instskip(SKIP_2) | instid1(VALU_DEP_3)
	v_cndmask_b32_e32 v163, 0, v163, vcc_lo
	v_cmp_eq_u32_e32 vcc_lo, 0, v11
	v_add_nc_u32_e32 v11, 0xffffff89, v11
	v_cndmask_b32_e64 v163, v163, 0x77, vcc_lo
	v_cndmask_b32_e32 v15, v164, v15, vcc_lo
	s_delay_alu instid0(VALU_DEP_3) | instskip(NEXT) | instid1(VALU_DEP_3)
	v_cndmask_b32_e64 v11, v11, 0xffffff8a, vcc_lo
	v_lshl_add_u32 v164, 0x100000, v163, -1
	s_delay_alu instid0(VALU_DEP_3) | instskip(SKIP_1) | instid1(VALU_DEP_4)
	v_lshrrev_b32_e32 v166, v163, v15
	v_lshlrev_b32_e64 v176, v163, 0x80000
	v_add_nc_u32_e32 v163, v163, v11
	s_delay_alu instid0(VALU_DEP_4) | instskip(NEXT) | instid1(VALU_DEP_4)
	v_and_b32_e32 v15, v164, v15
	v_bfe_u32 v167, v166, 20, 1
	s_delay_alu instid0(VALU_DEP_2) | instskip(NEXT) | instid1(VALU_DEP_2)
	v_cmp_eq_u32_e64 s14, v15, v176
	v_add_nc_u32_e32 v164, -1, v167
	s_delay_alu instid0(VALU_DEP_1) | instskip(SKIP_2) | instid1(VALU_DEP_2)
	v_cndmask_b32_e64 v15, 0, v164, s14
	v_lshrrev_b32_e32 v164, 23, v166
	s_mov_b32 s14, exec_lo
	v_add_nc_u32_e32 v15, v15, v166
	s_delay_alu instid0(VALU_DEP_2) | instskip(NEXT) | instid1(VALU_DEP_2)
	v_xor_b32_e32 v164, 1, v164
	v_and_b32_e32 v11, 0xfffff, v15
	s_delay_alu instid0(VALU_DEP_1) | instskip(NEXT) | instid1(VALU_DEP_3)
	v_add_nc_u32_e32 v15, v11, v166
                                        ; implicit-def: $vgpr11
	v_cmpx_ne_u32_e64 v163, v164
	s_xor_b32 s14, exec_lo, s14
; %bb.5565:                             ;   in Loop: Header=BB2_5106 Depth=3
	s_delay_alu instid0(VALU_DEP_2) | instskip(SKIP_2) | instid1(VALU_DEP_2)
	v_cmp_lt_u32_e32 vcc_lo, 0xffffff, v15
	v_sub_nc_u32_e32 v11, v163, v164
	v_cndmask_b32_e64 v163, 0, 1, vcc_lo
	v_add_co_ci_u32_e32 v11, vcc_lo, 0, v11, vcc_lo
	s_delay_alu instid0(VALU_DEP_2)
	v_lshrrev_b32_e32 v15, v163, v15
; %bb.5566:                             ;   in Loop: Header=BB2_5106 Depth=3
	s_and_not1_saveexec_b32 s14, s14
	s_cbranch_execz .LBB2_5103
; %bb.5567:                             ;   in Loop: Header=BB2_5106 Depth=3
	s_delay_alu instid0(VALU_DEP_1)
	v_bfe_u32 v11, v15, 23, 1
	s_branch .LBB2_5103
.LBB2_5568:                             ;   in Loop: Header=BB2_5106 Depth=3
	s_mov_b32 s14, -1
	s_mov_b32 s36, exec_lo
                                        ; implicit-def: $sgpr34
	v_cmpx_eq_u16_e64 0x80, v147
; %bb.5569:                             ;   in Loop: Header=BB2_5106 Depth=3
	s_mov_b32 s34, 0x7f800001
	s_xor_b32 s14, exec_lo, -1
; %bb.5570:                             ;   in Loop: Header=BB2_5106 Depth=3
	s_or_b32 exec_lo, exec_lo, s36
	s_delay_alu instid0(SALU_CYCLE_1)
	s_and_b32 s14, s14, exec_lo
                                        ; implicit-def: $vgpr147
	s_or_saveexec_b32 s35, s35
	v_mov_b32_e32 v146, s34
	s_xor_b32 exec_lo, exec_lo, s35
	s_cbranch_execz .LBB2_5109
.LBB2_5571:                             ;   in Loop: Header=BB2_5106 Depth=3
	v_cmp_ne_u16_e64 vcc_lo, 0, v147
	v_mov_b32_e32 v146, 0
	s_and_not1_b32 s14, s14, exec_lo
	s_delay_alu instid0(VALU_DEP_2) | instskip(NEXT) | instid1(SALU_CYCLE_1)
	s_and_b32 vcc_lo, vcc_lo, exec_lo
	s_or_b32 s14, s14, vcc_lo
	s_or_b32 exec_lo, exec_lo, s35
	s_and_saveexec_b32 s34, s14
	s_cbranch_execnz .LBB2_5110
	s_branch .LBB2_5111
.LBB2_5572:                             ;   in Loop: Header=BB2_5106 Depth=3
	s_mov_b32 s14, -1
	s_mov_b32 s36, exec_lo
                                        ; implicit-def: $sgpr34
	v_cmpx_eq_u16_e64 0x80, v148
; %bb.5573:                             ;   in Loop: Header=BB2_5106 Depth=3
	s_mov_b32 s34, 0x7f800001
	s_xor_b32 s14, exec_lo, -1
; %bb.5574:                             ;   in Loop: Header=BB2_5106 Depth=3
	s_or_b32 exec_lo, exec_lo, s36
	s_delay_alu instid0(SALU_CYCLE_1)
	s_and_b32 s14, s14, exec_lo
                                        ; implicit-def: $vgpr148
	s_or_saveexec_b32 s35, s35
	v_mov_b32_e32 v147, s34
	s_xor_b32 exec_lo, exec_lo, s35
	s_cbranch_execz .LBB2_5113
.LBB2_5575:                             ;   in Loop: Header=BB2_5106 Depth=3
	v_cmp_ne_u16_e64 vcc_lo, 0, v148
	v_mov_b32_e32 v147, 0
	s_and_not1_b32 s14, s14, exec_lo
	s_delay_alu instid0(VALU_DEP_2) | instskip(NEXT) | instid1(SALU_CYCLE_1)
	s_and_b32 vcc_lo, vcc_lo, exec_lo
	s_or_b32 s14, s14, vcc_lo
	s_or_b32 exec_lo, exec_lo, s35
	s_and_saveexec_b32 s34, s14
	s_cbranch_execnz .LBB2_5114
	s_branch .LBB2_5115
.LBB2_5576:                             ;   in Loop: Header=BB2_5106 Depth=3
	s_mov_b32 s14, -1
	s_mov_b32 s36, exec_lo
                                        ; implicit-def: $sgpr34
	v_cmpx_eq_u16_e64 0x80, v147
; %bb.5577:                             ;   in Loop: Header=BB2_5106 Depth=3
	s_mov_b32 s34, 0x7f800001
	s_xor_b32 s14, exec_lo, -1
; %bb.5578:                             ;   in Loop: Header=BB2_5106 Depth=3
	s_or_b32 exec_lo, exec_lo, s36
	s_delay_alu instid0(SALU_CYCLE_1)
	s_and_b32 s14, s14, exec_lo
                                        ; implicit-def: $vgpr147
	s_or_saveexec_b32 s35, s35
	v_mov_b32_e32 v146, s34
	s_xor_b32 exec_lo, exec_lo, s35
	s_cbranch_execz .LBB2_5120
.LBB2_5579:                             ;   in Loop: Header=BB2_5106 Depth=3
	v_cmp_ne_u16_e64 vcc_lo, 0, v147
	v_mov_b32_e32 v146, 0
	s_and_not1_b32 s14, s14, exec_lo
	s_delay_alu instid0(VALU_DEP_2) | instskip(NEXT) | instid1(SALU_CYCLE_1)
	s_and_b32 vcc_lo, vcc_lo, exec_lo
	s_or_b32 s14, s14, vcc_lo
	s_or_b32 exec_lo, exec_lo, s35
	s_and_saveexec_b32 s34, s14
	s_cbranch_execnz .LBB2_5121
	s_branch .LBB2_5122
.LBB2_5580:                             ;   in Loop: Header=BB2_5106 Depth=3
	s_mov_b32 s14, -1
	s_mov_b32 s36, exec_lo
                                        ; implicit-def: $sgpr34
	v_cmpx_eq_u16_e64 0x80, v148
; %bb.5581:                             ;   in Loop: Header=BB2_5106 Depth=3
	s_mov_b32 s34, 0x7f800001
	s_xor_b32 s14, exec_lo, -1
; %bb.5582:                             ;   in Loop: Header=BB2_5106 Depth=3
	s_or_b32 exec_lo, exec_lo, s36
	s_delay_alu instid0(SALU_CYCLE_1)
	s_and_b32 s14, s14, exec_lo
                                        ; implicit-def: $vgpr148
	s_or_saveexec_b32 s35, s35
	v_mov_b32_e32 v147, s34
	s_xor_b32 exec_lo, exec_lo, s35
	s_cbranch_execz .LBB2_5124
.LBB2_5583:                             ;   in Loop: Header=BB2_5106 Depth=3
	v_cmp_ne_u16_e64 vcc_lo, 0, v148
	v_mov_b32_e32 v147, 0
	s_and_not1_b32 s14, s14, exec_lo
	s_delay_alu instid0(VALU_DEP_2) | instskip(NEXT) | instid1(SALU_CYCLE_1)
	s_and_b32 vcc_lo, vcc_lo, exec_lo
	s_or_b32 s14, s14, vcc_lo
	s_or_b32 exec_lo, exec_lo, s35
	s_and_saveexec_b32 s34, s14
	s_cbranch_execnz .LBB2_5125
	s_branch .LBB2_5126
.LBB2_5584:                             ;   in Loop: Header=BB2_5106 Depth=3
	s_mov_b32 s14, -1
	s_mov_b32 s36, exec_lo
                                        ; implicit-def: $sgpr34
	v_cmpx_eq_u16_e64 0x80, v148
; %bb.5585:                             ;   in Loop: Header=BB2_5106 Depth=3
	s_mov_b32 s34, 0x7f800001
	s_xor_b32 s14, exec_lo, -1
; %bb.5586:                             ;   in Loop: Header=BB2_5106 Depth=3
	s_or_b32 exec_lo, exec_lo, s36
	s_delay_alu instid0(SALU_CYCLE_1)
	s_and_b32 s14, s14, exec_lo
	s_or_saveexec_b32 s35, s35
	v_mov_b32_e32 v149, s34
	s_xor_b32 exec_lo, exec_lo, s35
	s_cbranch_execz .LBB2_5138
.LBB2_5587:                             ;   in Loop: Header=BB2_5106 Depth=3
	v_cmp_ne_u16_e64 vcc_lo, 0, v148
	v_mov_b32_e32 v149, 0
	s_and_not1_b32 s14, s14, exec_lo
	s_delay_alu instid0(VALU_DEP_2) | instskip(NEXT) | instid1(SALU_CYCLE_1)
	s_and_b32 vcc_lo, vcc_lo, exec_lo
	s_or_b32 s14, s14, vcc_lo
	s_or_b32 exec_lo, exec_lo, s35
	s_and_saveexec_b32 s34, s14
	s_cbranch_execnz .LBB2_5139
	s_branch .LBB2_5140
.LBB2_5588:                             ;   in Loop: Header=BB2_5106 Depth=3
	s_mov_b32 s14, -1
	s_mov_b32 s36, exec_lo
                                        ; implicit-def: $sgpr34
	v_cmpx_eq_u16_e64 0x80, v147
; %bb.5589:                             ;   in Loop: Header=BB2_5106 Depth=3
	s_mov_b32 s34, 0x7f800001
	s_xor_b32 s14, exec_lo, -1
; %bb.5590:                             ;   in Loop: Header=BB2_5106 Depth=3
	s_or_b32 exec_lo, exec_lo, s36
	s_delay_alu instid0(SALU_CYCLE_1)
	s_and_b32 s14, s14, exec_lo
	s_or_saveexec_b32 s35, s35
	v_mov_b32_e32 v150, s34
	s_xor_b32 exec_lo, exec_lo, s35
	s_cbranch_execz .LBB2_5142
.LBB2_5591:                             ;   in Loop: Header=BB2_5106 Depth=3
	v_cmp_ne_u16_e64 vcc_lo, 0, v147
	v_mov_b32_e32 v150, 0
	s_and_not1_b32 s14, s14, exec_lo
	s_delay_alu instid0(VALU_DEP_2) | instskip(NEXT) | instid1(SALU_CYCLE_1)
	s_and_b32 vcc_lo, vcc_lo, exec_lo
	s_or_b32 s14, s14, vcc_lo
	s_or_b32 exec_lo, exec_lo, s35
	s_and_saveexec_b32 s34, s14
	s_cbranch_execnz .LBB2_5143
	s_branch .LBB2_5144
.LBB2_5592:                             ;   in Loop: Header=BB2_5106 Depth=3
	s_mov_b32 s14, -1
	s_mov_b32 s36, exec_lo
                                        ; implicit-def: $sgpr34
	v_cmpx_eq_u16_e64 0x80, v148
; %bb.5593:                             ;   in Loop: Header=BB2_5106 Depth=3
	s_mov_b32 s34, 0x7f800001
	s_xor_b32 s14, exec_lo, -1
; %bb.5594:                             ;   in Loop: Header=BB2_5106 Depth=3
	s_or_b32 exec_lo, exec_lo, s36
	s_delay_alu instid0(SALU_CYCLE_1)
	s_and_b32 s14, s14, exec_lo
	s_or_saveexec_b32 s35, s35
	v_mov_b32_e32 v149, s34
	s_xor_b32 exec_lo, exec_lo, s35
	s_cbranch_execz .LBB2_5149
.LBB2_5595:                             ;   in Loop: Header=BB2_5106 Depth=3
	v_cmp_ne_u16_e64 vcc_lo, 0, v148
	v_mov_b32_e32 v149, 0
	s_and_not1_b32 s14, s14, exec_lo
	s_delay_alu instid0(VALU_DEP_2) | instskip(NEXT) | instid1(SALU_CYCLE_1)
	s_and_b32 vcc_lo, vcc_lo, exec_lo
	s_or_b32 s14, s14, vcc_lo
	s_or_b32 exec_lo, exec_lo, s35
	s_and_saveexec_b32 s34, s14
	s_cbranch_execnz .LBB2_5150
	s_branch .LBB2_5151
.LBB2_5596:                             ;   in Loop: Header=BB2_5106 Depth=3
	s_mov_b32 s14, -1
	s_mov_b32 s36, exec_lo
                                        ; implicit-def: $sgpr34
	v_cmpx_eq_u16_e64 0x80, v147
; %bb.5597:                             ;   in Loop: Header=BB2_5106 Depth=3
	s_mov_b32 s34, 0x7f800001
	s_xor_b32 s14, exec_lo, -1
; %bb.5598:                             ;   in Loop: Header=BB2_5106 Depth=3
	s_or_b32 exec_lo, exec_lo, s36
	s_delay_alu instid0(SALU_CYCLE_1)
	s_and_b32 s14, s14, exec_lo
	s_or_saveexec_b32 s35, s35
	v_mov_b32_e32 v148, s34
	s_xor_b32 exec_lo, exec_lo, s35
	s_cbranch_execz .LBB2_5153
.LBB2_5599:                             ;   in Loop: Header=BB2_5106 Depth=3
	v_cmp_ne_u16_e64 vcc_lo, 0, v147
	v_mov_b32_e32 v148, 0
	s_and_not1_b32 s14, s14, exec_lo
	s_delay_alu instid0(VALU_DEP_2) | instskip(NEXT) | instid1(SALU_CYCLE_1)
	s_and_b32 vcc_lo, vcc_lo, exec_lo
	s_or_b32 s14, s14, vcc_lo
	s_or_b32 exec_lo, exec_lo, s35
	s_and_saveexec_b32 s34, s14
	s_cbranch_execnz .LBB2_5154
	s_branch .LBB2_5155
.LBB2_5600:                             ;   in Loop: Header=BB2_5106 Depth=3
	s_mov_b32 s14, -1
	s_mov_b32 s36, exec_lo
                                        ; implicit-def: $sgpr34
	v_cmpx_eq_u16_e64 0x80, v151
; %bb.5601:                             ;   in Loop: Header=BB2_5106 Depth=3
	s_mov_b32 s34, 0x7f800001
	s_xor_b32 s14, exec_lo, -1
; %bb.5602:                             ;   in Loop: Header=BB2_5106 Depth=3
	s_or_b32 exec_lo, exec_lo, s36
	s_delay_alu instid0(SALU_CYCLE_1)
	s_and_b32 s14, s14, exec_lo
                                        ; implicit-def: $vgpr151
	s_or_saveexec_b32 s35, s35
	v_mov_b32_e32 v150, s34
	s_xor_b32 exec_lo, exec_lo, s35
	s_cbranch_execz .LBB2_5167
.LBB2_5603:                             ;   in Loop: Header=BB2_5106 Depth=3
	v_cmp_ne_u16_e64 vcc_lo, 0, v151
	v_mov_b32_e32 v150, 0
	s_and_not1_b32 s14, s14, exec_lo
	s_delay_alu instid0(VALU_DEP_2) | instskip(NEXT) | instid1(SALU_CYCLE_1)
	s_and_b32 vcc_lo, vcc_lo, exec_lo
	s_or_b32 s14, s14, vcc_lo
	s_or_b32 exec_lo, exec_lo, s35
	s_and_saveexec_b32 s34, s14
	s_cbranch_execnz .LBB2_5168
	s_branch .LBB2_5169
.LBB2_5604:                             ;   in Loop: Header=BB2_5106 Depth=3
	s_mov_b32 s14, -1
	s_mov_b32 s36, exec_lo
                                        ; implicit-def: $sgpr34
	v_cmpx_eq_u16_e64 0x80, v160
; %bb.5605:                             ;   in Loop: Header=BB2_5106 Depth=3
	s_mov_b32 s34, 0x7f800001
	s_xor_b32 s14, exec_lo, -1
; %bb.5606:                             ;   in Loop: Header=BB2_5106 Depth=3
	s_or_b32 exec_lo, exec_lo, s36
	s_delay_alu instid0(SALU_CYCLE_1)
	s_and_b32 s14, s14, exec_lo
                                        ; implicit-def: $vgpr160
	s_or_saveexec_b32 s35, s35
	v_mov_b32_e32 v151, s34
	s_xor_b32 exec_lo, exec_lo, s35
	s_cbranch_execz .LBB2_5171
.LBB2_5607:                             ;   in Loop: Header=BB2_5106 Depth=3
	v_cmp_ne_u16_e64 vcc_lo, 0, v160
	v_mov_b32_e32 v151, 0
	s_and_not1_b32 s14, s14, exec_lo
	s_delay_alu instid0(VALU_DEP_2) | instskip(NEXT) | instid1(SALU_CYCLE_1)
	s_and_b32 vcc_lo, vcc_lo, exec_lo
	s_or_b32 s14, s14, vcc_lo
	s_or_b32 exec_lo, exec_lo, s35
	s_and_saveexec_b32 s34, s14
	s_cbranch_execnz .LBB2_5172
	s_branch .LBB2_5173
.LBB2_5608:                             ;   in Loop: Header=BB2_5106 Depth=3
	s_mov_b32 s14, -1
	s_mov_b32 s36, exec_lo
                                        ; implicit-def: $sgpr34
	v_cmpx_eq_u16_e64 0x80, v151
; %bb.5609:                             ;   in Loop: Header=BB2_5106 Depth=3
	s_mov_b32 s34, 0x7f800001
	s_xor_b32 s14, exec_lo, -1
; %bb.5610:                             ;   in Loop: Header=BB2_5106 Depth=3
	s_or_b32 exec_lo, exec_lo, s36
	s_delay_alu instid0(SALU_CYCLE_1)
	s_and_b32 s14, s14, exec_lo
                                        ; implicit-def: $vgpr151
	s_or_saveexec_b32 s35, s35
	v_mov_b32_e32 v150, s34
	s_xor_b32 exec_lo, exec_lo, s35
	s_cbranch_execz .LBB2_5178
.LBB2_5611:                             ;   in Loop: Header=BB2_5106 Depth=3
	v_cmp_ne_u16_e64 vcc_lo, 0, v151
	v_mov_b32_e32 v150, 0
	s_and_not1_b32 s14, s14, exec_lo
	s_delay_alu instid0(VALU_DEP_2) | instskip(NEXT) | instid1(SALU_CYCLE_1)
	s_and_b32 vcc_lo, vcc_lo, exec_lo
	s_or_b32 s14, s14, vcc_lo
	s_or_b32 exec_lo, exec_lo, s35
	s_and_saveexec_b32 s34, s14
	s_cbranch_execnz .LBB2_5179
	s_branch .LBB2_5180
.LBB2_5612:                             ;   in Loop: Header=BB2_5106 Depth=3
	s_mov_b32 s14, -1
	s_mov_b32 s36, exec_lo
                                        ; implicit-def: $sgpr34
	v_cmpx_eq_u16_e64 0x80, v151
; %bb.5613:                             ;   in Loop: Header=BB2_5106 Depth=3
	s_mov_b32 s34, 0x7f800001
	s_xor_b32 s14, exec_lo, -1
; %bb.5614:                             ;   in Loop: Header=BB2_5106 Depth=3
	s_or_b32 exec_lo, exec_lo, s36
	s_delay_alu instid0(SALU_CYCLE_1)
	s_and_b32 s14, s14, exec_lo
                                        ; implicit-def: $vgpr151
	s_or_saveexec_b32 s35, s35
	v_mov_b32_e32 v149, s34
	s_xor_b32 exec_lo, exec_lo, s35
	s_cbranch_execz .LBB2_5182
.LBB2_5615:                             ;   in Loop: Header=BB2_5106 Depth=3
	v_cmp_ne_u16_e64 vcc_lo, 0, v151
	v_mov_b32_e32 v149, 0
	s_and_not1_b32 s14, s14, exec_lo
	s_delay_alu instid0(VALU_DEP_2) | instskip(NEXT) | instid1(SALU_CYCLE_1)
	s_and_b32 vcc_lo, vcc_lo, exec_lo
	s_or_b32 s14, s14, vcc_lo
	s_or_b32 exec_lo, exec_lo, s35
	s_and_saveexec_b32 s34, s14
	s_cbranch_execnz .LBB2_5183
	s_branch .LBB2_5184
.LBB2_5616:                             ;   in Loop: Header=BB2_5106 Depth=3
	s_mov_b32 s14, -1
	s_mov_b32 s36, exec_lo
                                        ; implicit-def: $sgpr34
	v_cmpx_eq_u16_e64 0x80, v150
; %bb.5617:                             ;   in Loop: Header=BB2_5106 Depth=3
	s_mov_b32 s34, 0x7f800001
	s_xor_b32 s14, exec_lo, -1
; %bb.5618:                             ;   in Loop: Header=BB2_5106 Depth=3
	s_or_b32 exec_lo, exec_lo, s36
	s_delay_alu instid0(SALU_CYCLE_1)
	s_and_b32 s14, s14, exec_lo
	s_or_saveexec_b32 s35, s35
	v_mov_b32_e32 v151, s34
	s_xor_b32 exec_lo, exec_lo, s35
	s_cbranch_execz .LBB2_5196
.LBB2_5619:                             ;   in Loop: Header=BB2_5106 Depth=3
	v_cmp_ne_u16_e64 vcc_lo, 0, v150
	v_mov_b32_e32 v151, 0
	s_and_not1_b32 s14, s14, exec_lo
	s_delay_alu instid0(VALU_DEP_2) | instskip(NEXT) | instid1(SALU_CYCLE_1)
	s_and_b32 vcc_lo, vcc_lo, exec_lo
	s_or_b32 s14, s14, vcc_lo
	s_or_b32 exec_lo, exec_lo, s35
	s_and_saveexec_b32 s34, s14
	s_cbranch_execnz .LBB2_5197
	s_branch .LBB2_5198
.LBB2_5620:                             ;   in Loop: Header=BB2_5106 Depth=3
	s_mov_b32 s14, -1
	s_mov_b32 s36, exec_lo
                                        ; implicit-def: $sgpr34
	v_cmpx_eq_u16_e64 0x80, v149
; %bb.5621:                             ;   in Loop: Header=BB2_5106 Depth=3
	s_mov_b32 s34, 0x7f800001
	s_xor_b32 s14, exec_lo, -1
; %bb.5622:                             ;   in Loop: Header=BB2_5106 Depth=3
	s_or_b32 exec_lo, exec_lo, s36
	s_delay_alu instid0(SALU_CYCLE_1)
	s_and_b32 s14, s14, exec_lo
	s_or_saveexec_b32 s35, s35
	v_mov_b32_e32 v160, s34
	s_xor_b32 exec_lo, exec_lo, s35
	s_cbranch_execz .LBB2_5200
.LBB2_5623:                             ;   in Loop: Header=BB2_5106 Depth=3
	v_cmp_ne_u16_e64 vcc_lo, 0, v149
	v_mov_b32_e32 v160, 0
	s_and_not1_b32 s14, s14, exec_lo
	s_delay_alu instid0(VALU_DEP_2) | instskip(NEXT) | instid1(SALU_CYCLE_1)
	s_and_b32 vcc_lo, vcc_lo, exec_lo
	s_or_b32 s14, s14, vcc_lo
	s_or_b32 exec_lo, exec_lo, s35
	s_and_saveexec_b32 s34, s14
	s_cbranch_execnz .LBB2_5201
	s_branch .LBB2_5202
.LBB2_5624:                             ;   in Loop: Header=BB2_5106 Depth=3
	s_mov_b32 s14, -1
	s_mov_b32 s36, exec_lo
                                        ; implicit-def: $sgpr34
	v_cmpx_eq_u16_e64 0x80, v150
; %bb.5625:                             ;   in Loop: Header=BB2_5106 Depth=3
	s_mov_b32 s34, 0x7f800001
	s_xor_b32 s14, exec_lo, -1
; %bb.5626:                             ;   in Loop: Header=BB2_5106 Depth=3
	s_or_b32 exec_lo, exec_lo, s36
	s_delay_alu instid0(SALU_CYCLE_1)
	s_and_b32 s14, s14, exec_lo
	s_or_saveexec_b32 s35, s35
	v_mov_b32_e32 v151, s34
	s_xor_b32 exec_lo, exec_lo, s35
	s_cbranch_execz .LBB2_5207
.LBB2_5627:                             ;   in Loop: Header=BB2_5106 Depth=3
	v_cmp_ne_u16_e64 vcc_lo, 0, v150
	v_mov_b32_e32 v151, 0
	s_and_not1_b32 s14, s14, exec_lo
	s_delay_alu instid0(VALU_DEP_2) | instskip(NEXT) | instid1(SALU_CYCLE_1)
	s_and_b32 vcc_lo, vcc_lo, exec_lo
	s_or_b32 s14, s14, vcc_lo
	s_or_b32 exec_lo, exec_lo, s35
	s_and_saveexec_b32 s34, s14
	s_cbranch_execnz .LBB2_5208
	s_branch .LBB2_5209
.LBB2_5628:                             ;   in Loop: Header=BB2_5106 Depth=3
	s_mov_b32 s14, -1
	s_mov_b32 s36, exec_lo
                                        ; implicit-def: $sgpr34
	v_cmpx_eq_u16_e64 0x80, v149
; %bb.5629:                             ;   in Loop: Header=BB2_5106 Depth=3
	s_mov_b32 s34, 0x7f800001
	s_xor_b32 s14, exec_lo, -1
; %bb.5630:                             ;   in Loop: Header=BB2_5106 Depth=3
	s_or_b32 exec_lo, exec_lo, s36
	s_delay_alu instid0(SALU_CYCLE_1)
	s_and_b32 s14, s14, exec_lo
	s_or_saveexec_b32 s35, s35
	v_mov_b32_e32 v12, s34
	s_xor_b32 exec_lo, exec_lo, s35
	s_cbranch_execz .LBB2_5211
.LBB2_5631:                             ;   in Loop: Header=BB2_5106 Depth=3
	v_cmp_ne_u16_e64 vcc_lo, 0, v149
	v_mov_b32_e32 v12, 0
	s_and_not1_b32 s14, s14, exec_lo
	s_delay_alu instid0(VALU_DEP_2) | instskip(NEXT) | instid1(SALU_CYCLE_1)
	s_and_b32 vcc_lo, vcc_lo, exec_lo
	s_or_b32 s14, s14, vcc_lo
	s_or_b32 exec_lo, exec_lo, s35
	s_and_saveexec_b32 s34, s14
	s_cbranch_execnz .LBB2_5212
	s_branch .LBB2_5213
.LBB2_5632:                             ;   in Loop: Header=BB2_5106 Depth=3
	s_mov_b32 s14, -1
	s_mov_b32 s36, exec_lo
                                        ; implicit-def: $sgpr34
	v_cmpx_eq_u16_e64 0x80, v149
; %bb.5633:                             ;   in Loop: Header=BB2_5106 Depth=3
	s_mov_b32 s34, 0x7f800001
	s_xor_b32 s14, exec_lo, -1
; %bb.5634:                             ;   in Loop: Header=BB2_5106 Depth=3
	s_or_b32 exec_lo, exec_lo, s36
	s_delay_alu instid0(SALU_CYCLE_1)
	s_and_b32 s14, s14, exec_lo
                                        ; implicit-def: $vgpr149
	s_or_saveexec_b32 s35, s35
	v_mov_b32_e32 v12, s34
	s_xor_b32 exec_lo, exec_lo, s35
	s_cbranch_execz .LBB2_5225
.LBB2_5635:                             ;   in Loop: Header=BB2_5106 Depth=3
	v_cmp_ne_u16_e64 vcc_lo, 0, v149
	v_mov_b32_e32 v12, 0
	s_and_not1_b32 s14, s14, exec_lo
	s_delay_alu instid0(VALU_DEP_2) | instskip(NEXT) | instid1(SALU_CYCLE_1)
	s_and_b32 vcc_lo, vcc_lo, exec_lo
	s_or_b32 s14, s14, vcc_lo
	s_or_b32 exec_lo, exec_lo, s35
	s_and_saveexec_b32 s34, s14
	s_cbranch_execnz .LBB2_5226
	s_branch .LBB2_5227
.LBB2_5636:                             ;   in Loop: Header=BB2_5106 Depth=3
	s_mov_b32 s14, -1
	s_mov_b32 s36, exec_lo
                                        ; implicit-def: $sgpr34
	v_cmpx_eq_u16_e64 0x80, v150
; %bb.5637:                             ;   in Loop: Header=BB2_5106 Depth=3
	s_mov_b32 s34, 0x7f800001
	s_xor_b32 s14, exec_lo, -1
; %bb.5638:                             ;   in Loop: Header=BB2_5106 Depth=3
	s_or_b32 exec_lo, exec_lo, s36
	s_delay_alu instid0(SALU_CYCLE_1)
	s_and_b32 s14, s14, exec_lo
                                        ; implicit-def: $vgpr150
	s_or_saveexec_b32 s35, s35
	v_mov_b32_e32 v149, s34
	s_xor_b32 exec_lo, exec_lo, s35
	s_cbranch_execz .LBB2_5229
.LBB2_5639:                             ;   in Loop: Header=BB2_5106 Depth=3
	v_cmp_ne_u16_e64 vcc_lo, 0, v150
	v_mov_b32_e32 v149, 0
	s_and_not1_b32 s14, s14, exec_lo
	s_delay_alu instid0(VALU_DEP_2) | instskip(NEXT) | instid1(SALU_CYCLE_1)
	s_and_b32 vcc_lo, vcc_lo, exec_lo
	s_or_b32 s14, s14, vcc_lo
	s_or_b32 exec_lo, exec_lo, s35
	s_and_saveexec_b32 s34, s14
	s_cbranch_execnz .LBB2_5230
	s_branch .LBB2_5231
.LBB2_5640:                             ;   in Loop: Header=BB2_5106 Depth=3
	s_mov_b32 s14, -1
	s_mov_b32 s36, exec_lo
                                        ; implicit-def: $sgpr34
	v_cmpx_eq_u16_e64 0x80, v149
; %bb.5641:                             ;   in Loop: Header=BB2_5106 Depth=3
	s_mov_b32 s34, 0x7f800001
	s_xor_b32 s14, exec_lo, -1
; %bb.5642:                             ;   in Loop: Header=BB2_5106 Depth=3
	s_or_b32 exec_lo, exec_lo, s36
	s_delay_alu instid0(SALU_CYCLE_1)
	s_and_b32 s14, s14, exec_lo
                                        ; implicit-def: $vgpr149
	s_or_saveexec_b32 s35, s35
	v_mov_b32_e32 v12, s34
	s_xor_b32 exec_lo, exec_lo, s35
	s_cbranch_execz .LBB2_5236
.LBB2_5643:                             ;   in Loop: Header=BB2_5106 Depth=3
	v_cmp_ne_u16_e64 vcc_lo, 0, v149
	v_mov_b32_e32 v12, 0
	s_and_not1_b32 s14, s14, exec_lo
	s_delay_alu instid0(VALU_DEP_2) | instskip(NEXT) | instid1(SALU_CYCLE_1)
	s_and_b32 vcc_lo, vcc_lo, exec_lo
	s_or_b32 s14, s14, vcc_lo
	s_or_b32 exec_lo, exec_lo, s35
	s_and_saveexec_b32 s34, s14
	s_cbranch_execnz .LBB2_5237
	s_branch .LBB2_5238
.LBB2_5644:                             ;   in Loop: Header=BB2_5106 Depth=3
	s_mov_b32 s14, -1
	s_mov_b32 s36, exec_lo
                                        ; implicit-def: $sgpr34
	v_cmpx_eq_u16_e64 0x80, v150
; %bb.5645:                             ;   in Loop: Header=BB2_5106 Depth=3
	s_mov_b32 s34, 0x7f800001
	s_xor_b32 s14, exec_lo, -1
; %bb.5646:                             ;   in Loop: Header=BB2_5106 Depth=3
	s_or_b32 exec_lo, exec_lo, s36
	s_delay_alu instid0(SALU_CYCLE_1)
	s_and_b32 s14, s14, exec_lo
                                        ; implicit-def: $vgpr150
	s_or_saveexec_b32 s35, s35
	v_mov_b32_e32 v149, s34
	s_xor_b32 exec_lo, exec_lo, s35
	s_cbranch_execz .LBB2_5240
.LBB2_5647:                             ;   in Loop: Header=BB2_5106 Depth=3
	v_cmp_ne_u16_e64 vcc_lo, 0, v150
	v_mov_b32_e32 v149, 0
	s_and_not1_b32 s14, s14, exec_lo
	s_delay_alu instid0(VALU_DEP_2) | instskip(NEXT) | instid1(SALU_CYCLE_1)
	s_and_b32 vcc_lo, vcc_lo, exec_lo
	s_or_b32 s14, s14, vcc_lo
	s_or_b32 exec_lo, exec_lo, s35
	s_and_saveexec_b32 s34, s14
	s_cbranch_execnz .LBB2_5241
	s_branch .LBB2_5242
.LBB2_5648:                             ;   in Loop: Header=BB2_5106 Depth=3
	s_mov_b32 s14, -1
	s_mov_b32 s36, exec_lo
                                        ; implicit-def: $sgpr34
	v_cmpx_eq_u16_e64 0x80, v150
; %bb.5649:                             ;   in Loop: Header=BB2_5106 Depth=3
	s_mov_b32 s34, 0x7f800001
	s_xor_b32 s14, exec_lo, -1
; %bb.5650:                             ;   in Loop: Header=BB2_5106 Depth=3
	s_or_b32 exec_lo, exec_lo, s36
	s_delay_alu instid0(SALU_CYCLE_1)
	s_and_b32 s14, s14, exec_lo
	s_or_saveexec_b32 s35, s35
	v_mov_b32_e32 v151, s34
	s_xor_b32 exec_lo, exec_lo, s35
	s_cbranch_execz .LBB2_5254
.LBB2_5651:                             ;   in Loop: Header=BB2_5106 Depth=3
	v_cmp_ne_u16_e64 vcc_lo, 0, v150
	v_mov_b32_e32 v151, 0
	s_and_not1_b32 s14, s14, exec_lo
	s_delay_alu instid0(VALU_DEP_2) | instskip(NEXT) | instid1(SALU_CYCLE_1)
	s_and_b32 vcc_lo, vcc_lo, exec_lo
	s_or_b32 s14, s14, vcc_lo
	s_or_b32 exec_lo, exec_lo, s35
	s_and_saveexec_b32 s34, s14
	s_cbranch_execnz .LBB2_5255
	s_branch .LBB2_5256
.LBB2_5652:                             ;   in Loop: Header=BB2_5106 Depth=3
	s_mov_b32 s14, -1
	s_mov_b32 s36, exec_lo
                                        ; implicit-def: $sgpr34
	v_cmpx_eq_u16_e64 0x80, v149
; %bb.5653:                             ;   in Loop: Header=BB2_5106 Depth=3
	s_mov_b32 s34, 0x7f800001
	s_xor_b32 s14, exec_lo, -1
; %bb.5654:                             ;   in Loop: Header=BB2_5106 Depth=3
	s_or_b32 exec_lo, exec_lo, s36
	s_delay_alu instid0(SALU_CYCLE_1)
	s_and_b32 s14, s14, exec_lo
	s_or_saveexec_b32 s35, s35
	v_mov_b32_e32 v160, s34
	s_xor_b32 exec_lo, exec_lo, s35
	s_cbranch_execz .LBB2_5258
.LBB2_5655:                             ;   in Loop: Header=BB2_5106 Depth=3
	v_cmp_ne_u16_e64 vcc_lo, 0, v149
	v_mov_b32_e32 v160, 0
	s_and_not1_b32 s14, s14, exec_lo
	s_delay_alu instid0(VALU_DEP_2) | instskip(NEXT) | instid1(SALU_CYCLE_1)
	s_and_b32 vcc_lo, vcc_lo, exec_lo
	s_or_b32 s14, s14, vcc_lo
	s_or_b32 exec_lo, exec_lo, s35
	s_and_saveexec_b32 s34, s14
	s_cbranch_execnz .LBB2_5259
	s_branch .LBB2_5260
.LBB2_5656:                             ;   in Loop: Header=BB2_5106 Depth=3
	s_mov_b32 s14, -1
	s_mov_b32 s36, exec_lo
                                        ; implicit-def: $sgpr34
	v_cmpx_eq_u16_e64 0x80, v150
; %bb.5657:                             ;   in Loop: Header=BB2_5106 Depth=3
	s_mov_b32 s34, 0x7f800001
	s_xor_b32 s14, exec_lo, -1
; %bb.5658:                             ;   in Loop: Header=BB2_5106 Depth=3
	s_or_b32 exec_lo, exec_lo, s36
	s_delay_alu instid0(SALU_CYCLE_1)
	s_and_b32 s14, s14, exec_lo
	s_or_saveexec_b32 s35, s35
	v_mov_b32_e32 v151, s34
	s_xor_b32 exec_lo, exec_lo, s35
	s_cbranch_execz .LBB2_5265
.LBB2_5659:                             ;   in Loop: Header=BB2_5106 Depth=3
	v_cmp_ne_u16_e64 vcc_lo, 0, v150
	v_mov_b32_e32 v151, 0
	s_and_not1_b32 s14, s14, exec_lo
	s_delay_alu instid0(VALU_DEP_2) | instskip(NEXT) | instid1(SALU_CYCLE_1)
	s_and_b32 vcc_lo, vcc_lo, exec_lo
	s_or_b32 s14, s14, vcc_lo
	s_or_b32 exec_lo, exec_lo, s35
	s_and_saveexec_b32 s34, s14
	s_cbranch_execnz .LBB2_5266
	s_branch .LBB2_5267
.LBB2_5660:                             ;   in Loop: Header=BB2_5106 Depth=3
	s_mov_b32 s14, -1
	s_mov_b32 s36, exec_lo
                                        ; implicit-def: $sgpr34
	v_cmpx_eq_u16_e64 0x80, v149
; %bb.5661:                             ;   in Loop: Header=BB2_5106 Depth=3
	s_mov_b32 s34, 0x7f800001
	s_xor_b32 s14, exec_lo, -1
; %bb.5662:                             ;   in Loop: Header=BB2_5106 Depth=3
	s_or_b32 exec_lo, exec_lo, s36
	s_delay_alu instid0(SALU_CYCLE_1)
	s_and_b32 s14, s14, exec_lo
	s_or_saveexec_b32 s35, s35
	v_mov_b32_e32 v150, s34
	s_xor_b32 exec_lo, exec_lo, s35
	s_cbranch_execz .LBB2_5269
.LBB2_5663:                             ;   in Loop: Header=BB2_5106 Depth=3
	v_cmp_ne_u16_e64 vcc_lo, 0, v149
	v_mov_b32_e32 v150, 0
	s_and_not1_b32 s14, s14, exec_lo
	s_delay_alu instid0(VALU_DEP_2) | instskip(NEXT) | instid1(SALU_CYCLE_1)
	s_and_b32 vcc_lo, vcc_lo, exec_lo
	s_or_b32 s14, s14, vcc_lo
	s_or_b32 exec_lo, exec_lo, s35
	s_and_saveexec_b32 s34, s14
	s_cbranch_execnz .LBB2_5270
	s_branch .LBB2_5271
.LBB2_5664:                             ;   in Loop: Header=BB2_5106 Depth=3
	s_mov_b32 s14, -1
	s_mov_b32 s36, exec_lo
                                        ; implicit-def: $sgpr34
	v_cmpx_eq_u16_e64 0x80, v161
; %bb.5665:                             ;   in Loop: Header=BB2_5106 Depth=3
	s_mov_b32 s34, 0x7f800001
	s_xor_b32 s14, exec_lo, -1
; %bb.5666:                             ;   in Loop: Header=BB2_5106 Depth=3
	s_or_b32 exec_lo, exec_lo, s36
	s_delay_alu instid0(SALU_CYCLE_1)
	s_and_b32 s14, s14, exec_lo
                                        ; implicit-def: $vgpr161
	s_or_saveexec_b32 s35, s35
	v_mov_b32_e32 v160, s34
	s_xor_b32 exec_lo, exec_lo, s35
	s_cbranch_execz .LBB2_5283
.LBB2_5667:                             ;   in Loop: Header=BB2_5106 Depth=3
	v_cmp_ne_u16_e64 vcc_lo, 0, v161
	v_mov_b32_e32 v160, 0
	s_and_not1_b32 s14, s14, exec_lo
	s_delay_alu instid0(VALU_DEP_2) | instskip(NEXT) | instid1(SALU_CYCLE_1)
	s_and_b32 vcc_lo, vcc_lo, exec_lo
	s_or_b32 s14, s14, vcc_lo
	s_or_b32 exec_lo, exec_lo, s35
	s_and_saveexec_b32 s34, s14
	s_cbranch_execnz .LBB2_5284
	s_branch .LBB2_5285
.LBB2_5668:                             ;   in Loop: Header=BB2_5106 Depth=3
	s_mov_b32 s14, -1
	s_mov_b32 s36, exec_lo
                                        ; implicit-def: $sgpr34
	v_cmpx_eq_u16_e64 0x80, v162
; %bb.5669:                             ;   in Loop: Header=BB2_5106 Depth=3
	s_mov_b32 s34, 0x7f800001
	s_xor_b32 s14, exec_lo, -1
; %bb.5670:                             ;   in Loop: Header=BB2_5106 Depth=3
	s_or_b32 exec_lo, exec_lo, s36
	s_delay_alu instid0(SALU_CYCLE_1)
	s_and_b32 s14, s14, exec_lo
                                        ; implicit-def: $vgpr162
	s_or_saveexec_b32 s35, s35
	v_mov_b32_e32 v161, s34
	s_xor_b32 exec_lo, exec_lo, s35
	s_cbranch_execz .LBB2_5287
.LBB2_5671:                             ;   in Loop: Header=BB2_5106 Depth=3
	v_cmp_ne_u16_e64 vcc_lo, 0, v162
	v_mov_b32_e32 v161, 0
	s_and_not1_b32 s14, s14, exec_lo
	s_delay_alu instid0(VALU_DEP_2) | instskip(NEXT) | instid1(SALU_CYCLE_1)
	s_and_b32 vcc_lo, vcc_lo, exec_lo
	s_or_b32 s14, s14, vcc_lo
	s_or_b32 exec_lo, exec_lo, s35
	s_and_saveexec_b32 s34, s14
	s_cbranch_execnz .LBB2_5288
	s_branch .LBB2_5289
.LBB2_5672:                             ;   in Loop: Header=BB2_5106 Depth=3
	s_mov_b32 s14, -1
	s_mov_b32 s36, exec_lo
                                        ; implicit-def: $sgpr34
	v_cmpx_eq_u16_e64 0x80, v161
; %bb.5673:                             ;   in Loop: Header=BB2_5106 Depth=3
	s_mov_b32 s34, 0x7f800001
	s_xor_b32 s14, exec_lo, -1
; %bb.5674:                             ;   in Loop: Header=BB2_5106 Depth=3
	s_or_b32 exec_lo, exec_lo, s36
	s_delay_alu instid0(SALU_CYCLE_1)
	s_and_b32 s14, s14, exec_lo
                                        ; implicit-def: $vgpr161
	s_or_saveexec_b32 s35, s35
	v_mov_b32_e32 v160, s34
	s_xor_b32 exec_lo, exec_lo, s35
	s_cbranch_execz .LBB2_5294
.LBB2_5675:                             ;   in Loop: Header=BB2_5106 Depth=3
	v_cmp_ne_u16_e64 vcc_lo, 0, v161
	v_mov_b32_e32 v160, 0
	s_and_not1_b32 s14, s14, exec_lo
	s_delay_alu instid0(VALU_DEP_2) | instskip(NEXT) | instid1(SALU_CYCLE_1)
	s_and_b32 vcc_lo, vcc_lo, exec_lo
	s_or_b32 s14, s14, vcc_lo
	s_or_b32 exec_lo, exec_lo, s35
	s_and_saveexec_b32 s34, s14
	s_cbranch_execnz .LBB2_5295
	s_branch .LBB2_5296
.LBB2_5676:                             ;   in Loop: Header=BB2_5106 Depth=3
	s_mov_b32 s14, -1
	s_mov_b32 s36, exec_lo
                                        ; implicit-def: $sgpr34
	v_cmpx_eq_u16_e64 0x80, v161
; %bb.5677:                             ;   in Loop: Header=BB2_5106 Depth=3
	s_mov_b32 s34, 0x7f800001
	s_xor_b32 s14, exec_lo, -1
; %bb.5678:                             ;   in Loop: Header=BB2_5106 Depth=3
	s_or_b32 exec_lo, exec_lo, s36
	s_delay_alu instid0(SALU_CYCLE_1)
	s_and_b32 s14, s14, exec_lo
                                        ; implicit-def: $vgpr161
	s_or_saveexec_b32 s35, s35
	v_mov_b32_e32 v151, s34
	s_xor_b32 exec_lo, exec_lo, s35
	s_cbranch_execz .LBB2_5298
.LBB2_5679:                             ;   in Loop: Header=BB2_5106 Depth=3
	v_cmp_ne_u16_e64 vcc_lo, 0, v161
	v_mov_b32_e32 v151, 0
	s_and_not1_b32 s14, s14, exec_lo
	s_delay_alu instid0(VALU_DEP_2) | instskip(NEXT) | instid1(SALU_CYCLE_1)
	s_and_b32 vcc_lo, vcc_lo, exec_lo
	s_or_b32 s14, s14, vcc_lo
	s_or_b32 exec_lo, exec_lo, s35
	s_and_saveexec_b32 s34, s14
	s_cbranch_execnz .LBB2_5299
	s_branch .LBB2_5300
.LBB2_5680:                             ;   in Loop: Header=BB2_5106 Depth=3
	s_mov_b32 s14, -1
	s_mov_b32 s36, exec_lo
                                        ; implicit-def: $sgpr34
	v_cmpx_eq_u16_e64 0x80, v160
; %bb.5681:                             ;   in Loop: Header=BB2_5106 Depth=3
	s_mov_b32 s34, 0x7f800001
	s_xor_b32 s14, exec_lo, -1
; %bb.5682:                             ;   in Loop: Header=BB2_5106 Depth=3
	s_or_b32 exec_lo, exec_lo, s36
	s_delay_alu instid0(SALU_CYCLE_1)
	s_and_b32 s14, s14, exec_lo
	s_or_saveexec_b32 s35, s35
	v_mov_b32_e32 v161, s34
	s_xor_b32 exec_lo, exec_lo, s35
	s_cbranch_execz .LBB2_5312
.LBB2_5683:                             ;   in Loop: Header=BB2_5106 Depth=3
	v_cmp_ne_u16_e64 vcc_lo, 0, v160
	v_mov_b32_e32 v161, 0
	s_and_not1_b32 s14, s14, exec_lo
	s_delay_alu instid0(VALU_DEP_2) | instskip(NEXT) | instid1(SALU_CYCLE_1)
	s_and_b32 vcc_lo, vcc_lo, exec_lo
	s_or_b32 s14, s14, vcc_lo
	s_or_b32 exec_lo, exec_lo, s35
	s_and_saveexec_b32 s34, s14
	s_cbranch_execnz .LBB2_5313
	s_branch .LBB2_5314
.LBB2_5684:                             ;   in Loop: Header=BB2_5106 Depth=3
	s_mov_b32 s14, -1
	s_mov_b32 s36, exec_lo
                                        ; implicit-def: $sgpr34
	v_cmpx_eq_u16_e64 0x80, v151
; %bb.5685:                             ;   in Loop: Header=BB2_5106 Depth=3
	s_mov_b32 s34, 0x7f800001
	s_xor_b32 s14, exec_lo, -1
; %bb.5686:                             ;   in Loop: Header=BB2_5106 Depth=3
	s_or_b32 exec_lo, exec_lo, s36
	s_delay_alu instid0(SALU_CYCLE_1)
	s_and_b32 s14, s14, exec_lo
	s_or_saveexec_b32 s35, s35
	v_mov_b32_e32 v162, s34
	s_xor_b32 exec_lo, exec_lo, s35
	s_cbranch_execz .LBB2_5316
.LBB2_5687:                             ;   in Loop: Header=BB2_5106 Depth=3
	v_cmp_ne_u16_e64 vcc_lo, 0, v151
	v_mov_b32_e32 v162, 0
	s_and_not1_b32 s14, s14, exec_lo
	s_delay_alu instid0(VALU_DEP_2) | instskip(NEXT) | instid1(SALU_CYCLE_1)
	s_and_b32 vcc_lo, vcc_lo, exec_lo
	s_or_b32 s14, s14, vcc_lo
	s_or_b32 exec_lo, exec_lo, s35
	s_and_saveexec_b32 s34, s14
	s_cbranch_execnz .LBB2_5317
	s_branch .LBB2_5318
.LBB2_5688:                             ;   in Loop: Header=BB2_5106 Depth=3
	s_mov_b32 s14, -1
	s_mov_b32 s36, exec_lo
                                        ; implicit-def: $sgpr34
	v_cmpx_eq_u16_e64 0x80, v160
; %bb.5689:                             ;   in Loop: Header=BB2_5106 Depth=3
	s_mov_b32 s34, 0x7f800001
	s_xor_b32 s14, exec_lo, -1
; %bb.5690:                             ;   in Loop: Header=BB2_5106 Depth=3
	s_or_b32 exec_lo, exec_lo, s36
	s_delay_alu instid0(SALU_CYCLE_1)
	s_and_b32 s14, s14, exec_lo
	s_or_saveexec_b32 s35, s35
	v_mov_b32_e32 v161, s34
	s_xor_b32 exec_lo, exec_lo, s35
	s_cbranch_execz .LBB2_5323
.LBB2_5691:                             ;   in Loop: Header=BB2_5106 Depth=3
	v_cmp_ne_u16_e64 vcc_lo, 0, v160
	v_mov_b32_e32 v161, 0
	s_and_not1_b32 s14, s14, exec_lo
	s_delay_alu instid0(VALU_DEP_2) | instskip(NEXT) | instid1(SALU_CYCLE_1)
	s_and_b32 vcc_lo, vcc_lo, exec_lo
	s_or_b32 s14, s14, vcc_lo
	s_or_b32 exec_lo, exec_lo, s35
	s_and_saveexec_b32 s34, s14
	s_cbranch_execnz .LBB2_5324
	s_branch .LBB2_5325
.LBB2_5692:                             ;   in Loop: Header=BB2_5106 Depth=3
	s_mov_b32 s14, -1
	s_mov_b32 s36, exec_lo
                                        ; implicit-def: $sgpr34
	v_cmpx_eq_u16_e64 0x80, v151
; %bb.5693:                             ;   in Loop: Header=BB2_5106 Depth=3
	s_mov_b32 s34, 0x7f800001
	s_xor_b32 s14, exec_lo, -1
; %bb.5694:                             ;   in Loop: Header=BB2_5106 Depth=3
	s_or_b32 exec_lo, exec_lo, s36
	s_delay_alu instid0(SALU_CYCLE_1)
	s_and_b32 s14, s14, exec_lo
	s_or_saveexec_b32 s35, s35
	v_mov_b32_e32 v13, s34
	s_xor_b32 exec_lo, exec_lo, s35
	s_cbranch_execz .LBB2_5327
.LBB2_5695:                             ;   in Loop: Header=BB2_5106 Depth=3
	v_cmp_ne_u16_e64 vcc_lo, 0, v151
	v_mov_b32_e32 v13, 0
	s_and_not1_b32 s14, s14, exec_lo
	s_delay_alu instid0(VALU_DEP_2) | instskip(NEXT) | instid1(SALU_CYCLE_1)
	s_and_b32 vcc_lo, vcc_lo, exec_lo
	s_or_b32 s14, s14, vcc_lo
	s_or_b32 exec_lo, exec_lo, s35
	s_and_saveexec_b32 s34, s14
	s_cbranch_execnz .LBB2_5328
	s_branch .LBB2_5329
.LBB2_5696:                             ;   in Loop: Header=BB2_5106 Depth=3
	s_mov_b32 s14, -1
	s_mov_b32 s36, exec_lo
                                        ; implicit-def: $sgpr34
	v_cmpx_eq_u16_e64 0x80, v151
; %bb.5697:                             ;   in Loop: Header=BB2_5106 Depth=3
	s_mov_b32 s34, 0x7f800001
	s_xor_b32 s14, exec_lo, -1
; %bb.5698:                             ;   in Loop: Header=BB2_5106 Depth=3
	s_or_b32 exec_lo, exec_lo, s36
	s_delay_alu instid0(SALU_CYCLE_1)
	s_and_b32 s14, s14, exec_lo
                                        ; implicit-def: $vgpr151
	s_or_saveexec_b32 s35, s35
	v_mov_b32_e32 v13, s34
	s_xor_b32 exec_lo, exec_lo, s35
	s_cbranch_execz .LBB2_5341
.LBB2_5699:                             ;   in Loop: Header=BB2_5106 Depth=3
	v_cmp_ne_u16_e64 vcc_lo, 0, v151
	v_mov_b32_e32 v13, 0
	s_and_not1_b32 s14, s14, exec_lo
	s_delay_alu instid0(VALU_DEP_2) | instskip(NEXT) | instid1(SALU_CYCLE_1)
	s_and_b32 vcc_lo, vcc_lo, exec_lo
	s_or_b32 s14, s14, vcc_lo
	s_or_b32 exec_lo, exec_lo, s35
	s_and_saveexec_b32 s34, s14
	s_cbranch_execnz .LBB2_5342
	s_branch .LBB2_5343
.LBB2_5700:                             ;   in Loop: Header=BB2_5106 Depth=3
	s_mov_b32 s14, -1
	s_mov_b32 s36, exec_lo
                                        ; implicit-def: $sgpr34
	v_cmpx_eq_u16_e64 0x80, v160
; %bb.5701:                             ;   in Loop: Header=BB2_5106 Depth=3
	s_mov_b32 s34, 0x7f800001
	s_xor_b32 s14, exec_lo, -1
; %bb.5702:                             ;   in Loop: Header=BB2_5106 Depth=3
	s_or_b32 exec_lo, exec_lo, s36
	s_delay_alu instid0(SALU_CYCLE_1)
	s_and_b32 s14, s14, exec_lo
                                        ; implicit-def: $vgpr160
	s_or_saveexec_b32 s35, s35
	v_mov_b32_e32 v151, s34
	s_xor_b32 exec_lo, exec_lo, s35
	s_cbranch_execz .LBB2_5345
.LBB2_5703:                             ;   in Loop: Header=BB2_5106 Depth=3
	v_cmp_ne_u16_e64 vcc_lo, 0, v160
	v_mov_b32_e32 v151, 0
	s_and_not1_b32 s14, s14, exec_lo
	s_delay_alu instid0(VALU_DEP_2) | instskip(NEXT) | instid1(SALU_CYCLE_1)
	s_and_b32 vcc_lo, vcc_lo, exec_lo
	s_or_b32 s14, s14, vcc_lo
	s_or_b32 exec_lo, exec_lo, s35
	s_and_saveexec_b32 s34, s14
	s_cbranch_execnz .LBB2_5346
	s_branch .LBB2_5347
.LBB2_5704:                             ;   in Loop: Header=BB2_5106 Depth=3
	s_mov_b32 s14, -1
	s_mov_b32 s36, exec_lo
                                        ; implicit-def: $sgpr34
	v_cmpx_eq_u16_e64 0x80, v151
; %bb.5705:                             ;   in Loop: Header=BB2_5106 Depth=3
	s_mov_b32 s34, 0x7f800001
	s_xor_b32 s14, exec_lo, -1
; %bb.5706:                             ;   in Loop: Header=BB2_5106 Depth=3
	s_or_b32 exec_lo, exec_lo, s36
	s_delay_alu instid0(SALU_CYCLE_1)
	s_and_b32 s14, s14, exec_lo
                                        ; implicit-def: $vgpr151
	s_or_saveexec_b32 s35, s35
	v_mov_b32_e32 v13, s34
	s_xor_b32 exec_lo, exec_lo, s35
	s_cbranch_execz .LBB2_5352
.LBB2_5707:                             ;   in Loop: Header=BB2_5106 Depth=3
	v_cmp_ne_u16_e64 vcc_lo, 0, v151
	v_mov_b32_e32 v13, 0
	s_and_not1_b32 s14, s14, exec_lo
	s_delay_alu instid0(VALU_DEP_2) | instskip(NEXT) | instid1(SALU_CYCLE_1)
	s_and_b32 vcc_lo, vcc_lo, exec_lo
	s_or_b32 s14, s14, vcc_lo
	s_or_b32 exec_lo, exec_lo, s35
	s_and_saveexec_b32 s34, s14
	s_cbranch_execnz .LBB2_5353
	s_branch .LBB2_5354
.LBB2_5708:                             ;   in Loop: Header=BB2_5106 Depth=3
	s_mov_b32 s14, -1
	s_mov_b32 s36, exec_lo
                                        ; implicit-def: $sgpr34
	v_cmpx_eq_u16_e64 0x80, v160
; %bb.5709:                             ;   in Loop: Header=BB2_5106 Depth=3
	s_mov_b32 s34, 0x7f800001
	s_xor_b32 s14, exec_lo, -1
; %bb.5710:                             ;   in Loop: Header=BB2_5106 Depth=3
	s_or_b32 exec_lo, exec_lo, s36
	s_delay_alu instid0(SALU_CYCLE_1)
	s_and_b32 s14, s14, exec_lo
                                        ; implicit-def: $vgpr160
	s_or_saveexec_b32 s35, s35
	v_mov_b32_e32 v151, s34
	s_xor_b32 exec_lo, exec_lo, s35
	s_cbranch_execz .LBB2_5356
.LBB2_5711:                             ;   in Loop: Header=BB2_5106 Depth=3
	v_cmp_ne_u16_e64 vcc_lo, 0, v160
	v_mov_b32_e32 v151, 0
	s_and_not1_b32 s14, s14, exec_lo
	s_delay_alu instid0(VALU_DEP_2) | instskip(NEXT) | instid1(SALU_CYCLE_1)
	s_and_b32 vcc_lo, vcc_lo, exec_lo
	s_or_b32 s14, s14, vcc_lo
	s_or_b32 exec_lo, exec_lo, s35
	s_and_saveexec_b32 s34, s14
	s_cbranch_execnz .LBB2_5357
	s_branch .LBB2_5358
.LBB2_5712:                             ;   in Loop: Header=BB2_5106 Depth=3
	s_mov_b32 s14, -1
	s_mov_b32 s36, exec_lo
                                        ; implicit-def: $sgpr34
	v_cmpx_eq_u16_e64 0x80, v160
; %bb.5713:                             ;   in Loop: Header=BB2_5106 Depth=3
	s_mov_b32 s34, 0x7f800001
	s_xor_b32 s14, exec_lo, -1
; %bb.5714:                             ;   in Loop: Header=BB2_5106 Depth=3
	s_or_b32 exec_lo, exec_lo, s36
	s_delay_alu instid0(SALU_CYCLE_1)
	s_and_b32 s14, s14, exec_lo
	s_or_saveexec_b32 s35, s35
	v_mov_b32_e32 v161, s34
	s_xor_b32 exec_lo, exec_lo, s35
	s_cbranch_execz .LBB2_5370
.LBB2_5715:                             ;   in Loop: Header=BB2_5106 Depth=3
	v_cmp_ne_u16_e64 vcc_lo, 0, v160
	v_mov_b32_e32 v161, 0
	s_and_not1_b32 s14, s14, exec_lo
	s_delay_alu instid0(VALU_DEP_2) | instskip(NEXT) | instid1(SALU_CYCLE_1)
	s_and_b32 vcc_lo, vcc_lo, exec_lo
	s_or_b32 s14, s14, vcc_lo
	s_or_b32 exec_lo, exec_lo, s35
	s_and_saveexec_b32 s34, s14
	s_cbranch_execnz .LBB2_5371
	s_branch .LBB2_5372
.LBB2_5716:                             ;   in Loop: Header=BB2_5106 Depth=3
	s_mov_b32 s14, -1
	s_mov_b32 s36, exec_lo
                                        ; implicit-def: $sgpr34
	v_cmpx_eq_u16_e64 0x80, v151
; %bb.5717:                             ;   in Loop: Header=BB2_5106 Depth=3
	s_mov_b32 s34, 0x7f800001
	s_xor_b32 s14, exec_lo, -1
; %bb.5718:                             ;   in Loop: Header=BB2_5106 Depth=3
	s_or_b32 exec_lo, exec_lo, s36
	s_delay_alu instid0(SALU_CYCLE_1)
	s_and_b32 s14, s14, exec_lo
	s_or_saveexec_b32 s35, s35
	v_mov_b32_e32 v162, s34
	s_xor_b32 exec_lo, exec_lo, s35
	s_cbranch_execz .LBB2_5374
.LBB2_5719:                             ;   in Loop: Header=BB2_5106 Depth=3
	v_cmp_ne_u16_e64 vcc_lo, 0, v151
	v_mov_b32_e32 v162, 0
	s_and_not1_b32 s14, s14, exec_lo
	s_delay_alu instid0(VALU_DEP_2) | instskip(NEXT) | instid1(SALU_CYCLE_1)
	s_and_b32 vcc_lo, vcc_lo, exec_lo
	s_or_b32 s14, s14, vcc_lo
	s_or_b32 exec_lo, exec_lo, s35
	s_and_saveexec_b32 s34, s14
	s_cbranch_execnz .LBB2_5375
	s_branch .LBB2_5376
.LBB2_5720:                             ;   in Loop: Header=BB2_5106 Depth=3
	s_mov_b32 s14, -1
	s_mov_b32 s36, exec_lo
                                        ; implicit-def: $sgpr34
	v_cmpx_eq_u16_e64 0x80, v160
; %bb.5721:                             ;   in Loop: Header=BB2_5106 Depth=3
	s_mov_b32 s34, 0x7f800001
	s_xor_b32 s14, exec_lo, -1
; %bb.5722:                             ;   in Loop: Header=BB2_5106 Depth=3
	s_or_b32 exec_lo, exec_lo, s36
	s_delay_alu instid0(SALU_CYCLE_1)
	s_and_b32 s14, s14, exec_lo
	s_or_saveexec_b32 s35, s35
	v_mov_b32_e32 v161, s34
	s_xor_b32 exec_lo, exec_lo, s35
	s_cbranch_execz .LBB2_5381
.LBB2_5723:                             ;   in Loop: Header=BB2_5106 Depth=3
	v_cmp_ne_u16_e64 vcc_lo, 0, v160
	v_mov_b32_e32 v161, 0
	s_and_not1_b32 s14, s14, exec_lo
	s_delay_alu instid0(VALU_DEP_2) | instskip(NEXT) | instid1(SALU_CYCLE_1)
	s_and_b32 vcc_lo, vcc_lo, exec_lo
	s_or_b32 s14, s14, vcc_lo
	s_or_b32 exec_lo, exec_lo, s35
	s_and_saveexec_b32 s34, s14
	s_cbranch_execnz .LBB2_5382
	s_branch .LBB2_5383
.LBB2_5724:                             ;   in Loop: Header=BB2_5106 Depth=3
	s_mov_b32 s14, -1
	s_mov_b32 s36, exec_lo
                                        ; implicit-def: $sgpr34
	v_cmpx_eq_u16_e64 0x80, v151
; %bb.5725:                             ;   in Loop: Header=BB2_5106 Depth=3
	s_mov_b32 s34, 0x7f800001
	s_xor_b32 s14, exec_lo, -1
; %bb.5726:                             ;   in Loop: Header=BB2_5106 Depth=3
	s_or_b32 exec_lo, exec_lo, s36
	s_delay_alu instid0(SALU_CYCLE_1)
	s_and_b32 s14, s14, exec_lo
	s_or_saveexec_b32 s35, s35
	v_mov_b32_e32 v160, s34
	s_xor_b32 exec_lo, exec_lo, s35
	s_cbranch_execz .LBB2_5385
.LBB2_5727:                             ;   in Loop: Header=BB2_5106 Depth=3
	v_cmp_ne_u16_e64 vcc_lo, 0, v151
	v_mov_b32_e32 v160, 0
	s_and_not1_b32 s14, s14, exec_lo
	s_delay_alu instid0(VALU_DEP_2) | instskip(NEXT) | instid1(SALU_CYCLE_1)
	s_and_b32 vcc_lo, vcc_lo, exec_lo
	s_or_b32 s14, s14, vcc_lo
	s_or_b32 exec_lo, exec_lo, s35
	s_and_saveexec_b32 s34, s14
	s_cbranch_execnz .LBB2_5386
	s_branch .LBB2_5387
.LBB2_5728:                             ;   in Loop: Header=BB2_5106 Depth=3
	s_mov_b32 s14, -1
	s_mov_b32 s36, exec_lo
                                        ; implicit-def: $sgpr34
	v_cmpx_eq_u16_e64 0x80, v163
; %bb.5729:                             ;   in Loop: Header=BB2_5106 Depth=3
	s_mov_b32 s34, 0x7f800001
	s_xor_b32 s14, exec_lo, -1
; %bb.5730:                             ;   in Loop: Header=BB2_5106 Depth=3
	s_or_b32 exec_lo, exec_lo, s36
	s_delay_alu instid0(SALU_CYCLE_1)
	s_and_b32 s14, s14, exec_lo
                                        ; implicit-def: $vgpr163
	s_or_saveexec_b32 s35, s35
	v_mov_b32_e32 v162, s34
	s_xor_b32 exec_lo, exec_lo, s35
	s_cbranch_execz .LBB2_5399
.LBB2_5731:                             ;   in Loop: Header=BB2_5106 Depth=3
	v_cmp_ne_u16_e64 vcc_lo, 0, v163
	v_mov_b32_e32 v162, 0
	s_and_not1_b32 s14, s14, exec_lo
	s_delay_alu instid0(VALU_DEP_2) | instskip(NEXT) | instid1(SALU_CYCLE_1)
	s_and_b32 vcc_lo, vcc_lo, exec_lo
	s_or_b32 s14, s14, vcc_lo
	s_or_b32 exec_lo, exec_lo, s35
	s_and_saveexec_b32 s34, s14
	s_cbranch_execnz .LBB2_5400
	s_branch .LBB2_5401
.LBB2_5732:                             ;   in Loop: Header=BB2_5106 Depth=3
	s_mov_b32 s14, -1
	s_mov_b32 s36, exec_lo
                                        ; implicit-def: $sgpr34
	v_cmpx_eq_u16_e64 0x80, v164
; %bb.5733:                             ;   in Loop: Header=BB2_5106 Depth=3
	s_mov_b32 s34, 0x7f800001
	s_xor_b32 s14, exec_lo, -1
; %bb.5734:                             ;   in Loop: Header=BB2_5106 Depth=3
	s_or_b32 exec_lo, exec_lo, s36
	s_delay_alu instid0(SALU_CYCLE_1)
	s_and_b32 s14, s14, exec_lo
                                        ; implicit-def: $vgpr164
	s_or_saveexec_b32 s35, s35
	v_mov_b32_e32 v163, s34
	s_xor_b32 exec_lo, exec_lo, s35
	s_cbranch_execz .LBB2_5403
.LBB2_5735:                             ;   in Loop: Header=BB2_5106 Depth=3
	v_cmp_ne_u16_e64 vcc_lo, 0, v164
	v_mov_b32_e32 v163, 0
	s_and_not1_b32 s14, s14, exec_lo
	s_delay_alu instid0(VALU_DEP_2) | instskip(NEXT) | instid1(SALU_CYCLE_1)
	s_and_b32 vcc_lo, vcc_lo, exec_lo
	s_or_b32 s14, s14, vcc_lo
	s_or_b32 exec_lo, exec_lo, s35
	s_and_saveexec_b32 s34, s14
	s_cbranch_execnz .LBB2_5404
	s_branch .LBB2_5405
.LBB2_5736:                             ;   in Loop: Header=BB2_5106 Depth=3
	s_mov_b32 s14, -1
	s_mov_b32 s36, exec_lo
                                        ; implicit-def: $sgpr34
	v_cmpx_eq_u16_e64 0x80, v163
; %bb.5737:                             ;   in Loop: Header=BB2_5106 Depth=3
	s_mov_b32 s34, 0x7f800001
	s_xor_b32 s14, exec_lo, -1
; %bb.5738:                             ;   in Loop: Header=BB2_5106 Depth=3
	s_or_b32 exec_lo, exec_lo, s36
	s_delay_alu instid0(SALU_CYCLE_1)
	s_and_b32 s14, s14, exec_lo
                                        ; implicit-def: $vgpr163
	s_or_saveexec_b32 s35, s35
	v_mov_b32_e32 v162, s34
	s_xor_b32 exec_lo, exec_lo, s35
	s_cbranch_execz .LBB2_5410
.LBB2_5739:                             ;   in Loop: Header=BB2_5106 Depth=3
	v_cmp_ne_u16_e64 vcc_lo, 0, v163
	v_mov_b32_e32 v162, 0
	s_and_not1_b32 s14, s14, exec_lo
	s_delay_alu instid0(VALU_DEP_2) | instskip(NEXT) | instid1(SALU_CYCLE_1)
	s_and_b32 vcc_lo, vcc_lo, exec_lo
	s_or_b32 s14, s14, vcc_lo
	s_or_b32 exec_lo, exec_lo, s35
	s_and_saveexec_b32 s34, s14
	s_cbranch_execnz .LBB2_5411
	s_branch .LBB2_5412
.LBB2_5740:                             ;   in Loop: Header=BB2_5106 Depth=3
	s_mov_b32 s14, -1
	s_mov_b32 s36, exec_lo
                                        ; implicit-def: $sgpr34
	v_cmpx_eq_u16_e64 0x80, v163
; %bb.5741:                             ;   in Loop: Header=BB2_5106 Depth=3
	s_mov_b32 s34, 0x7f800001
	s_xor_b32 s14, exec_lo, -1
; %bb.5742:                             ;   in Loop: Header=BB2_5106 Depth=3
	s_or_b32 exec_lo, exec_lo, s36
	s_delay_alu instid0(SALU_CYCLE_1)
	s_and_b32 s14, s14, exec_lo
                                        ; implicit-def: $vgpr163
	s_or_saveexec_b32 s35, s35
	v_mov_b32_e32 v161, s34
	s_xor_b32 exec_lo, exec_lo, s35
	s_cbranch_execz .LBB2_5414
.LBB2_5743:                             ;   in Loop: Header=BB2_5106 Depth=3
	v_cmp_ne_u16_e64 vcc_lo, 0, v163
	v_mov_b32_e32 v161, 0
	s_and_not1_b32 s14, s14, exec_lo
	s_delay_alu instid0(VALU_DEP_2) | instskip(NEXT) | instid1(SALU_CYCLE_1)
	s_and_b32 vcc_lo, vcc_lo, exec_lo
	s_or_b32 s14, s14, vcc_lo
	s_or_b32 exec_lo, exec_lo, s35
	s_and_saveexec_b32 s34, s14
	s_cbranch_execnz .LBB2_5415
	s_branch .LBB2_5416
.LBB2_5744:                             ;   in Loop: Header=BB2_5106 Depth=3
	s_mov_b32 s14, -1
	s_mov_b32 s36, exec_lo
                                        ; implicit-def: $sgpr34
	v_cmpx_eq_u16_e64 0x80, v162
; %bb.5745:                             ;   in Loop: Header=BB2_5106 Depth=3
	s_mov_b32 s34, 0x7f800001
	s_xor_b32 s14, exec_lo, -1
; %bb.5746:                             ;   in Loop: Header=BB2_5106 Depth=3
	s_or_b32 exec_lo, exec_lo, s36
	s_delay_alu instid0(SALU_CYCLE_1)
	s_and_b32 s14, s14, exec_lo
	s_or_saveexec_b32 s35, s35
	v_mov_b32_e32 v163, s34
	s_xor_b32 exec_lo, exec_lo, s35
	s_cbranch_execz .LBB2_5428
.LBB2_5747:                             ;   in Loop: Header=BB2_5106 Depth=3
	v_cmp_ne_u16_e64 vcc_lo, 0, v162
	v_mov_b32_e32 v163, 0
	s_and_not1_b32 s14, s14, exec_lo
	s_delay_alu instid0(VALU_DEP_2) | instskip(NEXT) | instid1(SALU_CYCLE_1)
	s_and_b32 vcc_lo, vcc_lo, exec_lo
	s_or_b32 s14, s14, vcc_lo
	s_or_b32 exec_lo, exec_lo, s35
	s_and_saveexec_b32 s34, s14
	s_cbranch_execnz .LBB2_5429
	s_branch .LBB2_5430
.LBB2_5748:                             ;   in Loop: Header=BB2_5106 Depth=3
	s_mov_b32 s14, -1
	s_mov_b32 s36, exec_lo
                                        ; implicit-def: $sgpr34
	v_cmpx_eq_u16_e64 0x80, v161
; %bb.5749:                             ;   in Loop: Header=BB2_5106 Depth=3
	s_mov_b32 s34, 0x7f800001
	s_xor_b32 s14, exec_lo, -1
; %bb.5750:                             ;   in Loop: Header=BB2_5106 Depth=3
	s_or_b32 exec_lo, exec_lo, s36
	s_delay_alu instid0(SALU_CYCLE_1)
	s_and_b32 s14, s14, exec_lo
	s_or_saveexec_b32 s35, s35
	v_mov_b32_e32 v164, s34
	s_xor_b32 exec_lo, exec_lo, s35
	s_cbranch_execz .LBB2_5432
.LBB2_5751:                             ;   in Loop: Header=BB2_5106 Depth=3
	v_cmp_ne_u16_e64 vcc_lo, 0, v161
	v_mov_b32_e32 v164, 0
	s_and_not1_b32 s14, s14, exec_lo
	s_delay_alu instid0(VALU_DEP_2) | instskip(NEXT) | instid1(SALU_CYCLE_1)
	s_and_b32 vcc_lo, vcc_lo, exec_lo
	s_or_b32 s14, s14, vcc_lo
	s_or_b32 exec_lo, exec_lo, s35
	s_and_saveexec_b32 s34, s14
	s_cbranch_execnz .LBB2_5433
	s_branch .LBB2_5434
.LBB2_5752:                             ;   in Loop: Header=BB2_5106 Depth=3
	s_mov_b32 s14, -1
	s_mov_b32 s36, exec_lo
                                        ; implicit-def: $sgpr34
	v_cmpx_eq_u16_e64 0x80, v162
; %bb.5753:                             ;   in Loop: Header=BB2_5106 Depth=3
	s_mov_b32 s34, 0x7f800001
	s_xor_b32 s14, exec_lo, -1
; %bb.5754:                             ;   in Loop: Header=BB2_5106 Depth=3
	s_or_b32 exec_lo, exec_lo, s36
	s_delay_alu instid0(SALU_CYCLE_1)
	s_and_b32 s14, s14, exec_lo
	s_or_saveexec_b32 s35, s35
	v_mov_b32_e32 v163, s34
	s_xor_b32 exec_lo, exec_lo, s35
	s_cbranch_execz .LBB2_5439
.LBB2_5755:                             ;   in Loop: Header=BB2_5106 Depth=3
	v_cmp_ne_u16_e64 vcc_lo, 0, v162
	v_mov_b32_e32 v163, 0
	s_and_not1_b32 s14, s14, exec_lo
	s_delay_alu instid0(VALU_DEP_2) | instskip(NEXT) | instid1(SALU_CYCLE_1)
	s_and_b32 vcc_lo, vcc_lo, exec_lo
	s_or_b32 s14, s14, vcc_lo
	s_or_b32 exec_lo, exec_lo, s35
	s_and_saveexec_b32 s34, s14
	s_cbranch_execnz .LBB2_5440
	s_branch .LBB2_5441
.LBB2_5756:                             ;   in Loop: Header=BB2_5106 Depth=3
	s_mov_b32 s14, -1
	s_mov_b32 s36, exec_lo
                                        ; implicit-def: $sgpr34
	v_cmpx_eq_u16_e64 0x80, v161
; %bb.5757:                             ;   in Loop: Header=BB2_5106 Depth=3
	s_mov_b32 s34, 0x7f800001
	s_xor_b32 s14, exec_lo, -1
; %bb.5758:                             ;   in Loop: Header=BB2_5106 Depth=3
	s_or_b32 exec_lo, exec_lo, s36
	s_delay_alu instid0(SALU_CYCLE_1)
	s_and_b32 s14, s14, exec_lo
	s_or_saveexec_b32 s35, s35
	v_mov_b32_e32 v14, s34
	s_xor_b32 exec_lo, exec_lo, s35
	s_cbranch_execz .LBB2_5443
.LBB2_5759:                             ;   in Loop: Header=BB2_5106 Depth=3
	v_cmp_ne_u16_e64 vcc_lo, 0, v161
	v_mov_b32_e32 v14, 0
	s_and_not1_b32 s14, s14, exec_lo
	s_delay_alu instid0(VALU_DEP_2) | instskip(NEXT) | instid1(SALU_CYCLE_1)
	s_and_b32 vcc_lo, vcc_lo, exec_lo
	s_or_b32 s14, s14, vcc_lo
	s_or_b32 exec_lo, exec_lo, s35
	s_and_saveexec_b32 s34, s14
	s_cbranch_execnz .LBB2_5444
	s_branch .LBB2_5445
.LBB2_5760:                             ;   in Loop: Header=BB2_5106 Depth=3
	s_mov_b32 s14, -1
	s_mov_b32 s36, exec_lo
                                        ; implicit-def: $sgpr34
	v_cmpx_eq_u16_e64 0x80, v161
; %bb.5761:                             ;   in Loop: Header=BB2_5106 Depth=3
	s_mov_b32 s34, 0x7f800001
	s_xor_b32 s14, exec_lo, -1
; %bb.5762:                             ;   in Loop: Header=BB2_5106 Depth=3
	s_or_b32 exec_lo, exec_lo, s36
	s_delay_alu instid0(SALU_CYCLE_1)
	s_and_b32 s14, s14, exec_lo
                                        ; implicit-def: $vgpr161
	s_or_saveexec_b32 s35, s35
	v_mov_b32_e32 v14, s34
	s_xor_b32 exec_lo, exec_lo, s35
	s_cbranch_execz .LBB2_5457
.LBB2_5763:                             ;   in Loop: Header=BB2_5106 Depth=3
	v_cmp_ne_u16_e64 vcc_lo, 0, v161
	v_mov_b32_e32 v14, 0
	s_and_not1_b32 s14, s14, exec_lo
	s_delay_alu instid0(VALU_DEP_2) | instskip(NEXT) | instid1(SALU_CYCLE_1)
	s_and_b32 vcc_lo, vcc_lo, exec_lo
	s_or_b32 s14, s14, vcc_lo
	s_or_b32 exec_lo, exec_lo, s35
	s_and_saveexec_b32 s34, s14
	s_cbranch_execnz .LBB2_5458
	s_branch .LBB2_5459
.LBB2_5764:                             ;   in Loop: Header=BB2_5106 Depth=3
	s_mov_b32 s14, -1
	s_mov_b32 s36, exec_lo
                                        ; implicit-def: $sgpr34
	v_cmpx_eq_u16_e64 0x80, v162
; %bb.5765:                             ;   in Loop: Header=BB2_5106 Depth=3
	s_mov_b32 s34, 0x7f800001
	s_xor_b32 s14, exec_lo, -1
; %bb.5766:                             ;   in Loop: Header=BB2_5106 Depth=3
	s_or_b32 exec_lo, exec_lo, s36
	s_delay_alu instid0(SALU_CYCLE_1)
	s_and_b32 s14, s14, exec_lo
                                        ; implicit-def: $vgpr162
	s_or_saveexec_b32 s35, s35
	v_mov_b32_e32 v161, s34
	s_xor_b32 exec_lo, exec_lo, s35
	s_cbranch_execz .LBB2_5461
.LBB2_5767:                             ;   in Loop: Header=BB2_5106 Depth=3
	v_cmp_ne_u16_e64 vcc_lo, 0, v162
	v_mov_b32_e32 v161, 0
	s_and_not1_b32 s14, s14, exec_lo
	s_delay_alu instid0(VALU_DEP_2) | instskip(NEXT) | instid1(SALU_CYCLE_1)
	s_and_b32 vcc_lo, vcc_lo, exec_lo
	s_or_b32 s14, s14, vcc_lo
	s_or_b32 exec_lo, exec_lo, s35
	s_and_saveexec_b32 s34, s14
	s_cbranch_execnz .LBB2_5462
	s_branch .LBB2_5463
.LBB2_5768:                             ;   in Loop: Header=BB2_5106 Depth=3
	s_mov_b32 s14, -1
	s_mov_b32 s36, exec_lo
                                        ; implicit-def: $sgpr34
	v_cmpx_eq_u16_e64 0x80, v161
; %bb.5769:                             ;   in Loop: Header=BB2_5106 Depth=3
	s_mov_b32 s34, 0x7f800001
	s_xor_b32 s14, exec_lo, -1
; %bb.5770:                             ;   in Loop: Header=BB2_5106 Depth=3
	s_or_b32 exec_lo, exec_lo, s36
	s_delay_alu instid0(SALU_CYCLE_1)
	s_and_b32 s14, s14, exec_lo
                                        ; implicit-def: $vgpr161
	s_or_saveexec_b32 s35, s35
	v_mov_b32_e32 v14, s34
	s_xor_b32 exec_lo, exec_lo, s35
	s_cbranch_execz .LBB2_5468
.LBB2_5771:                             ;   in Loop: Header=BB2_5106 Depth=3
	v_cmp_ne_u16_e64 vcc_lo, 0, v161
	v_mov_b32_e32 v14, 0
	s_and_not1_b32 s14, s14, exec_lo
	s_delay_alu instid0(VALU_DEP_2) | instskip(NEXT) | instid1(SALU_CYCLE_1)
	s_and_b32 vcc_lo, vcc_lo, exec_lo
	s_or_b32 s14, s14, vcc_lo
	s_or_b32 exec_lo, exec_lo, s35
	s_and_saveexec_b32 s34, s14
	s_cbranch_execnz .LBB2_5469
	s_branch .LBB2_5470
.LBB2_5772:                             ;   in Loop: Header=BB2_5106 Depth=3
	s_mov_b32 s14, -1
	s_mov_b32 s36, exec_lo
                                        ; implicit-def: $sgpr34
	v_cmpx_eq_u16_e64 0x80, v162
; %bb.5773:                             ;   in Loop: Header=BB2_5106 Depth=3
	s_mov_b32 s34, 0x7f800001
	s_xor_b32 s14, exec_lo, -1
; %bb.5774:                             ;   in Loop: Header=BB2_5106 Depth=3
	s_or_b32 exec_lo, exec_lo, s36
	s_delay_alu instid0(SALU_CYCLE_1)
	s_and_b32 s14, s14, exec_lo
                                        ; implicit-def: $vgpr162
	s_or_saveexec_b32 s35, s35
	v_mov_b32_e32 v161, s34
	s_xor_b32 exec_lo, exec_lo, s35
	s_cbranch_execz .LBB2_5472
.LBB2_5775:                             ;   in Loop: Header=BB2_5106 Depth=3
	v_cmp_ne_u16_e64 vcc_lo, 0, v162
	v_mov_b32_e32 v161, 0
	s_and_not1_b32 s14, s14, exec_lo
	s_delay_alu instid0(VALU_DEP_2) | instskip(NEXT) | instid1(SALU_CYCLE_1)
	s_and_b32 vcc_lo, vcc_lo, exec_lo
	s_or_b32 s14, s14, vcc_lo
	s_or_b32 exec_lo, exec_lo, s35
	s_and_saveexec_b32 s34, s14
	s_cbranch_execnz .LBB2_5473
	s_branch .LBB2_5474
.LBB2_5776:                             ;   in Loop: Header=BB2_5106 Depth=3
	s_mov_b32 s14, -1
	s_mov_b32 s36, exec_lo
                                        ; implicit-def: $sgpr34
	v_cmpx_eq_u16_e64 0x80, v162
; %bb.5777:                             ;   in Loop: Header=BB2_5106 Depth=3
	s_mov_b32 s34, 0x7f800001
	s_xor_b32 s14, exec_lo, -1
; %bb.5778:                             ;   in Loop: Header=BB2_5106 Depth=3
	s_or_b32 exec_lo, exec_lo, s36
	s_delay_alu instid0(SALU_CYCLE_1)
	s_and_b32 s14, s14, exec_lo
	s_or_saveexec_b32 s35, s35
	v_mov_b32_e32 v163, s34
	s_xor_b32 exec_lo, exec_lo, s35
	s_cbranch_execz .LBB2_5486
.LBB2_5779:                             ;   in Loop: Header=BB2_5106 Depth=3
	v_cmp_ne_u16_e64 vcc_lo, 0, v162
	v_mov_b32_e32 v163, 0
	s_and_not1_b32 s14, s14, exec_lo
	s_delay_alu instid0(VALU_DEP_2) | instskip(NEXT) | instid1(SALU_CYCLE_1)
	s_and_b32 vcc_lo, vcc_lo, exec_lo
	s_or_b32 s14, s14, vcc_lo
	s_or_b32 exec_lo, exec_lo, s35
	s_and_saveexec_b32 s34, s14
	s_cbranch_execnz .LBB2_5487
	s_branch .LBB2_5488
.LBB2_5780:                             ;   in Loop: Header=BB2_5106 Depth=3
	s_mov_b32 s14, -1
	s_mov_b32 s36, exec_lo
                                        ; implicit-def: $sgpr34
	v_cmpx_eq_u16_e64 0x80, v161
; %bb.5781:                             ;   in Loop: Header=BB2_5106 Depth=3
	s_mov_b32 s34, 0x7f800001
	s_xor_b32 s14, exec_lo, -1
; %bb.5782:                             ;   in Loop: Header=BB2_5106 Depth=3
	s_or_b32 exec_lo, exec_lo, s36
	s_delay_alu instid0(SALU_CYCLE_1)
	s_and_b32 s14, s14, exec_lo
	s_or_saveexec_b32 s35, s35
	v_mov_b32_e32 v164, s34
	s_xor_b32 exec_lo, exec_lo, s35
	s_cbranch_execz .LBB2_5490
.LBB2_5783:                             ;   in Loop: Header=BB2_5106 Depth=3
	v_cmp_ne_u16_e64 vcc_lo, 0, v161
	v_mov_b32_e32 v164, 0
	s_and_not1_b32 s14, s14, exec_lo
	s_delay_alu instid0(VALU_DEP_2) | instskip(NEXT) | instid1(SALU_CYCLE_1)
	s_and_b32 vcc_lo, vcc_lo, exec_lo
	s_or_b32 s14, s14, vcc_lo
	s_or_b32 exec_lo, exec_lo, s35
	s_and_saveexec_b32 s34, s14
	s_cbranch_execnz .LBB2_5491
	s_branch .LBB2_5492
.LBB2_5784:                             ;   in Loop: Header=BB2_5106 Depth=3
	s_mov_b32 s14, -1
	s_mov_b32 s36, exec_lo
                                        ; implicit-def: $sgpr34
	v_cmpx_eq_u16_e64 0x80, v162
; %bb.5785:                             ;   in Loop: Header=BB2_5106 Depth=3
	s_mov_b32 s34, 0x7f800001
	s_xor_b32 s14, exec_lo, -1
; %bb.5786:                             ;   in Loop: Header=BB2_5106 Depth=3
	s_or_b32 exec_lo, exec_lo, s36
	s_delay_alu instid0(SALU_CYCLE_1)
	s_and_b32 s14, s14, exec_lo
	s_or_saveexec_b32 s35, s35
	v_mov_b32_e32 v163, s34
	s_xor_b32 exec_lo, exec_lo, s35
	s_cbranch_execz .LBB2_5497
.LBB2_5787:                             ;   in Loop: Header=BB2_5106 Depth=3
	v_cmp_ne_u16_e64 vcc_lo, 0, v162
	v_mov_b32_e32 v163, 0
	s_and_not1_b32 s14, s14, exec_lo
	s_delay_alu instid0(VALU_DEP_2) | instskip(NEXT) | instid1(SALU_CYCLE_1)
	s_and_b32 vcc_lo, vcc_lo, exec_lo
	s_or_b32 s14, s14, vcc_lo
	s_or_b32 exec_lo, exec_lo, s35
	s_and_saveexec_b32 s34, s14
	s_cbranch_execnz .LBB2_5498
	s_branch .LBB2_5499
.LBB2_5788:                             ;   in Loop: Header=BB2_5106 Depth=3
	s_mov_b32 s14, -1
	s_mov_b32 s36, exec_lo
                                        ; implicit-def: $sgpr34
	v_cmpx_eq_u16_e64 0x80, v161
; %bb.5789:                             ;   in Loop: Header=BB2_5106 Depth=3
	s_mov_b32 s34, 0x7f800001
	s_xor_b32 s14, exec_lo, -1
; %bb.5790:                             ;   in Loop: Header=BB2_5106 Depth=3
	s_or_b32 exec_lo, exec_lo, s36
	s_delay_alu instid0(SALU_CYCLE_1)
	s_and_b32 s14, s14, exec_lo
	s_or_saveexec_b32 s35, s35
	v_mov_b32_e32 v162, s34
	s_xor_b32 exec_lo, exec_lo, s35
	s_cbranch_execz .LBB2_5501
.LBB2_5791:                             ;   in Loop: Header=BB2_5106 Depth=3
	v_cmp_ne_u16_e64 vcc_lo, 0, v161
	v_mov_b32_e32 v162, 0
	s_and_not1_b32 s14, s14, exec_lo
	s_delay_alu instid0(VALU_DEP_2) | instskip(NEXT) | instid1(SALU_CYCLE_1)
	s_and_b32 vcc_lo, vcc_lo, exec_lo
	s_or_b32 s14, s14, vcc_lo
	s_or_b32 exec_lo, exec_lo, s35
	s_and_saveexec_b32 s34, s14
	s_cbranch_execnz .LBB2_5502
	s_branch .LBB2_5503
.LBB2_5792:                             ;   in Loop: Header=BB2_5106 Depth=3
	s_mov_b32 s14, -1
	s_mov_b32 s36, exec_lo
                                        ; implicit-def: $sgpr34
	v_cmpx_eq_u16_e64 0x80, v165
; %bb.5793:                             ;   in Loop: Header=BB2_5106 Depth=3
	s_mov_b32 s34, 0x7f800001
	s_xor_b32 s14, exec_lo, -1
; %bb.5794:                             ;   in Loop: Header=BB2_5106 Depth=3
	s_or_b32 exec_lo, exec_lo, s36
	s_delay_alu instid0(SALU_CYCLE_1)
	s_and_b32 s14, s14, exec_lo
                                        ; implicit-def: $vgpr165
	s_or_saveexec_b32 s35, s35
	v_mov_b32_e32 v164, s34
	s_xor_b32 exec_lo, exec_lo, s35
	s_cbranch_execz .LBB2_5515
.LBB2_5795:                             ;   in Loop: Header=BB2_5106 Depth=3
	v_cmp_ne_u16_e64 vcc_lo, 0, v165
	v_mov_b32_e32 v164, 0
	s_and_not1_b32 s14, s14, exec_lo
	s_delay_alu instid0(VALU_DEP_2) | instskip(NEXT) | instid1(SALU_CYCLE_1)
	s_and_b32 vcc_lo, vcc_lo, exec_lo
	s_or_b32 s14, s14, vcc_lo
	s_or_b32 exec_lo, exec_lo, s35
	s_and_saveexec_b32 s34, s14
	s_cbranch_execnz .LBB2_5516
	s_branch .LBB2_5517
.LBB2_5796:                             ;   in Loop: Header=BB2_5106 Depth=3
	s_mov_b32 s14, -1
	s_mov_b32 s36, exec_lo
                                        ; implicit-def: $sgpr34
	v_cmpx_eq_u16_e64 0x80, v166
; %bb.5797:                             ;   in Loop: Header=BB2_5106 Depth=3
	s_mov_b32 s34, 0x7f800001
	s_xor_b32 s14, exec_lo, -1
; %bb.5798:                             ;   in Loop: Header=BB2_5106 Depth=3
	s_or_b32 exec_lo, exec_lo, s36
	s_delay_alu instid0(SALU_CYCLE_1)
	s_and_b32 s14, s14, exec_lo
                                        ; implicit-def: $vgpr166
	s_or_saveexec_b32 s35, s35
	v_mov_b32_e32 v165, s34
	s_xor_b32 exec_lo, exec_lo, s35
	s_cbranch_execz .LBB2_5519
.LBB2_5799:                             ;   in Loop: Header=BB2_5106 Depth=3
	v_cmp_ne_u16_e64 vcc_lo, 0, v166
	v_mov_b32_e32 v165, 0
	s_and_not1_b32 s14, s14, exec_lo
	s_delay_alu instid0(VALU_DEP_2) | instskip(NEXT) | instid1(SALU_CYCLE_1)
	s_and_b32 vcc_lo, vcc_lo, exec_lo
	s_or_b32 s14, s14, vcc_lo
	s_or_b32 exec_lo, exec_lo, s35
	s_and_saveexec_b32 s34, s14
	s_cbranch_execnz .LBB2_5520
	s_branch .LBB2_5521
.LBB2_5800:                             ;   in Loop: Header=BB2_5106 Depth=3
	s_mov_b32 s14, -1
	s_mov_b32 s36, exec_lo
                                        ; implicit-def: $sgpr34
	v_cmpx_eq_u16_e64 0x80, v165
; %bb.5801:                             ;   in Loop: Header=BB2_5106 Depth=3
	s_mov_b32 s34, 0x7f800001
	s_xor_b32 s14, exec_lo, -1
; %bb.5802:                             ;   in Loop: Header=BB2_5106 Depth=3
	s_or_b32 exec_lo, exec_lo, s36
	s_delay_alu instid0(SALU_CYCLE_1)
	s_and_b32 s14, s14, exec_lo
                                        ; implicit-def: $vgpr165
	s_or_saveexec_b32 s35, s35
	v_mov_b32_e32 v164, s34
	s_xor_b32 exec_lo, exec_lo, s35
	s_cbranch_execz .LBB2_5526
.LBB2_5803:                             ;   in Loop: Header=BB2_5106 Depth=3
	v_cmp_ne_u16_e64 vcc_lo, 0, v165
	v_mov_b32_e32 v164, 0
	s_and_not1_b32 s14, s14, exec_lo
	s_delay_alu instid0(VALU_DEP_2) | instskip(NEXT) | instid1(SALU_CYCLE_1)
	s_and_b32 vcc_lo, vcc_lo, exec_lo
	s_or_b32 s14, s14, vcc_lo
	s_or_b32 exec_lo, exec_lo, s35
	s_and_saveexec_b32 s34, s14
	s_cbranch_execnz .LBB2_5527
	s_branch .LBB2_5528
.LBB2_5804:                             ;   in Loop: Header=BB2_5106 Depth=3
	s_mov_b32 s14, -1
	s_mov_b32 s36, exec_lo
                                        ; implicit-def: $sgpr34
	v_cmpx_eq_u16_e64 0x80, v165
; %bb.5805:                             ;   in Loop: Header=BB2_5106 Depth=3
	s_mov_b32 s34, 0x7f800001
	s_xor_b32 s14, exec_lo, -1
; %bb.5806:                             ;   in Loop: Header=BB2_5106 Depth=3
	s_or_b32 exec_lo, exec_lo, s36
	s_delay_alu instid0(SALU_CYCLE_1)
	s_and_b32 s14, s14, exec_lo
                                        ; implicit-def: $vgpr165
	s_or_saveexec_b32 s35, s35
	v_mov_b32_e32 v163, s34
	s_xor_b32 exec_lo, exec_lo, s35
	s_cbranch_execz .LBB2_5530
.LBB2_5807:                             ;   in Loop: Header=BB2_5106 Depth=3
	v_cmp_ne_u16_e64 vcc_lo, 0, v165
	v_mov_b32_e32 v163, 0
	s_and_not1_b32 s14, s14, exec_lo
	s_delay_alu instid0(VALU_DEP_2) | instskip(NEXT) | instid1(SALU_CYCLE_1)
	s_and_b32 vcc_lo, vcc_lo, exec_lo
	s_or_b32 s14, s14, vcc_lo
	s_or_b32 exec_lo, exec_lo, s35
	s_and_saveexec_b32 s34, s14
	s_cbranch_execnz .LBB2_5531
	s_branch .LBB2_5532
.LBB2_5808:                             ;   in Loop: Header=BB2_5106 Depth=3
	s_mov_b32 s14, -1
	s_mov_b32 s36, exec_lo
                                        ; implicit-def: $sgpr34
	v_cmpx_eq_u16_e64 0x80, v164
; %bb.5809:                             ;   in Loop: Header=BB2_5106 Depth=3
	s_mov_b32 s34, 0x7f800001
	s_xor_b32 s14, exec_lo, -1
; %bb.5810:                             ;   in Loop: Header=BB2_5106 Depth=3
	s_or_b32 exec_lo, exec_lo, s36
	s_delay_alu instid0(SALU_CYCLE_1)
	s_and_b32 s14, s14, exec_lo
	s_or_saveexec_b32 s35, s35
	v_mov_b32_e32 v165, s34
	s_xor_b32 exec_lo, exec_lo, s35
	s_cbranch_execz .LBB2_5544
.LBB2_5811:                             ;   in Loop: Header=BB2_5106 Depth=3
	v_cmp_ne_u16_e64 vcc_lo, 0, v164
	v_mov_b32_e32 v165, 0
	s_and_not1_b32 s14, s14, exec_lo
	s_delay_alu instid0(VALU_DEP_2) | instskip(NEXT) | instid1(SALU_CYCLE_1)
	s_and_b32 vcc_lo, vcc_lo, exec_lo
	s_or_b32 s14, s14, vcc_lo
	s_or_b32 exec_lo, exec_lo, s35
	s_and_saveexec_b32 s34, s14
	s_cbranch_execnz .LBB2_5545
	s_branch .LBB2_5546
.LBB2_5812:                             ;   in Loop: Header=BB2_5106 Depth=3
	s_mov_b32 s14, -1
	s_mov_b32 s36, exec_lo
                                        ; implicit-def: $sgpr34
	v_cmpx_eq_u16_e64 0x80, v163
; %bb.5813:                             ;   in Loop: Header=BB2_5106 Depth=3
	s_mov_b32 s34, 0x7f800001
	s_xor_b32 s14, exec_lo, -1
; %bb.5814:                             ;   in Loop: Header=BB2_5106 Depth=3
	s_or_b32 exec_lo, exec_lo, s36
	s_delay_alu instid0(SALU_CYCLE_1)
	s_and_b32 s14, s14, exec_lo
	s_or_saveexec_b32 s35, s35
	v_mov_b32_e32 v166, s34
	s_xor_b32 exec_lo, exec_lo, s35
	s_cbranch_execz .LBB2_5548
.LBB2_5815:                             ;   in Loop: Header=BB2_5106 Depth=3
	v_cmp_ne_u16_e64 vcc_lo, 0, v163
	v_mov_b32_e32 v166, 0
	s_and_not1_b32 s14, s14, exec_lo
	s_delay_alu instid0(VALU_DEP_2) | instskip(NEXT) | instid1(SALU_CYCLE_1)
	s_and_b32 vcc_lo, vcc_lo, exec_lo
	s_or_b32 s14, s14, vcc_lo
	s_or_b32 exec_lo, exec_lo, s35
	s_and_saveexec_b32 s34, s14
	s_cbranch_execnz .LBB2_5549
	s_branch .LBB2_5550
.LBB2_5816:                             ;   in Loop: Header=BB2_5106 Depth=3
	s_mov_b32 s14, -1
	s_mov_b32 s36, exec_lo
                                        ; implicit-def: $sgpr34
	v_cmpx_eq_u16_e64 0x80, v164
; %bb.5817:                             ;   in Loop: Header=BB2_5106 Depth=3
	s_mov_b32 s34, 0x7f800001
	s_xor_b32 s14, exec_lo, -1
; %bb.5818:                             ;   in Loop: Header=BB2_5106 Depth=3
	s_or_b32 exec_lo, exec_lo, s36
	s_delay_alu instid0(SALU_CYCLE_1)
	s_and_b32 s14, s14, exec_lo
	s_or_saveexec_b32 s35, s35
	v_mov_b32_e32 v165, s34
	s_xor_b32 exec_lo, exec_lo, s35
	s_cbranch_execz .LBB2_5555
.LBB2_5819:                             ;   in Loop: Header=BB2_5106 Depth=3
	v_cmp_ne_u16_e64 vcc_lo, 0, v164
	v_mov_b32_e32 v165, 0
	s_and_not1_b32 s14, s14, exec_lo
	s_delay_alu instid0(VALU_DEP_2) | instskip(NEXT) | instid1(SALU_CYCLE_1)
	s_and_b32 vcc_lo, vcc_lo, exec_lo
	s_or_b32 s14, s14, vcc_lo
	s_or_b32 exec_lo, exec_lo, s35
	s_and_saveexec_b32 s34, s14
	s_cbranch_execnz .LBB2_5556
	s_branch .LBB2_5557
.LBB2_5820:                             ;   in Loop: Header=BB2_5106 Depth=3
	s_mov_b32 s14, -1
	s_mov_b32 s36, exec_lo
                                        ; implicit-def: $sgpr34
	v_cmpx_eq_u16_e64 0x80, v163
; %bb.5821:                             ;   in Loop: Header=BB2_5106 Depth=3
	s_mov_b32 s34, 0x7f800001
	s_xor_b32 s14, exec_lo, -1
; %bb.5822:                             ;   in Loop: Header=BB2_5106 Depth=3
	s_or_b32 exec_lo, exec_lo, s36
	s_delay_alu instid0(SALU_CYCLE_1)
	s_and_b32 s14, s14, exec_lo
	s_or_saveexec_b32 s35, s35
	v_mov_b32_e32 v15, s34
	s_xor_b32 exec_lo, exec_lo, s35
	s_cbranch_execz .LBB2_5559
.LBB2_5823:                             ;   in Loop: Header=BB2_5106 Depth=3
	v_cmp_ne_u16_e64 vcc_lo, 0, v163
	v_mov_b32_e32 v15, 0
	s_and_not1_b32 s14, s14, exec_lo
	s_delay_alu instid0(VALU_DEP_2) | instskip(NEXT) | instid1(SALU_CYCLE_1)
	s_and_b32 vcc_lo, vcc_lo, exec_lo
	s_or_b32 s14, s14, vcc_lo
	s_or_b32 exec_lo, exec_lo, s35
	s_and_saveexec_b32 s34, s14
	s_cbranch_execnz .LBB2_5560
	s_branch .LBB2_5561
.LBB2_5824:                             ;   in Loop: Header=BB2_2404 Depth=2
	s_or_b32 exec_lo, exec_lo, s17
.LBB2_5825:                             ;   in Loop: Header=BB2_2404 Depth=2
	s_delay_alu instid0(SALU_CYCLE_1) | instskip(SKIP_3) | instid1(VALU_DEP_1)
	s_or_b32 exec_lo, exec_lo, s16
	v_dual_mov_b32 v14, 0 :: v_dual_and_b32 v9, 15, v70
	s_mov_b32 s14, 0
	s_mov_b32 s16, exec_lo
                                        ; implicit-def: $vgpr64
                                        ; implicit-def: $vgpr8
	v_cndmask_b32_e64 v15, v71, v9, s13
	s_delay_alu instid0(VALU_DEP_1)
	v_cmpx_ne_u32_e32 0, v15
	s_cbranch_execz .LBB2_5827
; %bb.5826:                             ;   in Loop: Header=BB2_2404 Depth=2
	v_cmp_lt_i32_e32 vcc_lo, 0, v144
	v_sub_nc_u32_e32 v9, v71, v9
	s_mov_b32 s14, exec_lo
	v_cndmask_b32_e32 v8, 0, v83, vcc_lo
	s_delay_alu instid0(VALU_DEP_2) | instskip(NEXT) | instid1(VALU_DEP_2)
	v_cndmask_b32_e64 v9, 0, v9, s13
	v_sub_nc_u32_e32 v8, v8, v144
	s_delay_alu instid0(VALU_DEP_2) | instskip(NEXT) | instid1(VALU_DEP_2)
	v_add3_u32 v14, v134, v2, v9
	v_lshl_add_u32 v64, v8, 5, v135
	s_delay_alu instid0(VALU_DEP_1) | instskip(NEXT) | instid1(VALU_DEP_1)
	v_ashrrev_i32_e32 v8, 31, v64
	v_lshrrev_b32_e32 v8, 27, v8
	s_delay_alu instid0(VALU_DEP_1) | instskip(NEXT) | instid1(VALU_DEP_1)
	v_add_nc_u32_e32 v8, v64, v8
	v_ashrrev_i32_e32 v8, 5, v8
.LBB2_5827:                             ;   in Loop: Header=BB2_2404 Depth=2
	s_or_b32 exec_lo, exec_lo, s16
	s_delay_alu instid0(SALU_CYCLE_1)
	s_and_b32 s16, s14, exec_lo
.LBB2_5828:                             ;   in Loop: Header=BB2_2404 Depth=2
	s_or_b32 exec_lo, exec_lo, s15
.LBB2_5829:                             ;   in Loop: Header=BB2_2404 Depth=2
	s_and_saveexec_b32 s14, s16
	s_cbranch_execz .LBB2_6246
; %bb.5830:                             ;   in Loop: Header=BB2_2404 Depth=2
	v_ashrrev_i32_e32 v2, 31, v15
	s_mov_b32 s15, exec_lo
	s_delay_alu instid0(VALU_DEP_1) | instskip(NEXT) | instid1(VALU_DEP_1)
	v_lshrrev_b32_e32 v2, 24, v2
	v_add_nc_u32_e32 v2, v15, v2
	s_delay_alu instid0(VALU_DEP_1) | instskip(NEXT) | instid1(VALU_DEP_1)
	v_ashrrev_i32_e32 v65, 8, v2
	v_sub_nc_u32_e32 v2, v65, v8
	s_delay_alu instid0(VALU_DEP_1)
	v_cmpx_lt_i32_e32 0, v2
	s_cbranch_execz .LBB2_6195
; %bb.5831:                             ;   in Loop: Header=BB2_2404 Depth=2
	s_cbranch_execnz .LBB2_7304
; %bb.5832:                             ;   in Loop: Header=BB2_2404 Depth=2
	v_ashrrev_i32_e32 v9, 31, v64
	s_waitcnt vmcnt(0)
	ds_load_b64 v[66:67], v0
	v_lshlrev_b32_e32 v8, 8, v8
	s_bitcmp1_b32 s30, 0
	s_mov_b32 s17, 0
	v_lshrrev_b32_e32 v9, 27, v9
	s_cselect_b32 s16, -1, 0
	s_delay_alu instid0(VALU_DEP_1) | instskip(NEXT) | instid1(VALU_DEP_1)
	v_add_nc_u32_e32 v9, v64, v9
	v_and_b32_e32 v13, 0xffffffe0, v9
	ds_load_b128 v[9:12], v0
	v_sub_nc_u32_e32 v13, v64, v13
	s_waitcnt lgkmcnt(1)
	v_add_co_u32 v66, vcc_lo, 0xe0, v66
	v_add_co_ci_u32_e32 v67, vcc_lo, 0, v67, vcc_lo
	s_delay_alu instid0(VALU_DEP_3) | instskip(NEXT) | instid1(VALU_DEP_1)
	v_add3_u32 v13, v14, v13, v8
	v_ashrrev_i32_e32 v68, 31, v13
	s_waitcnt lgkmcnt(0)
	v_add_co_u32 v8, vcc_lo, v9, v13
	s_delay_alu instid0(VALU_DEP_2)
	v_add_co_ci_u32_e32 v9, vcc_lo, v10, v68, vcc_lo
	v_add_co_u32 v10, vcc_lo, v11, v13
	v_add_co_ci_u32_e32 v11, vcc_lo, v12, v68, vcc_lo
	v_add_co_u32 v12, vcc_lo, v66, v13
	v_add_co_ci_u32_e32 v13, vcc_lo, v67, v68, vcc_lo
	s_branch .LBB2_5836
.LBB2_5833:                             ;   in Loop: Header=BB2_5836 Depth=3
	s_or_b32 exec_lo, exec_lo, s13
	s_delay_alu instid0(VALU_DEP_1) | instskip(NEXT) | instid1(VALU_DEP_2)
	v_lshrrev_b32_e32 v67, 20, v67
	v_cmp_gt_i32_e32 vcc_lo, 16, v66
	v_lshrrev_b32_e32 v70, 24, v70
	v_min_i32_e32 v135, 15, v66
	s_delay_alu instid0(VALU_DEP_2) | instskip(NEXT) | instid1(VALU_DEP_2)
	v_dual_cndmask_b32 v67, 7, v67 :: v_dual_and_b32 v70, 0x80, v70
	v_lshlrev_b32_e32 v135, 3, v135
	s_delay_alu instid0(VALU_DEP_2) | instskip(SKIP_1) | instid1(VALU_DEP_2)
	v_and_b32_e32 v146, 7, v67
	v_or_b32_e32 v66, v66, v67
	v_or3_b32 v67, v135, v70, v146
	s_delay_alu instid0(VALU_DEP_2) | instskip(NEXT) | instid1(VALU_DEP_2)
	v_cmp_ne_u32_e32 vcc_lo, 0, v66
	v_cndmask_b32_e32 v66, 0, v67, vcc_lo
.LBB2_5834:                             ;   in Loop: Header=BB2_5836 Depth=3
	s_or_b32 exec_lo, exec_lo, s34
.LBB2_5835:                             ;   in Loop: Header=BB2_5836 Depth=3
	s_delay_alu instid0(SALU_CYCLE_1)
	s_or_b32 exec_lo, exec_lo, s31
	v_add_co_u32 v148, vcc_lo, 0xffffff20, v12
	v_add_co_ci_u32_e32 v149, vcc_lo, -1, v13, vcc_lo
	v_add_co_u32 v150, vcc_lo, 0xffffff40, v12
	v_add_co_ci_u32_e32 v151, vcc_lo, -1, v13, vcc_lo
	v_add_co_u32 v67, vcc_lo, 0xffffff60, v12
	flat_store_b8 v[148:149], v68 glc slc dlc
	flat_store_b8 v[150:151], v71 glc slc dlc
	v_add_co_ci_u32_e32 v68, vcc_lo, -1, v13, vcc_lo
	v_add_co_u32 v70, vcc_lo, 0xffffff80, v12
	v_add_co_ci_u32_e32 v71, vcc_lo, -1, v13, vcc_lo
	v_add_co_u32 v148, vcc_lo, 0xffffffa0, v12
	v_add_co_ci_u32_e32 v149, vcc_lo, -1, v13, vcc_lo
	v_add_co_u32 v150, vcc_lo, 0xffffffc0, v12
	v_add_co_ci_u32_e32 v151, vcc_lo, -1, v13, vcc_lo
	v_add_co_u32 v160, vcc_lo, 0xffffffe0, v12
	v_add_co_ci_u32_e32 v161, vcc_lo, -1, v13, vcc_lo
	v_add_co_u32 v8, vcc_lo, v8, v103
	v_sub_nc_u32_e32 v2, v2, v83
	v_add_co_ci_u32_e32 v9, vcc_lo, v9, v112, vcc_lo
	v_add_co_u32 v10, vcc_lo, v10, v103
	v_add_co_ci_u32_e32 v11, vcc_lo, v11, v112, vcc_lo
	flat_store_b8 v[67:68], v144 glc slc dlc
	flat_store_b8 v[70:71], v147 glc slc dlc
	;; [unrolled: 1-line block ×6, first 2 shown]
	v_cmp_gt_i32_e32 vcc_lo, 1, v2
	v_add_co_u32 v12, s13, v12, v103
	s_delay_alu instid0(VALU_DEP_1) | instskip(SKIP_1) | instid1(SALU_CYCLE_1)
	v_add_co_ci_u32_e64 v13, s13, v13, v112, s13
	s_or_b32 s17, vcc_lo, s17
	s_and_not1_b32 exec_lo, exec_lo, s17
	s_cbranch_execz .LBB2_6194
.LBB2_5836:                             ;   Parent Loop BB2_51 Depth=1
                                        ;     Parent Loop BB2_2404 Depth=2
                                        ; =>    This Inner Loop Header: Depth=3
	s_clause 0x7
	flat_load_u8 v151, v[8:9] slc dlc
	flat_load_u8 v150, v[8:9] offset:32 slc dlc
	flat_load_u8 v149, v[8:9] offset:64 slc dlc
	;; [unrolled: 1-line block ×7, first 2 shown]
	s_clause 0x7
	flat_load_u8 v68, v[10:11] slc dlc
	flat_load_u8 v71, v[10:11] offset:32 slc dlc
	flat_load_u8 v144, v[10:11] offset:64 slc dlc
	;; [unrolled: 1-line block ×7, first 2 shown]
	s_and_b32 vcc_lo, exec_lo, s16
	s_cbranch_vccz .LBB2_5846
; %bb.5837:                             ;   in Loop: Header=BB2_5836 Depth=3
	s_waitcnt vmcnt(15) lgkmcnt(15)
	v_and_b32_e32 v161, 0xff, v151
	s_mov_b32 s13, 0
	s_mov_b32 s34, exec_lo
                                        ; implicit-def: $sgpr31
	s_delay_alu instid0(VALU_DEP_1)
	v_cmpx_lt_i16_e64 0x7f, v161
	s_xor_b32 s34, exec_lo, s34
	s_cbranch_execnz .LBB2_6066
; %bb.5838:                             ;   in Loop: Header=BB2_5836 Depth=3
	s_or_saveexec_b32 s34, s34
	v_mov_b32_e32 v160, s31
	s_xor_b32 exec_lo, exec_lo, s34
	s_cbranch_execnz .LBB2_6069
.LBB2_5839:                             ;   in Loop: Header=BB2_5836 Depth=3
	s_or_b32 exec_lo, exec_lo, s34
	s_and_saveexec_b32 s31, s13
	s_cbranch_execz .LBB2_5841
.LBB2_5840:                             ;   in Loop: Header=BB2_5836 Depth=3
	v_lshrrev_b16 v163, 3, v151
	v_lshlrev_b32_e32 v164, 24, v151
	s_delay_alu instid0(VALU_DEP_2) | instskip(NEXT) | instid1(VALU_DEP_1)
	v_and_b32_e32 v163, 15, v163
	v_cmp_eq_u32_e32 vcc_lo, 0, v163
	v_and_b32_e32 v160, 7, v151
	s_delay_alu instid0(VALU_DEP_1) | instskip(NEXT) | instid1(VALU_DEP_1)
	v_clz_i32_u32_e32 v161, v160
	v_min_u32_e32 v161, 32, v161
	s_delay_alu instid0(VALU_DEP_1) | instskip(SKIP_1) | instid1(VALU_DEP_1)
	v_subrev_nc_u32_e32 v162, 28, v161
	v_sub_nc_u32_e32 v161, 29, v161
	v_dual_cndmask_b32 v161, v163, v161 :: v_dual_lshlrev_b32 v162, v162, v151
	s_delay_alu instid0(VALU_DEP_1) | instskip(NEXT) | instid1(VALU_DEP_2)
	v_and_b32_e32 v162, 7, v162
	v_lshl_add_u32 v161, v161, 23, 0x3b800000
	s_delay_alu instid0(VALU_DEP_2) | instskip(SKIP_1) | instid1(VALU_DEP_2)
	v_cndmask_b32_e32 v160, v160, v162, vcc_lo
	v_and_b32_e32 v162, 0x80000000, v164
	v_lshlrev_b32_e32 v160, 20, v160
	s_delay_alu instid0(VALU_DEP_1)
	v_or3_b32 v160, v162, v161, v160
.LBB2_5841:                             ;   in Loop: Header=BB2_5836 Depth=3
	s_or_b32 exec_lo, exec_lo, s31
	s_waitcnt vmcnt(7) lgkmcnt(7)
	v_and_b32_e32 v162, 0xff, v68
	s_mov_b32 s13, 0
	s_mov_b32 s34, exec_lo
                                        ; implicit-def: $sgpr31
	s_delay_alu instid0(VALU_DEP_1)
	v_cmpx_lt_i16_e64 0x7f, v162
	s_xor_b32 s34, exec_lo, s34
	s_cbranch_execnz .LBB2_6070
; %bb.5842:                             ;   in Loop: Header=BB2_5836 Depth=3
	s_or_saveexec_b32 s34, s34
	v_mov_b32_e32 v161, s31
	s_xor_b32 exec_lo, exec_lo, s34
	s_cbranch_execnz .LBB2_6073
.LBB2_5843:                             ;   in Loop: Header=BB2_5836 Depth=3
	s_or_b32 exec_lo, exec_lo, s34
	s_and_saveexec_b32 s31, s13
	s_cbranch_execz .LBB2_5845
.LBB2_5844:                             ;   in Loop: Header=BB2_5836 Depth=3
	v_lshrrev_b16 v164, 3, v68
	v_lshlrev_b32_e32 v165, 24, v68
	s_delay_alu instid0(VALU_DEP_2) | instskip(NEXT) | instid1(VALU_DEP_1)
	v_and_b32_e32 v164, 15, v164
	v_cmp_eq_u32_e32 vcc_lo, 0, v164
	v_and_b32_e32 v161, 7, v68
	s_delay_alu instid0(VALU_DEP_1) | instskip(NEXT) | instid1(VALU_DEP_1)
	v_clz_i32_u32_e32 v162, v161
	v_min_u32_e32 v162, 32, v162
	s_delay_alu instid0(VALU_DEP_1) | instskip(SKIP_1) | instid1(VALU_DEP_1)
	v_subrev_nc_u32_e32 v163, 28, v162
	v_sub_nc_u32_e32 v162, 29, v162
	v_dual_cndmask_b32 v162, v164, v162 :: v_dual_lshlrev_b32 v163, v163, v68
	s_delay_alu instid0(VALU_DEP_1) | instskip(NEXT) | instid1(VALU_DEP_2)
	v_and_b32_e32 v163, 7, v163
	v_lshl_add_u32 v162, v162, 23, 0x3b800000
	s_delay_alu instid0(VALU_DEP_2) | instskip(SKIP_1) | instid1(VALU_DEP_2)
	v_cndmask_b32_e32 v161, v161, v163, vcc_lo
	v_and_b32_e32 v163, 0x80000000, v165
	v_lshlrev_b32_e32 v161, 20, v161
	s_delay_alu instid0(VALU_DEP_1)
	v_or3_b32 v161, v163, v162, v161
.LBB2_5845:                             ;   in Loop: Header=BB2_5836 Depth=3
	s_or_b32 exec_lo, exec_lo, s31
	s_delay_alu instid0(VALU_DEP_1) | instskip(SKIP_1) | instid1(VALU_DEP_1)
	v_dual_max_f32 v161, v161, v161 :: v_dual_max_f32 v160, v160, v160
	s_mov_b32 s13, 0
	v_max_f32_e32 v160, v160, v161
	s_branch .LBB2_5847
.LBB2_5846:                             ;   in Loop: Header=BB2_5836 Depth=3
	s_mov_b32 s13, -1
                                        ; implicit-def: $vgpr160
.LBB2_5847:                             ;   in Loop: Header=BB2_5836 Depth=3
	s_delay_alu instid0(SALU_CYCLE_1)
	s_and_b32 vcc_lo, exec_lo, s13
	s_cbranch_vccz .LBB2_5857
; %bb.5848:                             ;   in Loop: Header=BB2_5836 Depth=3
	s_waitcnt vmcnt(15) lgkmcnt(15)
	v_and_b32_e32 v161, 0xff, v151
	s_mov_b32 s13, 0
	s_mov_b32 s34, exec_lo
                                        ; implicit-def: $sgpr31
	s_delay_alu instid0(VALU_DEP_1)
	v_cmpx_lt_i16_e64 0x7f, v161
	s_xor_b32 s34, exec_lo, s34
	s_cbranch_execnz .LBB2_6074
; %bb.5849:                             ;   in Loop: Header=BB2_5836 Depth=3
	s_or_saveexec_b32 s34, s34
	v_mov_b32_e32 v160, s31
	s_xor_b32 exec_lo, exec_lo, s34
	s_cbranch_execnz .LBB2_6077
.LBB2_5850:                             ;   in Loop: Header=BB2_5836 Depth=3
	s_or_b32 exec_lo, exec_lo, s34
	s_and_saveexec_b32 s31, s13
	s_cbranch_execz .LBB2_5852
.LBB2_5851:                             ;   in Loop: Header=BB2_5836 Depth=3
	v_lshrrev_b16 v163, 3, v151
	s_delay_alu instid0(VALU_DEP_1) | instskip(NEXT) | instid1(VALU_DEP_1)
	v_and_b32_e32 v163, 15, v163
	v_cmp_eq_u32_e32 vcc_lo, 0, v163
	v_and_b32_e32 v160, 7, v151
	s_delay_alu instid0(VALU_DEP_1) | instskip(NEXT) | instid1(VALU_DEP_1)
	v_clz_i32_u32_e32 v161, v160
	v_min_u32_e32 v161, 32, v161
	s_delay_alu instid0(VALU_DEP_1) | instskip(SKIP_1) | instid1(VALU_DEP_1)
	v_subrev_nc_u32_e32 v162, 28, v161
	v_sub_nc_u32_e32 v161, 29, v161
	v_dual_cndmask_b32 v161, v163, v161 :: v_dual_lshlrev_b32 v162, v162, v151
	v_lshlrev_b32_e32 v151, 24, v151
	s_delay_alu instid0(VALU_DEP_2) | instskip(NEXT) | instid1(VALU_DEP_3)
	v_and_b32_e32 v162, 7, v162
	v_lshl_add_u32 v161, v161, 23, 0x3b800000
	s_delay_alu instid0(VALU_DEP_2) | instskip(NEXT) | instid1(VALU_DEP_1)
	v_dual_cndmask_b32 v160, v160, v162 :: v_dual_and_b32 v151, 0x80000000, v151
	v_lshlrev_b32_e32 v160, 20, v160
	s_delay_alu instid0(VALU_DEP_1)
	v_or3_b32 v160, v151, v161, v160
.LBB2_5852:                             ;   in Loop: Header=BB2_5836 Depth=3
	s_or_b32 exec_lo, exec_lo, s31
	s_waitcnt vmcnt(7) lgkmcnt(7)
	v_and_b32_e32 v161, 0xff, v68
	s_mov_b32 s13, 0
	s_mov_b32 s34, exec_lo
                                        ; implicit-def: $sgpr31
	s_delay_alu instid0(VALU_DEP_1)
	v_cmpx_lt_i16_e64 0x7f, v161
	s_xor_b32 s34, exec_lo, s34
	s_cbranch_execnz .LBB2_6078
; %bb.5853:                             ;   in Loop: Header=BB2_5836 Depth=3
	s_or_saveexec_b32 s34, s34
	v_mov_b32_e32 v151, s31
	s_xor_b32 exec_lo, exec_lo, s34
	s_cbranch_execnz .LBB2_6081
.LBB2_5854:                             ;   in Loop: Header=BB2_5836 Depth=3
	s_or_b32 exec_lo, exec_lo, s34
	s_and_saveexec_b32 s31, s13
	s_cbranch_execz .LBB2_5856
.LBB2_5855:                             ;   in Loop: Header=BB2_5836 Depth=3
	v_and_b32_e32 v151, 7, v68
	v_lshrrev_b16 v163, 3, v68
	s_delay_alu instid0(VALU_DEP_2) | instskip(NEXT) | instid1(VALU_DEP_2)
	v_clz_i32_u32_e32 v161, v151
	v_and_b32_e32 v163, 15, v163
	s_delay_alu instid0(VALU_DEP_2) | instskip(NEXT) | instid1(VALU_DEP_2)
	v_min_u32_e32 v161, 32, v161
	v_cmp_eq_u32_e32 vcc_lo, 0, v163
	s_delay_alu instid0(VALU_DEP_2) | instskip(SKIP_1) | instid1(VALU_DEP_1)
	v_subrev_nc_u32_e32 v162, 28, v161
	v_sub_nc_u32_e32 v161, 29, v161
	v_dual_cndmask_b32 v161, v163, v161 :: v_dual_lshlrev_b32 v162, v162, v68
	s_delay_alu instid0(VALU_DEP_1) | instskip(SKIP_1) | instid1(VALU_DEP_3)
	v_and_b32_e32 v162, 7, v162
	v_lshlrev_b32_e32 v68, 24, v68
	v_lshl_add_u32 v161, v161, 23, 0x3b800000
	s_delay_alu instid0(VALU_DEP_2) | instskip(NEXT) | instid1(VALU_DEP_1)
	v_dual_cndmask_b32 v151, v151, v162 :: v_dual_and_b32 v68, 0x80000000, v68
	v_lshlrev_b32_e32 v151, 20, v151
	s_delay_alu instid0(VALU_DEP_1)
	v_or3_b32 v151, v68, v161, v151
.LBB2_5856:                             ;   in Loop: Header=BB2_5836 Depth=3
	s_or_b32 exec_lo, exec_lo, s31
	s_delay_alu instid0(VALU_DEP_1) | instskip(NEXT) | instid1(VALU_DEP_1)
	v_dual_max_f32 v68, v151, v151 :: v_dual_max_f32 v151, v160, v160
	v_min_f32_e32 v160, v151, v68
.LBB2_5857:                             ;   in Loop: Header=BB2_5836 Depth=3
	s_waitcnt vmcnt(7) lgkmcnt(7)
	s_delay_alu instid0(VALU_DEP_1) | instskip(NEXT) | instid1(VALU_DEP_1)
	v_and_b32_e32 v68, 0x7f800000, v160
	v_cmp_ne_u32_e32 vcc_lo, 0x7f800000, v68
	v_mov_b32_e32 v68, 0x80
	s_and_saveexec_b32 s31, vcc_lo
	s_cbranch_execz .LBB2_5865
; %bb.5858:                             ;   in Loop: Header=BB2_5836 Depth=3
	v_mov_b32_e32 v68, 0
	s_mov_b32 s34, exec_lo
	v_cmpx_ne_u32_e32 0, v160
	s_cbranch_execz .LBB2_5864
; %bb.5859:                             ;   in Loop: Header=BB2_5836 Depth=3
	v_bfe_u32 v68, v160, 23, 8
	v_and_b32_e32 v151, 0x7fffff, v160
	s_delay_alu instid0(VALU_DEP_2) | instskip(SKIP_1) | instid1(VALU_DEP_3)
	v_sub_nc_u32_e32 v161, 0x78, v68
	v_cmp_gt_u32_e32 vcc_lo, 0x79, v68
	v_or_b32_e32 v162, 0x800000, v151
	s_delay_alu instid0(VALU_DEP_3) | instskip(SKIP_2) | instid1(VALU_DEP_3)
	v_cndmask_b32_e32 v161, 0, v161, vcc_lo
	v_cmp_eq_u32_e32 vcc_lo, 0, v68
	v_add_nc_u32_e32 v68, 0xffffff89, v68
	v_cndmask_b32_e64 v161, v161, 0x77, vcc_lo
	v_cndmask_b32_e32 v151, v162, v151, vcc_lo
	s_delay_alu instid0(VALU_DEP_3) | instskip(NEXT) | instid1(VALU_DEP_3)
	v_cndmask_b32_e64 v68, v68, 0xffffff8a, vcc_lo
	v_lshl_add_u32 v162, 0x100000, v161, -1
	s_delay_alu instid0(VALU_DEP_3) | instskip(SKIP_1) | instid1(VALU_DEP_4)
	v_lshrrev_b32_e32 v163, v161, v151
	v_lshlrev_b32_e64 v165, v161, 0x80000
	v_add_nc_u32_e32 v161, v161, v68
	s_delay_alu instid0(VALU_DEP_4) | instskip(NEXT) | instid1(VALU_DEP_4)
	v_and_b32_e32 v151, v162, v151
	v_bfe_u32 v164, v163, 20, 1
	s_delay_alu instid0(VALU_DEP_2) | instskip(NEXT) | instid1(VALU_DEP_2)
	v_cmp_eq_u32_e64 s13, v151, v165
	v_add_nc_u32_e32 v162, -1, v164
	s_delay_alu instid0(VALU_DEP_1) | instskip(SKIP_2) | instid1(VALU_DEP_2)
	v_cndmask_b32_e64 v151, 0, v162, s13
	v_lshrrev_b32_e32 v162, 23, v163
	s_mov_b32 s13, exec_lo
	v_add_nc_u32_e32 v151, v151, v163
	s_delay_alu instid0(VALU_DEP_2) | instskip(NEXT) | instid1(VALU_DEP_2)
	v_xor_b32_e32 v162, 1, v162
	v_and_b32_e32 v68, 0xfffff, v151
	s_delay_alu instid0(VALU_DEP_1) | instskip(NEXT) | instid1(VALU_DEP_3)
	v_add_nc_u32_e32 v151, v68, v163
                                        ; implicit-def: $vgpr68
	v_cmpx_ne_u32_e64 v161, v162
	s_xor_b32 s13, exec_lo, s13
; %bb.5860:                             ;   in Loop: Header=BB2_5836 Depth=3
	s_delay_alu instid0(VALU_DEP_2) | instskip(SKIP_2) | instid1(VALU_DEP_2)
	v_cmp_lt_u32_e32 vcc_lo, 0xffffff, v151
	v_sub_nc_u32_e32 v68, v161, v162
	v_cndmask_b32_e64 v161, 0, 1, vcc_lo
	v_add_co_ci_u32_e32 v68, vcc_lo, 0, v68, vcc_lo
	s_delay_alu instid0(VALU_DEP_2)
	v_lshrrev_b32_e32 v151, v161, v151
; %bb.5861:                             ;   in Loop: Header=BB2_5836 Depth=3
	s_and_not1_saveexec_b32 s13, s13
; %bb.5862:                             ;   in Loop: Header=BB2_5836 Depth=3
	s_delay_alu instid0(VALU_DEP_1)
	v_bfe_u32 v68, v151, 23, 1
; %bb.5863:                             ;   in Loop: Header=BB2_5836 Depth=3
	s_or_b32 exec_lo, exec_lo, s13
	v_lshrrev_b32_e32 v151, 20, v151
	s_delay_alu instid0(VALU_DEP_2) | instskip(SKIP_2) | instid1(VALU_DEP_2)
	v_cmp_gt_i32_e32 vcc_lo, 16, v68
	v_lshrrev_b32_e32 v160, 24, v160
	v_min_i32_e32 v161, 15, v68
	v_dual_cndmask_b32 v151, 7, v151 :: v_dual_and_b32 v160, 0x80, v160
	s_delay_alu instid0(VALU_DEP_1) | instskip(SKIP_1) | instid1(VALU_DEP_2)
	v_or_b32_e32 v68, v68, v151
	v_and_b32_e32 v162, 7, v151
	v_cmp_ne_u32_e32 vcc_lo, 0, v68
	v_lshlrev_b32_e32 v161, 3, v161
	s_delay_alu instid0(VALU_DEP_1) | instskip(NEXT) | instid1(VALU_DEP_1)
	v_or3_b32 v151, v161, v160, v162
	v_cndmask_b32_e32 v68, 0, v151, vcc_lo
.LBB2_5864:                             ;   in Loop: Header=BB2_5836 Depth=3
	s_or_b32 exec_lo, exec_lo, s34
.LBB2_5865:                             ;   in Loop: Header=BB2_5836 Depth=3
	s_delay_alu instid0(SALU_CYCLE_1) | instskip(NEXT) | instid1(SALU_CYCLE_1)
	s_or_b32 exec_lo, exec_lo, s31
	s_and_not1_b32 vcc_lo, exec_lo, s16
	s_cbranch_vccnz .LBB2_5875
; %bb.5866:                             ;   in Loop: Header=BB2_5836 Depth=3
	v_and_b32_e32 v160, 0xff, v150
	s_mov_b32 s13, 0
	s_mov_b32 s34, exec_lo
                                        ; implicit-def: $sgpr31
	s_delay_alu instid0(VALU_DEP_1)
	v_cmpx_lt_i16_e64 0x7f, v160
	s_xor_b32 s34, exec_lo, s34
	s_cbranch_execnz .LBB2_6082
; %bb.5867:                             ;   in Loop: Header=BB2_5836 Depth=3
	s_or_saveexec_b32 s34, s34
	v_mov_b32_e32 v151, s31
	s_xor_b32 exec_lo, exec_lo, s34
	s_cbranch_execnz .LBB2_6085
.LBB2_5868:                             ;   in Loop: Header=BB2_5836 Depth=3
	s_or_b32 exec_lo, exec_lo, s34
	s_and_saveexec_b32 s31, s13
	s_cbranch_execz .LBB2_5870
.LBB2_5869:                             ;   in Loop: Header=BB2_5836 Depth=3
	v_lshrrev_b16 v162, 3, v150
	v_lshlrev_b32_e32 v163, 24, v150
	s_delay_alu instid0(VALU_DEP_2) | instskip(NEXT) | instid1(VALU_DEP_1)
	v_and_b32_e32 v162, 15, v162
	v_cmp_eq_u32_e32 vcc_lo, 0, v162
	v_and_b32_e32 v151, 7, v150
	s_delay_alu instid0(VALU_DEP_1) | instskip(NEXT) | instid1(VALU_DEP_1)
	v_clz_i32_u32_e32 v160, v151
	v_min_u32_e32 v160, 32, v160
	s_delay_alu instid0(VALU_DEP_1) | instskip(SKIP_1) | instid1(VALU_DEP_1)
	v_subrev_nc_u32_e32 v161, 28, v160
	v_sub_nc_u32_e32 v160, 29, v160
	v_dual_cndmask_b32 v160, v162, v160 :: v_dual_lshlrev_b32 v161, v161, v150
	s_delay_alu instid0(VALU_DEP_1) | instskip(NEXT) | instid1(VALU_DEP_2)
	v_and_b32_e32 v161, 7, v161
	v_lshl_add_u32 v160, v160, 23, 0x3b800000
	s_delay_alu instid0(VALU_DEP_2) | instskip(SKIP_1) | instid1(VALU_DEP_2)
	v_cndmask_b32_e32 v151, v151, v161, vcc_lo
	v_and_b32_e32 v161, 0x80000000, v163
	v_lshlrev_b32_e32 v151, 20, v151
	s_delay_alu instid0(VALU_DEP_1)
	v_or3_b32 v151, v161, v160, v151
.LBB2_5870:                             ;   in Loop: Header=BB2_5836 Depth=3
	s_or_b32 exec_lo, exec_lo, s31
	s_waitcnt vmcnt(6) lgkmcnt(6)
	v_and_b32_e32 v161, 0xff, v71
	s_mov_b32 s13, 0
	s_mov_b32 s34, exec_lo
                                        ; implicit-def: $sgpr31
	s_delay_alu instid0(VALU_DEP_1)
	v_cmpx_lt_i16_e64 0x7f, v161
	s_xor_b32 s34, exec_lo, s34
	s_cbranch_execnz .LBB2_6086
; %bb.5871:                             ;   in Loop: Header=BB2_5836 Depth=3
	s_or_saveexec_b32 s34, s34
	v_mov_b32_e32 v160, s31
	s_xor_b32 exec_lo, exec_lo, s34
	s_cbranch_execnz .LBB2_6089
.LBB2_5872:                             ;   in Loop: Header=BB2_5836 Depth=3
	s_or_b32 exec_lo, exec_lo, s34
	s_and_saveexec_b32 s31, s13
	s_cbranch_execz .LBB2_5874
.LBB2_5873:                             ;   in Loop: Header=BB2_5836 Depth=3
	v_lshrrev_b16 v163, 3, v71
	v_lshlrev_b32_e32 v164, 24, v71
	s_delay_alu instid0(VALU_DEP_2) | instskip(NEXT) | instid1(VALU_DEP_1)
	v_and_b32_e32 v163, 15, v163
	v_cmp_eq_u32_e32 vcc_lo, 0, v163
	v_and_b32_e32 v160, 7, v71
	s_delay_alu instid0(VALU_DEP_1) | instskip(NEXT) | instid1(VALU_DEP_1)
	v_clz_i32_u32_e32 v161, v160
	v_min_u32_e32 v161, 32, v161
	s_delay_alu instid0(VALU_DEP_1) | instskip(SKIP_1) | instid1(VALU_DEP_1)
	v_subrev_nc_u32_e32 v162, 28, v161
	v_sub_nc_u32_e32 v161, 29, v161
	v_dual_cndmask_b32 v161, v163, v161 :: v_dual_lshlrev_b32 v162, v162, v71
	s_delay_alu instid0(VALU_DEP_1) | instskip(NEXT) | instid1(VALU_DEP_2)
	v_and_b32_e32 v162, 7, v162
	v_lshl_add_u32 v161, v161, 23, 0x3b800000
	s_delay_alu instid0(VALU_DEP_2) | instskip(SKIP_1) | instid1(VALU_DEP_2)
	v_cndmask_b32_e32 v160, v160, v162, vcc_lo
	v_and_b32_e32 v162, 0x80000000, v164
	v_lshlrev_b32_e32 v160, 20, v160
	s_delay_alu instid0(VALU_DEP_1)
	v_or3_b32 v160, v162, v161, v160
.LBB2_5874:                             ;   in Loop: Header=BB2_5836 Depth=3
	s_or_b32 exec_lo, exec_lo, s31
	s_delay_alu instid0(VALU_DEP_1) | instskip(SKIP_1) | instid1(VALU_DEP_1)
	v_dual_max_f32 v160, v160, v160 :: v_dual_max_f32 v151, v151, v151
	s_mov_b32 s13, 0
	v_max_f32_e32 v151, v151, v160
	s_branch .LBB2_5876
.LBB2_5875:                             ;   in Loop: Header=BB2_5836 Depth=3
	s_mov_b32 s13, -1
                                        ; implicit-def: $vgpr151
.LBB2_5876:                             ;   in Loop: Header=BB2_5836 Depth=3
	s_delay_alu instid0(SALU_CYCLE_1)
	s_and_b32 vcc_lo, exec_lo, s13
	s_cbranch_vccz .LBB2_5886
; %bb.5877:                             ;   in Loop: Header=BB2_5836 Depth=3
	v_and_b32_e32 v160, 0xff, v150
	s_mov_b32 s13, 0
	s_mov_b32 s34, exec_lo
                                        ; implicit-def: $sgpr31
	s_delay_alu instid0(VALU_DEP_1)
	v_cmpx_lt_i16_e64 0x7f, v160
	s_xor_b32 s34, exec_lo, s34
	s_cbranch_execnz .LBB2_6090
; %bb.5878:                             ;   in Loop: Header=BB2_5836 Depth=3
	s_or_saveexec_b32 s34, s34
	v_mov_b32_e32 v151, s31
	s_xor_b32 exec_lo, exec_lo, s34
	s_cbranch_execnz .LBB2_6093
.LBB2_5879:                             ;   in Loop: Header=BB2_5836 Depth=3
	s_or_b32 exec_lo, exec_lo, s34
	s_and_saveexec_b32 s31, s13
	s_cbranch_execz .LBB2_5881
.LBB2_5880:                             ;   in Loop: Header=BB2_5836 Depth=3
	v_lshrrev_b16 v162, 3, v150
	s_delay_alu instid0(VALU_DEP_1) | instskip(NEXT) | instid1(VALU_DEP_1)
	v_and_b32_e32 v162, 15, v162
	v_cmp_eq_u32_e32 vcc_lo, 0, v162
	v_and_b32_e32 v151, 7, v150
	s_delay_alu instid0(VALU_DEP_1) | instskip(NEXT) | instid1(VALU_DEP_1)
	v_clz_i32_u32_e32 v160, v151
	v_min_u32_e32 v160, 32, v160
	s_delay_alu instid0(VALU_DEP_1) | instskip(SKIP_1) | instid1(VALU_DEP_1)
	v_subrev_nc_u32_e32 v161, 28, v160
	v_sub_nc_u32_e32 v160, 29, v160
	v_dual_cndmask_b32 v160, v162, v160 :: v_dual_lshlrev_b32 v161, v161, v150
	v_lshlrev_b32_e32 v150, 24, v150
	s_delay_alu instid0(VALU_DEP_2) | instskip(NEXT) | instid1(VALU_DEP_3)
	v_and_b32_e32 v161, 7, v161
	v_lshl_add_u32 v160, v160, 23, 0x3b800000
	s_delay_alu instid0(VALU_DEP_2) | instskip(NEXT) | instid1(VALU_DEP_1)
	v_dual_cndmask_b32 v151, v151, v161 :: v_dual_and_b32 v150, 0x80000000, v150
	v_lshlrev_b32_e32 v151, 20, v151
	s_delay_alu instid0(VALU_DEP_1)
	v_or3_b32 v151, v150, v160, v151
.LBB2_5881:                             ;   in Loop: Header=BB2_5836 Depth=3
	s_or_b32 exec_lo, exec_lo, s31
	s_waitcnt vmcnt(6) lgkmcnt(6)
	v_and_b32_e32 v160, 0xff, v71
	s_mov_b32 s13, 0
	s_mov_b32 s34, exec_lo
                                        ; implicit-def: $sgpr31
	s_delay_alu instid0(VALU_DEP_1)
	v_cmpx_lt_i16_e64 0x7f, v160
	s_xor_b32 s34, exec_lo, s34
	s_cbranch_execnz .LBB2_6094
; %bb.5882:                             ;   in Loop: Header=BB2_5836 Depth=3
	s_or_saveexec_b32 s34, s34
	v_mov_b32_e32 v150, s31
	s_xor_b32 exec_lo, exec_lo, s34
	s_cbranch_execnz .LBB2_6097
.LBB2_5883:                             ;   in Loop: Header=BB2_5836 Depth=3
	s_or_b32 exec_lo, exec_lo, s34
	s_and_saveexec_b32 s31, s13
	s_cbranch_execz .LBB2_5885
.LBB2_5884:                             ;   in Loop: Header=BB2_5836 Depth=3
	v_and_b32_e32 v150, 7, v71
	v_lshrrev_b16 v162, 3, v71
	s_delay_alu instid0(VALU_DEP_2) | instskip(NEXT) | instid1(VALU_DEP_2)
	v_clz_i32_u32_e32 v160, v150
	v_and_b32_e32 v162, 15, v162
	s_delay_alu instid0(VALU_DEP_2) | instskip(NEXT) | instid1(VALU_DEP_2)
	v_min_u32_e32 v160, 32, v160
	v_cmp_eq_u32_e32 vcc_lo, 0, v162
	s_delay_alu instid0(VALU_DEP_2) | instskip(SKIP_1) | instid1(VALU_DEP_1)
	v_subrev_nc_u32_e32 v161, 28, v160
	v_sub_nc_u32_e32 v160, 29, v160
	v_dual_cndmask_b32 v160, v162, v160 :: v_dual_lshlrev_b32 v161, v161, v71
	s_delay_alu instid0(VALU_DEP_1) | instskip(SKIP_1) | instid1(VALU_DEP_3)
	v_and_b32_e32 v161, 7, v161
	v_lshlrev_b32_e32 v71, 24, v71
	v_lshl_add_u32 v160, v160, 23, 0x3b800000
	s_delay_alu instid0(VALU_DEP_2) | instskip(NEXT) | instid1(VALU_DEP_1)
	v_dual_cndmask_b32 v150, v150, v161 :: v_dual_and_b32 v71, 0x80000000, v71
	v_lshlrev_b32_e32 v150, 20, v150
	s_delay_alu instid0(VALU_DEP_1)
	v_or3_b32 v150, v71, v160, v150
.LBB2_5885:                             ;   in Loop: Header=BB2_5836 Depth=3
	s_or_b32 exec_lo, exec_lo, s31
	s_delay_alu instid0(VALU_DEP_1) | instskip(NEXT) | instid1(VALU_DEP_1)
	v_dual_max_f32 v71, v150, v150 :: v_dual_max_f32 v150, v151, v151
	v_min_f32_e32 v151, v150, v71
.LBB2_5886:                             ;   in Loop: Header=BB2_5836 Depth=3
	s_waitcnt vmcnt(6) lgkmcnt(6)
	s_delay_alu instid0(VALU_DEP_1) | instskip(NEXT) | instid1(VALU_DEP_1)
	v_and_b32_e32 v71, 0x7f800000, v151
	v_cmp_ne_u32_e32 vcc_lo, 0x7f800000, v71
	v_mov_b32_e32 v71, 0x80
	s_and_saveexec_b32 s31, vcc_lo
	s_cbranch_execz .LBB2_5894
; %bb.5887:                             ;   in Loop: Header=BB2_5836 Depth=3
	v_mov_b32_e32 v71, 0
	s_mov_b32 s34, exec_lo
	v_cmpx_ne_u32_e32 0, v151
	s_cbranch_execz .LBB2_5893
; %bb.5888:                             ;   in Loop: Header=BB2_5836 Depth=3
	v_bfe_u32 v71, v151, 23, 8
	v_and_b32_e32 v150, 0x7fffff, v151
	s_delay_alu instid0(VALU_DEP_2) | instskip(SKIP_1) | instid1(VALU_DEP_3)
	v_sub_nc_u32_e32 v160, 0x78, v71
	v_cmp_gt_u32_e32 vcc_lo, 0x79, v71
	v_or_b32_e32 v161, 0x800000, v150
	s_delay_alu instid0(VALU_DEP_3) | instskip(SKIP_2) | instid1(VALU_DEP_3)
	v_cndmask_b32_e32 v160, 0, v160, vcc_lo
	v_cmp_eq_u32_e32 vcc_lo, 0, v71
	v_add_nc_u32_e32 v71, 0xffffff89, v71
	v_cndmask_b32_e64 v160, v160, 0x77, vcc_lo
	v_cndmask_b32_e32 v150, v161, v150, vcc_lo
	s_delay_alu instid0(VALU_DEP_3) | instskip(NEXT) | instid1(VALU_DEP_3)
	v_cndmask_b32_e64 v71, v71, 0xffffff8a, vcc_lo
	v_lshl_add_u32 v161, 0x100000, v160, -1
	s_delay_alu instid0(VALU_DEP_3) | instskip(SKIP_1) | instid1(VALU_DEP_4)
	v_lshrrev_b32_e32 v162, v160, v150
	v_lshlrev_b32_e64 v164, v160, 0x80000
	v_add_nc_u32_e32 v160, v160, v71
	s_delay_alu instid0(VALU_DEP_4) | instskip(NEXT) | instid1(VALU_DEP_4)
	v_and_b32_e32 v150, v161, v150
	v_bfe_u32 v163, v162, 20, 1
	s_delay_alu instid0(VALU_DEP_2) | instskip(NEXT) | instid1(VALU_DEP_2)
	v_cmp_eq_u32_e64 s13, v150, v164
	v_add_nc_u32_e32 v161, -1, v163
	s_delay_alu instid0(VALU_DEP_1) | instskip(SKIP_2) | instid1(VALU_DEP_2)
	v_cndmask_b32_e64 v150, 0, v161, s13
	v_lshrrev_b32_e32 v161, 23, v162
	s_mov_b32 s13, exec_lo
	v_add_nc_u32_e32 v150, v150, v162
	s_delay_alu instid0(VALU_DEP_2) | instskip(NEXT) | instid1(VALU_DEP_2)
	v_xor_b32_e32 v161, 1, v161
	v_and_b32_e32 v71, 0xfffff, v150
	s_delay_alu instid0(VALU_DEP_1) | instskip(NEXT) | instid1(VALU_DEP_3)
	v_add_nc_u32_e32 v150, v71, v162
                                        ; implicit-def: $vgpr71
	v_cmpx_ne_u32_e64 v160, v161
	s_xor_b32 s13, exec_lo, s13
; %bb.5889:                             ;   in Loop: Header=BB2_5836 Depth=3
	s_delay_alu instid0(VALU_DEP_2) | instskip(SKIP_2) | instid1(VALU_DEP_2)
	v_cmp_lt_u32_e32 vcc_lo, 0xffffff, v150
	v_sub_nc_u32_e32 v71, v160, v161
	v_cndmask_b32_e64 v160, 0, 1, vcc_lo
	v_add_co_ci_u32_e32 v71, vcc_lo, 0, v71, vcc_lo
	s_delay_alu instid0(VALU_DEP_2)
	v_lshrrev_b32_e32 v150, v160, v150
; %bb.5890:                             ;   in Loop: Header=BB2_5836 Depth=3
	s_and_not1_saveexec_b32 s13, s13
; %bb.5891:                             ;   in Loop: Header=BB2_5836 Depth=3
	s_delay_alu instid0(VALU_DEP_1)
	v_bfe_u32 v71, v150, 23, 1
; %bb.5892:                             ;   in Loop: Header=BB2_5836 Depth=3
	s_or_b32 exec_lo, exec_lo, s13
	v_lshrrev_b32_e32 v150, 20, v150
	s_delay_alu instid0(VALU_DEP_2) | instskip(SKIP_2) | instid1(VALU_DEP_2)
	v_cmp_gt_i32_e32 vcc_lo, 16, v71
	v_lshrrev_b32_e32 v151, 24, v151
	v_min_i32_e32 v160, 15, v71
	v_dual_cndmask_b32 v150, 7, v150 :: v_dual_and_b32 v151, 0x80, v151
	s_delay_alu instid0(VALU_DEP_1) | instskip(SKIP_1) | instid1(VALU_DEP_2)
	v_or_b32_e32 v71, v71, v150
	v_and_b32_e32 v161, 7, v150
	v_cmp_ne_u32_e32 vcc_lo, 0, v71
	v_lshlrev_b32_e32 v160, 3, v160
	s_delay_alu instid0(VALU_DEP_1) | instskip(NEXT) | instid1(VALU_DEP_1)
	v_or3_b32 v150, v160, v151, v161
	v_cndmask_b32_e32 v71, 0, v150, vcc_lo
.LBB2_5893:                             ;   in Loop: Header=BB2_5836 Depth=3
	s_or_b32 exec_lo, exec_lo, s34
.LBB2_5894:                             ;   in Loop: Header=BB2_5836 Depth=3
	s_delay_alu instid0(SALU_CYCLE_1) | instskip(NEXT) | instid1(SALU_CYCLE_1)
	s_or_b32 exec_lo, exec_lo, s31
	s_and_not1_b32 vcc_lo, exec_lo, s16
	s_cbranch_vccnz .LBB2_5904
; %bb.5895:                             ;   in Loop: Header=BB2_5836 Depth=3
	v_and_b32_e32 v151, 0xff, v149
	s_mov_b32 s13, 0
	s_mov_b32 s34, exec_lo
                                        ; implicit-def: $sgpr31
	s_delay_alu instid0(VALU_DEP_1)
	v_cmpx_lt_i16_e64 0x7f, v151
	s_xor_b32 s34, exec_lo, s34
	s_cbranch_execnz .LBB2_6098
; %bb.5896:                             ;   in Loop: Header=BB2_5836 Depth=3
	s_or_saveexec_b32 s34, s34
	v_mov_b32_e32 v150, s31
	s_xor_b32 exec_lo, exec_lo, s34
	s_cbranch_execnz .LBB2_6101
.LBB2_5897:                             ;   in Loop: Header=BB2_5836 Depth=3
	s_or_b32 exec_lo, exec_lo, s34
	s_and_saveexec_b32 s31, s13
	s_cbranch_execz .LBB2_5899
.LBB2_5898:                             ;   in Loop: Header=BB2_5836 Depth=3
	v_lshrrev_b16 v161, 3, v149
	v_lshlrev_b32_e32 v162, 24, v149
	s_delay_alu instid0(VALU_DEP_2) | instskip(NEXT) | instid1(VALU_DEP_1)
	v_and_b32_e32 v161, 15, v161
	v_cmp_eq_u32_e32 vcc_lo, 0, v161
	v_and_b32_e32 v150, 7, v149
	s_delay_alu instid0(VALU_DEP_1) | instskip(NEXT) | instid1(VALU_DEP_1)
	v_clz_i32_u32_e32 v151, v150
	v_min_u32_e32 v151, 32, v151
	s_delay_alu instid0(VALU_DEP_1) | instskip(SKIP_1) | instid1(VALU_DEP_1)
	v_subrev_nc_u32_e32 v160, 28, v151
	v_sub_nc_u32_e32 v151, 29, v151
	v_dual_cndmask_b32 v151, v161, v151 :: v_dual_lshlrev_b32 v160, v160, v149
	s_delay_alu instid0(VALU_DEP_1) | instskip(NEXT) | instid1(VALU_DEP_2)
	v_and_b32_e32 v160, 7, v160
	v_lshl_add_u32 v151, v151, 23, 0x3b800000
	s_delay_alu instid0(VALU_DEP_2) | instskip(SKIP_1) | instid1(VALU_DEP_2)
	v_cndmask_b32_e32 v150, v150, v160, vcc_lo
	v_and_b32_e32 v160, 0x80000000, v162
	v_lshlrev_b32_e32 v150, 20, v150
	s_delay_alu instid0(VALU_DEP_1)
	v_or3_b32 v150, v160, v151, v150
.LBB2_5899:                             ;   in Loop: Header=BB2_5836 Depth=3
	s_or_b32 exec_lo, exec_lo, s31
	s_waitcnt vmcnt(5) lgkmcnt(5)
	v_and_b32_e32 v160, 0xff, v144
	s_mov_b32 s13, 0
	s_mov_b32 s34, exec_lo
                                        ; implicit-def: $sgpr31
	s_delay_alu instid0(VALU_DEP_1)
	v_cmpx_lt_i16_e64 0x7f, v160
	s_xor_b32 s34, exec_lo, s34
	s_cbranch_execnz .LBB2_6102
; %bb.5900:                             ;   in Loop: Header=BB2_5836 Depth=3
	s_or_saveexec_b32 s34, s34
	v_mov_b32_e32 v151, s31
	s_xor_b32 exec_lo, exec_lo, s34
	s_cbranch_execnz .LBB2_6105
.LBB2_5901:                             ;   in Loop: Header=BB2_5836 Depth=3
	s_or_b32 exec_lo, exec_lo, s34
	s_and_saveexec_b32 s31, s13
	s_cbranch_execz .LBB2_5903
.LBB2_5902:                             ;   in Loop: Header=BB2_5836 Depth=3
	v_and_b32_e32 v151, 7, v144
	v_lshrrev_b16 v162, 3, v144
	v_lshlrev_b32_e32 v163, 24, v144
	s_delay_alu instid0(VALU_DEP_3) | instskip(NEXT) | instid1(VALU_DEP_1)
	v_clz_i32_u32_e32 v160, v151
	v_min_u32_e32 v160, 32, v160
	s_delay_alu instid0(VALU_DEP_1) | instskip(SKIP_1) | instid1(VALU_DEP_2)
	v_subrev_nc_u32_e32 v161, 28, v160
	v_sub_nc_u32_e32 v160, 29, v160
	v_lshlrev_b32_e32 v161, v161, v144
	s_delay_alu instid0(VALU_DEP_1) | instskip(SKIP_1) | instid1(VALU_DEP_1)
	v_and_b32_e32 v161, 7, v161
	v_and_b32_e32 v162, 15, v162
	v_cmp_eq_u32_e32 vcc_lo, 0, v162
	s_delay_alu instid0(VALU_DEP_3) | instskip(SKIP_1) | instid1(VALU_DEP_2)
	v_dual_cndmask_b32 v151, v151, v161 :: v_dual_cndmask_b32 v160, v162, v160
	v_and_b32_e32 v161, 0x80000000, v163
	v_lshlrev_b32_e32 v151, 20, v151
	s_delay_alu instid0(VALU_DEP_3) | instskip(NEXT) | instid1(VALU_DEP_1)
	v_lshl_add_u32 v160, v160, 23, 0x3b800000
	v_or3_b32 v151, v161, v160, v151
.LBB2_5903:                             ;   in Loop: Header=BB2_5836 Depth=3
	s_or_b32 exec_lo, exec_lo, s31
	s_delay_alu instid0(VALU_DEP_1) | instskip(SKIP_1) | instid1(VALU_DEP_1)
	v_dual_max_f32 v151, v151, v151 :: v_dual_max_f32 v150, v150, v150
	s_mov_b32 s13, 0
	v_max_f32_e32 v150, v150, v151
	s_branch .LBB2_5905
.LBB2_5904:                             ;   in Loop: Header=BB2_5836 Depth=3
	s_mov_b32 s13, -1
                                        ; implicit-def: $vgpr150
.LBB2_5905:                             ;   in Loop: Header=BB2_5836 Depth=3
	s_delay_alu instid0(SALU_CYCLE_1)
	s_and_b32 vcc_lo, exec_lo, s13
	s_cbranch_vccz .LBB2_5915
; %bb.5906:                             ;   in Loop: Header=BB2_5836 Depth=3
	v_and_b32_e32 v151, 0xff, v149
	s_mov_b32 s13, 0
	s_mov_b32 s34, exec_lo
                                        ; implicit-def: $sgpr31
	s_delay_alu instid0(VALU_DEP_1)
	v_cmpx_lt_i16_e64 0x7f, v151
	s_xor_b32 s34, exec_lo, s34
	s_cbranch_execnz .LBB2_6106
; %bb.5907:                             ;   in Loop: Header=BB2_5836 Depth=3
	s_or_saveexec_b32 s34, s34
	v_mov_b32_e32 v150, s31
	s_xor_b32 exec_lo, exec_lo, s34
	s_cbranch_execnz .LBB2_6109
.LBB2_5908:                             ;   in Loop: Header=BB2_5836 Depth=3
	s_or_b32 exec_lo, exec_lo, s34
	s_and_saveexec_b32 s31, s13
	s_cbranch_execz .LBB2_5910
.LBB2_5909:                             ;   in Loop: Header=BB2_5836 Depth=3
	v_lshrrev_b16 v161, 3, v149
	s_delay_alu instid0(VALU_DEP_1) | instskip(NEXT) | instid1(VALU_DEP_1)
	v_and_b32_e32 v161, 15, v161
	v_cmp_eq_u32_e32 vcc_lo, 0, v161
	v_and_b32_e32 v150, 7, v149
	s_delay_alu instid0(VALU_DEP_1) | instskip(NEXT) | instid1(VALU_DEP_1)
	v_clz_i32_u32_e32 v151, v150
	v_min_u32_e32 v151, 32, v151
	s_delay_alu instid0(VALU_DEP_1) | instskip(SKIP_1) | instid1(VALU_DEP_1)
	v_subrev_nc_u32_e32 v160, 28, v151
	v_sub_nc_u32_e32 v151, 29, v151
	v_dual_cndmask_b32 v151, v161, v151 :: v_dual_lshlrev_b32 v160, v160, v149
	v_lshlrev_b32_e32 v149, 24, v149
	s_delay_alu instid0(VALU_DEP_2) | instskip(NEXT) | instid1(VALU_DEP_3)
	v_and_b32_e32 v160, 7, v160
	v_lshl_add_u32 v151, v151, 23, 0x3b800000
	s_delay_alu instid0(VALU_DEP_2) | instskip(NEXT) | instid1(VALU_DEP_1)
	v_dual_cndmask_b32 v150, v150, v160 :: v_dual_and_b32 v149, 0x80000000, v149
	v_lshlrev_b32_e32 v150, 20, v150
	s_delay_alu instid0(VALU_DEP_1)
	v_or3_b32 v150, v149, v151, v150
.LBB2_5910:                             ;   in Loop: Header=BB2_5836 Depth=3
	s_or_b32 exec_lo, exec_lo, s31
	s_waitcnt vmcnt(5) lgkmcnt(5)
	v_and_b32_e32 v151, 0xff, v144
	s_mov_b32 s13, 0
	s_mov_b32 s34, exec_lo
                                        ; implicit-def: $sgpr31
	s_delay_alu instid0(VALU_DEP_1)
	v_cmpx_lt_i16_e64 0x7f, v151
	s_xor_b32 s34, exec_lo, s34
	s_cbranch_execnz .LBB2_6110
; %bb.5911:                             ;   in Loop: Header=BB2_5836 Depth=3
	s_or_saveexec_b32 s34, s34
	v_mov_b32_e32 v149, s31
	s_xor_b32 exec_lo, exec_lo, s34
	s_cbranch_execnz .LBB2_6113
.LBB2_5912:                             ;   in Loop: Header=BB2_5836 Depth=3
	s_or_b32 exec_lo, exec_lo, s34
	s_and_saveexec_b32 s31, s13
	s_cbranch_execz .LBB2_5914
.LBB2_5913:                             ;   in Loop: Header=BB2_5836 Depth=3
	v_and_b32_e32 v149, 7, v144
	v_lshrrev_b16 v161, 3, v144
	s_delay_alu instid0(VALU_DEP_2) | instskip(NEXT) | instid1(VALU_DEP_2)
	v_clz_i32_u32_e32 v151, v149
	v_and_b32_e32 v161, 15, v161
	s_delay_alu instid0(VALU_DEP_2) | instskip(NEXT) | instid1(VALU_DEP_2)
	v_min_u32_e32 v151, 32, v151
	v_cmp_eq_u32_e32 vcc_lo, 0, v161
	s_delay_alu instid0(VALU_DEP_2) | instskip(SKIP_1) | instid1(VALU_DEP_1)
	v_subrev_nc_u32_e32 v160, 28, v151
	v_sub_nc_u32_e32 v151, 29, v151
	v_dual_cndmask_b32 v151, v161, v151 :: v_dual_lshlrev_b32 v160, v160, v144
	v_lshlrev_b32_e32 v144, 24, v144
	s_delay_alu instid0(VALU_DEP_2) | instskip(NEXT) | instid1(VALU_DEP_3)
	v_and_b32_e32 v160, 7, v160
	v_lshl_add_u32 v151, v151, 23, 0x3b800000
	s_delay_alu instid0(VALU_DEP_3) | instskip(NEXT) | instid1(VALU_DEP_3)
	v_and_b32_e32 v144, 0x80000000, v144
	v_cndmask_b32_e32 v149, v149, v160, vcc_lo
	s_delay_alu instid0(VALU_DEP_1) | instskip(NEXT) | instid1(VALU_DEP_1)
	v_lshlrev_b32_e32 v149, 20, v149
	v_or3_b32 v149, v144, v151, v149
.LBB2_5914:                             ;   in Loop: Header=BB2_5836 Depth=3
	s_or_b32 exec_lo, exec_lo, s31
	s_delay_alu instid0(VALU_DEP_1) | instskip(NEXT) | instid1(VALU_DEP_1)
	v_dual_max_f32 v144, v149, v149 :: v_dual_max_f32 v149, v150, v150
	v_min_f32_e32 v150, v149, v144
.LBB2_5915:                             ;   in Loop: Header=BB2_5836 Depth=3
	s_waitcnt vmcnt(5) lgkmcnt(5)
	s_delay_alu instid0(VALU_DEP_1) | instskip(NEXT) | instid1(VALU_DEP_1)
	v_and_b32_e32 v144, 0x7f800000, v150
	v_cmp_ne_u32_e32 vcc_lo, 0x7f800000, v144
	v_mov_b32_e32 v144, 0x80
	s_and_saveexec_b32 s31, vcc_lo
	s_cbranch_execz .LBB2_5923
; %bb.5916:                             ;   in Loop: Header=BB2_5836 Depth=3
	v_mov_b32_e32 v144, 0
	s_mov_b32 s34, exec_lo
	v_cmpx_ne_u32_e32 0, v150
	s_cbranch_execz .LBB2_5922
; %bb.5917:                             ;   in Loop: Header=BB2_5836 Depth=3
	v_bfe_u32 v144, v150, 23, 8
	v_and_b32_e32 v149, 0x7fffff, v150
	s_delay_alu instid0(VALU_DEP_2) | instskip(SKIP_1) | instid1(VALU_DEP_3)
	v_sub_nc_u32_e32 v151, 0x78, v144
	v_cmp_gt_u32_e32 vcc_lo, 0x79, v144
	v_or_b32_e32 v160, 0x800000, v149
	s_delay_alu instid0(VALU_DEP_3) | instskip(SKIP_2) | instid1(VALU_DEP_3)
	v_cndmask_b32_e32 v151, 0, v151, vcc_lo
	v_cmp_eq_u32_e32 vcc_lo, 0, v144
	v_add_nc_u32_e32 v144, 0xffffff89, v144
	v_cndmask_b32_e64 v151, v151, 0x77, vcc_lo
	v_cndmask_b32_e32 v149, v160, v149, vcc_lo
	s_delay_alu instid0(VALU_DEP_3) | instskip(NEXT) | instid1(VALU_DEP_3)
	v_cndmask_b32_e64 v144, v144, 0xffffff8a, vcc_lo
	v_lshl_add_u32 v160, 0x100000, v151, -1
	s_delay_alu instid0(VALU_DEP_3) | instskip(SKIP_1) | instid1(VALU_DEP_4)
	v_lshrrev_b32_e32 v161, v151, v149
	v_lshlrev_b32_e64 v163, v151, 0x80000
	v_add_nc_u32_e32 v151, v151, v144
	s_delay_alu instid0(VALU_DEP_4) | instskip(NEXT) | instid1(VALU_DEP_4)
	v_and_b32_e32 v149, v160, v149
	v_bfe_u32 v162, v161, 20, 1
	s_delay_alu instid0(VALU_DEP_2) | instskip(NEXT) | instid1(VALU_DEP_2)
	v_cmp_eq_u32_e64 s13, v149, v163
	v_add_nc_u32_e32 v160, -1, v162
	s_delay_alu instid0(VALU_DEP_1) | instskip(SKIP_2) | instid1(VALU_DEP_2)
	v_cndmask_b32_e64 v149, 0, v160, s13
	v_lshrrev_b32_e32 v160, 23, v161
	s_mov_b32 s13, exec_lo
	v_add_nc_u32_e32 v149, v149, v161
	s_delay_alu instid0(VALU_DEP_2) | instskip(NEXT) | instid1(VALU_DEP_2)
	v_xor_b32_e32 v160, 1, v160
	v_and_b32_e32 v144, 0xfffff, v149
	s_delay_alu instid0(VALU_DEP_1) | instskip(NEXT) | instid1(VALU_DEP_3)
	v_add_nc_u32_e32 v149, v144, v161
                                        ; implicit-def: $vgpr144
	v_cmpx_ne_u32_e64 v151, v160
	s_xor_b32 s13, exec_lo, s13
; %bb.5918:                             ;   in Loop: Header=BB2_5836 Depth=3
	s_delay_alu instid0(VALU_DEP_2) | instskip(SKIP_2) | instid1(VALU_DEP_2)
	v_cmp_lt_u32_e32 vcc_lo, 0xffffff, v149
	v_sub_nc_u32_e32 v144, v151, v160
	v_cndmask_b32_e64 v151, 0, 1, vcc_lo
	v_add_co_ci_u32_e32 v144, vcc_lo, 0, v144, vcc_lo
	s_delay_alu instid0(VALU_DEP_2)
	v_lshrrev_b32_e32 v149, v151, v149
; %bb.5919:                             ;   in Loop: Header=BB2_5836 Depth=3
	s_and_not1_saveexec_b32 s13, s13
; %bb.5920:                             ;   in Loop: Header=BB2_5836 Depth=3
	s_delay_alu instid0(VALU_DEP_1)
	v_bfe_u32 v144, v149, 23, 1
; %bb.5921:                             ;   in Loop: Header=BB2_5836 Depth=3
	s_or_b32 exec_lo, exec_lo, s13
	v_lshrrev_b32_e32 v149, 20, v149
	s_delay_alu instid0(VALU_DEP_2) | instskip(SKIP_2) | instid1(VALU_DEP_2)
	v_cmp_gt_i32_e32 vcc_lo, 16, v144
	v_lshrrev_b32_e32 v150, 24, v150
	v_min_i32_e32 v151, 15, v144
	v_dual_cndmask_b32 v149, 7, v149 :: v_dual_and_b32 v150, 0x80, v150
	s_delay_alu instid0(VALU_DEP_1) | instskip(SKIP_1) | instid1(VALU_DEP_2)
	v_or_b32_e32 v144, v144, v149
	v_and_b32_e32 v160, 7, v149
	v_cmp_ne_u32_e32 vcc_lo, 0, v144
	v_lshlrev_b32_e32 v151, 3, v151
	s_delay_alu instid0(VALU_DEP_1) | instskip(NEXT) | instid1(VALU_DEP_1)
	v_or3_b32 v149, v151, v150, v160
	v_cndmask_b32_e32 v144, 0, v149, vcc_lo
.LBB2_5922:                             ;   in Loop: Header=BB2_5836 Depth=3
	s_or_b32 exec_lo, exec_lo, s34
.LBB2_5923:                             ;   in Loop: Header=BB2_5836 Depth=3
	s_delay_alu instid0(SALU_CYCLE_1) | instskip(NEXT) | instid1(SALU_CYCLE_1)
	s_or_b32 exec_lo, exec_lo, s31
	s_and_not1_b32 vcc_lo, exec_lo, s16
	s_cbranch_vccnz .LBB2_5933
; %bb.5924:                             ;   in Loop: Header=BB2_5836 Depth=3
	v_and_b32_e32 v150, 0xff, v148
	s_mov_b32 s13, 0
	s_mov_b32 s34, exec_lo
                                        ; implicit-def: $sgpr31
	s_delay_alu instid0(VALU_DEP_1)
	v_cmpx_lt_i16_e64 0x7f, v150
	s_xor_b32 s34, exec_lo, s34
	s_cbranch_execnz .LBB2_6114
; %bb.5925:                             ;   in Loop: Header=BB2_5836 Depth=3
	s_or_saveexec_b32 s34, s34
	v_mov_b32_e32 v149, s31
	s_xor_b32 exec_lo, exec_lo, s34
	s_cbranch_execnz .LBB2_6117
.LBB2_5926:                             ;   in Loop: Header=BB2_5836 Depth=3
	s_or_b32 exec_lo, exec_lo, s34
	s_and_saveexec_b32 s31, s13
	s_cbranch_execz .LBB2_5928
.LBB2_5927:                             ;   in Loop: Header=BB2_5836 Depth=3
	v_lshrrev_b16 v160, 3, v148
	v_lshlrev_b32_e32 v161, 24, v148
	s_delay_alu instid0(VALU_DEP_2) | instskip(NEXT) | instid1(VALU_DEP_1)
	v_and_b32_e32 v160, 15, v160
	v_cmp_eq_u32_e32 vcc_lo, 0, v160
	v_and_b32_e32 v149, 7, v148
	s_delay_alu instid0(VALU_DEP_1) | instskip(NEXT) | instid1(VALU_DEP_1)
	v_clz_i32_u32_e32 v150, v149
	v_min_u32_e32 v150, 32, v150
	s_delay_alu instid0(VALU_DEP_1) | instskip(SKIP_1) | instid1(VALU_DEP_1)
	v_subrev_nc_u32_e32 v151, 28, v150
	v_sub_nc_u32_e32 v150, 29, v150
	v_dual_cndmask_b32 v150, v160, v150 :: v_dual_lshlrev_b32 v151, v151, v148
	s_delay_alu instid0(VALU_DEP_1) | instskip(NEXT) | instid1(VALU_DEP_2)
	v_and_b32_e32 v151, 7, v151
	v_lshl_add_u32 v150, v150, 23, 0x3b800000
	s_delay_alu instid0(VALU_DEP_2) | instskip(SKIP_1) | instid1(VALU_DEP_2)
	v_cndmask_b32_e32 v149, v149, v151, vcc_lo
	v_and_b32_e32 v151, 0x80000000, v161
	v_lshlrev_b32_e32 v149, 20, v149
	s_delay_alu instid0(VALU_DEP_1)
	v_or3_b32 v149, v151, v150, v149
.LBB2_5928:                             ;   in Loop: Header=BB2_5836 Depth=3
	s_or_b32 exec_lo, exec_lo, s31
	s_waitcnt vmcnt(4) lgkmcnt(4)
	v_and_b32_e32 v151, 0xff, v147
	s_mov_b32 s13, 0
	s_mov_b32 s34, exec_lo
                                        ; implicit-def: $sgpr31
	s_delay_alu instid0(VALU_DEP_1)
	v_cmpx_lt_i16_e64 0x7f, v151
	s_xor_b32 s34, exec_lo, s34
	s_cbranch_execnz .LBB2_6118
; %bb.5929:                             ;   in Loop: Header=BB2_5836 Depth=3
	s_or_saveexec_b32 s34, s34
	v_mov_b32_e32 v150, s31
	s_xor_b32 exec_lo, exec_lo, s34
	s_cbranch_execnz .LBB2_6121
.LBB2_5930:                             ;   in Loop: Header=BB2_5836 Depth=3
	s_or_b32 exec_lo, exec_lo, s34
	s_and_saveexec_b32 s31, s13
	s_cbranch_execz .LBB2_5932
.LBB2_5931:                             ;   in Loop: Header=BB2_5836 Depth=3
	v_and_b32_e32 v150, 7, v147
	v_lshrrev_b16 v161, 3, v147
	v_lshlrev_b32_e32 v162, 24, v147
	s_delay_alu instid0(VALU_DEP_3) | instskip(NEXT) | instid1(VALU_DEP_1)
	v_clz_i32_u32_e32 v151, v150
	v_min_u32_e32 v151, 32, v151
	s_delay_alu instid0(VALU_DEP_1) | instskip(SKIP_1) | instid1(VALU_DEP_2)
	v_subrev_nc_u32_e32 v160, 28, v151
	v_sub_nc_u32_e32 v151, 29, v151
	v_lshlrev_b32_e32 v160, v160, v147
	s_delay_alu instid0(VALU_DEP_1) | instskip(SKIP_1) | instid1(VALU_DEP_1)
	v_and_b32_e32 v160, 7, v160
	v_and_b32_e32 v161, 15, v161
	v_cmp_eq_u32_e32 vcc_lo, 0, v161
	s_delay_alu instid0(VALU_DEP_3) | instskip(SKIP_1) | instid1(VALU_DEP_2)
	v_dual_cndmask_b32 v150, v150, v160 :: v_dual_cndmask_b32 v151, v161, v151
	v_and_b32_e32 v160, 0x80000000, v162
	v_lshlrev_b32_e32 v150, 20, v150
	s_delay_alu instid0(VALU_DEP_3) | instskip(NEXT) | instid1(VALU_DEP_1)
	v_lshl_add_u32 v151, v151, 23, 0x3b800000
	v_or3_b32 v150, v160, v151, v150
.LBB2_5932:                             ;   in Loop: Header=BB2_5836 Depth=3
	s_or_b32 exec_lo, exec_lo, s31
	s_delay_alu instid0(VALU_DEP_1) | instskip(SKIP_1) | instid1(VALU_DEP_1)
	v_dual_max_f32 v150, v150, v150 :: v_dual_max_f32 v149, v149, v149
	s_mov_b32 s13, 0
	v_max_f32_e32 v149, v149, v150
	s_branch .LBB2_5934
.LBB2_5933:                             ;   in Loop: Header=BB2_5836 Depth=3
	s_mov_b32 s13, -1
                                        ; implicit-def: $vgpr149
.LBB2_5934:                             ;   in Loop: Header=BB2_5836 Depth=3
	s_delay_alu instid0(SALU_CYCLE_1)
	s_and_b32 vcc_lo, exec_lo, s13
	s_cbranch_vccz .LBB2_5944
; %bb.5935:                             ;   in Loop: Header=BB2_5836 Depth=3
	v_and_b32_e32 v150, 0xff, v148
	s_mov_b32 s13, 0
	s_mov_b32 s34, exec_lo
                                        ; implicit-def: $sgpr31
	s_delay_alu instid0(VALU_DEP_1)
	v_cmpx_lt_i16_e64 0x7f, v150
	s_xor_b32 s34, exec_lo, s34
	s_cbranch_execnz .LBB2_6122
; %bb.5936:                             ;   in Loop: Header=BB2_5836 Depth=3
	s_or_saveexec_b32 s34, s34
	v_mov_b32_e32 v149, s31
	s_xor_b32 exec_lo, exec_lo, s34
	s_cbranch_execnz .LBB2_6125
.LBB2_5937:                             ;   in Loop: Header=BB2_5836 Depth=3
	s_or_b32 exec_lo, exec_lo, s34
	s_and_saveexec_b32 s31, s13
	s_cbranch_execz .LBB2_5939
.LBB2_5938:                             ;   in Loop: Header=BB2_5836 Depth=3
	v_lshrrev_b16 v160, 3, v148
	s_delay_alu instid0(VALU_DEP_1) | instskip(NEXT) | instid1(VALU_DEP_1)
	v_and_b32_e32 v160, 15, v160
	v_cmp_eq_u32_e32 vcc_lo, 0, v160
	v_and_b32_e32 v149, 7, v148
	s_delay_alu instid0(VALU_DEP_1) | instskip(NEXT) | instid1(VALU_DEP_1)
	v_clz_i32_u32_e32 v150, v149
	v_min_u32_e32 v150, 32, v150
	s_delay_alu instid0(VALU_DEP_1) | instskip(SKIP_1) | instid1(VALU_DEP_1)
	v_subrev_nc_u32_e32 v151, 28, v150
	v_sub_nc_u32_e32 v150, 29, v150
	v_dual_cndmask_b32 v150, v160, v150 :: v_dual_lshlrev_b32 v151, v151, v148
	v_lshlrev_b32_e32 v148, 24, v148
	s_delay_alu instid0(VALU_DEP_2) | instskip(NEXT) | instid1(VALU_DEP_3)
	v_and_b32_e32 v151, 7, v151
	v_lshl_add_u32 v150, v150, 23, 0x3b800000
	s_delay_alu instid0(VALU_DEP_2) | instskip(NEXT) | instid1(VALU_DEP_1)
	v_dual_cndmask_b32 v149, v149, v151 :: v_dual_and_b32 v148, 0x80000000, v148
	v_lshlrev_b32_e32 v149, 20, v149
	s_delay_alu instid0(VALU_DEP_1)
	v_or3_b32 v149, v148, v150, v149
.LBB2_5939:                             ;   in Loop: Header=BB2_5836 Depth=3
	s_or_b32 exec_lo, exec_lo, s31
	s_waitcnt vmcnt(4) lgkmcnt(4)
	v_and_b32_e32 v150, 0xff, v147
	s_mov_b32 s13, 0
	s_mov_b32 s34, exec_lo
                                        ; implicit-def: $sgpr31
	s_delay_alu instid0(VALU_DEP_1)
	v_cmpx_lt_i16_e64 0x7f, v150
	s_xor_b32 s34, exec_lo, s34
	s_cbranch_execnz .LBB2_6126
; %bb.5940:                             ;   in Loop: Header=BB2_5836 Depth=3
	s_or_saveexec_b32 s34, s34
	v_mov_b32_e32 v148, s31
	s_xor_b32 exec_lo, exec_lo, s34
	s_cbranch_execnz .LBB2_6129
.LBB2_5941:                             ;   in Loop: Header=BB2_5836 Depth=3
	s_or_b32 exec_lo, exec_lo, s34
	s_and_saveexec_b32 s31, s13
	s_cbranch_execz .LBB2_5943
.LBB2_5942:                             ;   in Loop: Header=BB2_5836 Depth=3
	v_and_b32_e32 v148, 7, v147
	v_lshrrev_b16 v160, 3, v147
	s_delay_alu instid0(VALU_DEP_2) | instskip(NEXT) | instid1(VALU_DEP_2)
	v_clz_i32_u32_e32 v150, v148
	v_and_b32_e32 v160, 15, v160
	s_delay_alu instid0(VALU_DEP_2) | instskip(NEXT) | instid1(VALU_DEP_2)
	v_min_u32_e32 v150, 32, v150
	v_cmp_eq_u32_e32 vcc_lo, 0, v160
	s_delay_alu instid0(VALU_DEP_2) | instskip(SKIP_1) | instid1(VALU_DEP_1)
	v_subrev_nc_u32_e32 v151, 28, v150
	v_sub_nc_u32_e32 v150, 29, v150
	v_dual_cndmask_b32 v150, v160, v150 :: v_dual_lshlrev_b32 v151, v151, v147
	v_lshlrev_b32_e32 v147, 24, v147
	s_delay_alu instid0(VALU_DEP_2) | instskip(NEXT) | instid1(VALU_DEP_3)
	v_and_b32_e32 v151, 7, v151
	v_lshl_add_u32 v150, v150, 23, 0x3b800000
	s_delay_alu instid0(VALU_DEP_3) | instskip(NEXT) | instid1(VALU_DEP_3)
	v_and_b32_e32 v147, 0x80000000, v147
	v_cndmask_b32_e32 v148, v148, v151, vcc_lo
	s_delay_alu instid0(VALU_DEP_1) | instskip(NEXT) | instid1(VALU_DEP_1)
	v_lshlrev_b32_e32 v148, 20, v148
	v_or3_b32 v148, v147, v150, v148
.LBB2_5943:                             ;   in Loop: Header=BB2_5836 Depth=3
	s_or_b32 exec_lo, exec_lo, s31
	s_delay_alu instid0(VALU_DEP_1) | instskip(NEXT) | instid1(VALU_DEP_1)
	v_dual_max_f32 v147, v148, v148 :: v_dual_max_f32 v148, v149, v149
	v_min_f32_e32 v149, v148, v147
.LBB2_5944:                             ;   in Loop: Header=BB2_5836 Depth=3
	s_waitcnt vmcnt(4) lgkmcnt(4)
	s_delay_alu instid0(VALU_DEP_1) | instskip(NEXT) | instid1(VALU_DEP_1)
	v_and_b32_e32 v147, 0x7f800000, v149
	v_cmp_ne_u32_e32 vcc_lo, 0x7f800000, v147
	v_mov_b32_e32 v147, 0x80
	s_and_saveexec_b32 s31, vcc_lo
	s_cbranch_execz .LBB2_5952
; %bb.5945:                             ;   in Loop: Header=BB2_5836 Depth=3
	v_mov_b32_e32 v147, 0
	s_mov_b32 s34, exec_lo
	v_cmpx_ne_u32_e32 0, v149
	s_cbranch_execz .LBB2_5951
; %bb.5946:                             ;   in Loop: Header=BB2_5836 Depth=3
	v_bfe_u32 v147, v149, 23, 8
	v_and_b32_e32 v148, 0x7fffff, v149
	s_delay_alu instid0(VALU_DEP_2) | instskip(SKIP_1) | instid1(VALU_DEP_3)
	v_sub_nc_u32_e32 v150, 0x78, v147
	v_cmp_gt_u32_e32 vcc_lo, 0x79, v147
	v_or_b32_e32 v151, 0x800000, v148
	s_delay_alu instid0(VALU_DEP_3) | instskip(SKIP_2) | instid1(VALU_DEP_3)
	v_cndmask_b32_e32 v150, 0, v150, vcc_lo
	v_cmp_eq_u32_e32 vcc_lo, 0, v147
	v_add_nc_u32_e32 v147, 0xffffff89, v147
	v_cndmask_b32_e64 v150, v150, 0x77, vcc_lo
	v_cndmask_b32_e32 v148, v151, v148, vcc_lo
	s_delay_alu instid0(VALU_DEP_3) | instskip(NEXT) | instid1(VALU_DEP_3)
	v_cndmask_b32_e64 v147, v147, 0xffffff8a, vcc_lo
	v_lshl_add_u32 v151, 0x100000, v150, -1
	s_delay_alu instid0(VALU_DEP_3) | instskip(SKIP_1) | instid1(VALU_DEP_4)
	v_lshrrev_b32_e32 v160, v150, v148
	v_lshlrev_b32_e64 v162, v150, 0x80000
	v_add_nc_u32_e32 v150, v150, v147
	s_delay_alu instid0(VALU_DEP_4) | instskip(NEXT) | instid1(VALU_DEP_4)
	v_and_b32_e32 v148, v151, v148
	v_bfe_u32 v161, v160, 20, 1
	s_delay_alu instid0(VALU_DEP_2) | instskip(NEXT) | instid1(VALU_DEP_2)
	v_cmp_eq_u32_e64 s13, v148, v162
	v_add_nc_u32_e32 v151, -1, v161
	s_delay_alu instid0(VALU_DEP_1) | instskip(SKIP_2) | instid1(VALU_DEP_2)
	v_cndmask_b32_e64 v148, 0, v151, s13
	v_lshrrev_b32_e32 v151, 23, v160
	s_mov_b32 s13, exec_lo
	v_add_nc_u32_e32 v148, v148, v160
	s_delay_alu instid0(VALU_DEP_2) | instskip(NEXT) | instid1(VALU_DEP_2)
	v_xor_b32_e32 v151, 1, v151
	v_and_b32_e32 v147, 0xfffff, v148
	s_delay_alu instid0(VALU_DEP_1) | instskip(NEXT) | instid1(VALU_DEP_3)
	v_add_nc_u32_e32 v148, v147, v160
                                        ; implicit-def: $vgpr147
	v_cmpx_ne_u32_e64 v150, v151
	s_xor_b32 s13, exec_lo, s13
; %bb.5947:                             ;   in Loop: Header=BB2_5836 Depth=3
	s_delay_alu instid0(VALU_DEP_2) | instskip(SKIP_2) | instid1(VALU_DEP_2)
	v_cmp_lt_u32_e32 vcc_lo, 0xffffff, v148
	v_sub_nc_u32_e32 v147, v150, v151
	v_cndmask_b32_e64 v150, 0, 1, vcc_lo
	v_add_co_ci_u32_e32 v147, vcc_lo, 0, v147, vcc_lo
	s_delay_alu instid0(VALU_DEP_2)
	v_lshrrev_b32_e32 v148, v150, v148
; %bb.5948:                             ;   in Loop: Header=BB2_5836 Depth=3
	s_and_not1_saveexec_b32 s13, s13
; %bb.5949:                             ;   in Loop: Header=BB2_5836 Depth=3
	s_delay_alu instid0(VALU_DEP_1)
	v_bfe_u32 v147, v148, 23, 1
; %bb.5950:                             ;   in Loop: Header=BB2_5836 Depth=3
	s_or_b32 exec_lo, exec_lo, s13
	v_lshrrev_b32_e32 v148, 20, v148
	s_delay_alu instid0(VALU_DEP_2) | instskip(SKIP_2) | instid1(VALU_DEP_2)
	v_cmp_gt_i32_e32 vcc_lo, 16, v147
	v_lshrrev_b32_e32 v149, 24, v149
	v_min_i32_e32 v150, 15, v147
	v_dual_cndmask_b32 v148, 7, v148 :: v_dual_and_b32 v149, 0x80, v149
	s_delay_alu instid0(VALU_DEP_1) | instskip(SKIP_1) | instid1(VALU_DEP_2)
	v_or_b32_e32 v147, v147, v148
	v_and_b32_e32 v151, 7, v148
	v_cmp_ne_u32_e32 vcc_lo, 0, v147
	v_lshlrev_b32_e32 v150, 3, v150
	s_delay_alu instid0(VALU_DEP_1) | instskip(NEXT) | instid1(VALU_DEP_1)
	v_or3_b32 v148, v150, v149, v151
	v_cndmask_b32_e32 v147, 0, v148, vcc_lo
.LBB2_5951:                             ;   in Loop: Header=BB2_5836 Depth=3
	s_or_b32 exec_lo, exec_lo, s34
.LBB2_5952:                             ;   in Loop: Header=BB2_5836 Depth=3
	s_delay_alu instid0(SALU_CYCLE_1) | instskip(NEXT) | instid1(SALU_CYCLE_1)
	s_or_b32 exec_lo, exec_lo, s31
	s_and_not1_b32 vcc_lo, exec_lo, s16
	s_cbranch_vccnz .LBB2_5962
; %bb.5953:                             ;   in Loop: Header=BB2_5836 Depth=3
	v_and_b32_e32 v149, 0xff, v146
	s_mov_b32 s13, 0
	s_mov_b32 s34, exec_lo
                                        ; implicit-def: $sgpr31
	s_delay_alu instid0(VALU_DEP_1)
	v_cmpx_lt_i16_e64 0x7f, v149
	s_xor_b32 s34, exec_lo, s34
	s_cbranch_execnz .LBB2_6130
; %bb.5954:                             ;   in Loop: Header=BB2_5836 Depth=3
	s_or_saveexec_b32 s34, s34
	v_mov_b32_e32 v148, s31
	s_xor_b32 exec_lo, exec_lo, s34
	s_cbranch_execnz .LBB2_6133
.LBB2_5955:                             ;   in Loop: Header=BB2_5836 Depth=3
	s_or_b32 exec_lo, exec_lo, s34
	s_and_saveexec_b32 s31, s13
	s_cbranch_execz .LBB2_5957
.LBB2_5956:                             ;   in Loop: Header=BB2_5836 Depth=3
	v_lshrrev_b16 v151, 3, v146
	v_lshlrev_b32_e32 v160, 24, v146
	s_delay_alu instid0(VALU_DEP_2) | instskip(NEXT) | instid1(VALU_DEP_1)
	v_and_b32_e32 v151, 15, v151
	v_cmp_eq_u32_e32 vcc_lo, 0, v151
	v_and_b32_e32 v148, 7, v146
	s_delay_alu instid0(VALU_DEP_1) | instskip(NEXT) | instid1(VALU_DEP_1)
	v_clz_i32_u32_e32 v149, v148
	v_min_u32_e32 v149, 32, v149
	s_delay_alu instid0(VALU_DEP_1) | instskip(SKIP_1) | instid1(VALU_DEP_1)
	v_subrev_nc_u32_e32 v150, 28, v149
	v_sub_nc_u32_e32 v149, 29, v149
	v_dual_cndmask_b32 v149, v151, v149 :: v_dual_lshlrev_b32 v150, v150, v146
	s_delay_alu instid0(VALU_DEP_1) | instskip(NEXT) | instid1(VALU_DEP_2)
	v_and_b32_e32 v150, 7, v150
	v_lshl_add_u32 v149, v149, 23, 0x3b800000
	s_delay_alu instid0(VALU_DEP_2) | instskip(SKIP_1) | instid1(VALU_DEP_2)
	v_cndmask_b32_e32 v148, v148, v150, vcc_lo
	v_and_b32_e32 v150, 0x80000000, v160
	v_lshlrev_b32_e32 v148, 20, v148
	s_delay_alu instid0(VALU_DEP_1)
	v_or3_b32 v148, v150, v149, v148
.LBB2_5957:                             ;   in Loop: Header=BB2_5836 Depth=3
	s_or_b32 exec_lo, exec_lo, s31
	s_waitcnt vmcnt(3) lgkmcnt(3)
	v_and_b32_e32 v150, 0xff, v145
	s_mov_b32 s13, 0
	s_mov_b32 s34, exec_lo
                                        ; implicit-def: $sgpr31
	s_delay_alu instid0(VALU_DEP_1)
	v_cmpx_lt_i16_e64 0x7f, v150
	s_xor_b32 s34, exec_lo, s34
	s_cbranch_execnz .LBB2_6134
; %bb.5958:                             ;   in Loop: Header=BB2_5836 Depth=3
	s_or_saveexec_b32 s34, s34
	v_mov_b32_e32 v149, s31
	s_xor_b32 exec_lo, exec_lo, s34
	s_cbranch_execnz .LBB2_6137
.LBB2_5959:                             ;   in Loop: Header=BB2_5836 Depth=3
	s_or_b32 exec_lo, exec_lo, s34
	s_and_saveexec_b32 s31, s13
	s_cbranch_execz .LBB2_5961
.LBB2_5960:                             ;   in Loop: Header=BB2_5836 Depth=3
	v_lshrrev_b16 v160, 3, v145
	v_lshlrev_b32_e32 v161, 24, v145
	s_delay_alu instid0(VALU_DEP_2) | instskip(NEXT) | instid1(VALU_DEP_1)
	v_and_b32_e32 v160, 15, v160
	v_cmp_eq_u32_e32 vcc_lo, 0, v160
	v_and_b32_e32 v149, 7, v145
	s_delay_alu instid0(VALU_DEP_1) | instskip(NEXT) | instid1(VALU_DEP_1)
	v_clz_i32_u32_e32 v150, v149
	v_min_u32_e32 v150, 32, v150
	s_delay_alu instid0(VALU_DEP_1) | instskip(SKIP_1) | instid1(VALU_DEP_1)
	v_subrev_nc_u32_e32 v151, 28, v150
	v_sub_nc_u32_e32 v150, 29, v150
	v_dual_cndmask_b32 v150, v160, v150 :: v_dual_lshlrev_b32 v151, v151, v145
	s_delay_alu instid0(VALU_DEP_1) | instskip(NEXT) | instid1(VALU_DEP_2)
	v_and_b32_e32 v151, 7, v151
	v_lshl_add_u32 v150, v150, 23, 0x3b800000
	s_delay_alu instid0(VALU_DEP_2) | instskip(SKIP_1) | instid1(VALU_DEP_2)
	v_cndmask_b32_e32 v149, v149, v151, vcc_lo
	v_and_b32_e32 v151, 0x80000000, v161
	v_lshlrev_b32_e32 v149, 20, v149
	s_delay_alu instid0(VALU_DEP_1)
	v_or3_b32 v149, v151, v150, v149
.LBB2_5961:                             ;   in Loop: Header=BB2_5836 Depth=3
	s_or_b32 exec_lo, exec_lo, s31
	s_delay_alu instid0(VALU_DEP_1) | instskip(SKIP_1) | instid1(VALU_DEP_1)
	v_dual_max_f32 v149, v149, v149 :: v_dual_max_f32 v148, v148, v148
	s_mov_b32 s13, 0
	v_max_f32_e32 v148, v148, v149
	s_branch .LBB2_5963
.LBB2_5962:                             ;   in Loop: Header=BB2_5836 Depth=3
	s_mov_b32 s13, -1
                                        ; implicit-def: $vgpr148
.LBB2_5963:                             ;   in Loop: Header=BB2_5836 Depth=3
	s_delay_alu instid0(SALU_CYCLE_1)
	s_and_b32 vcc_lo, exec_lo, s13
	s_cbranch_vccz .LBB2_5973
; %bb.5964:                             ;   in Loop: Header=BB2_5836 Depth=3
	v_and_b32_e32 v149, 0xff, v146
	s_mov_b32 s13, 0
	s_mov_b32 s34, exec_lo
                                        ; implicit-def: $sgpr31
	s_delay_alu instid0(VALU_DEP_1)
	v_cmpx_lt_i16_e64 0x7f, v149
	s_xor_b32 s34, exec_lo, s34
	s_cbranch_execnz .LBB2_6138
; %bb.5965:                             ;   in Loop: Header=BB2_5836 Depth=3
	s_or_saveexec_b32 s34, s34
	v_mov_b32_e32 v148, s31
	s_xor_b32 exec_lo, exec_lo, s34
	s_cbranch_execnz .LBB2_6141
.LBB2_5966:                             ;   in Loop: Header=BB2_5836 Depth=3
	s_or_b32 exec_lo, exec_lo, s34
	s_and_saveexec_b32 s31, s13
	s_cbranch_execz .LBB2_5968
.LBB2_5967:                             ;   in Loop: Header=BB2_5836 Depth=3
	v_lshrrev_b16 v151, 3, v146
	s_delay_alu instid0(VALU_DEP_1) | instskip(NEXT) | instid1(VALU_DEP_1)
	v_and_b32_e32 v151, 15, v151
	v_cmp_eq_u32_e32 vcc_lo, 0, v151
	v_and_b32_e32 v148, 7, v146
	s_delay_alu instid0(VALU_DEP_1) | instskip(NEXT) | instid1(VALU_DEP_1)
	v_clz_i32_u32_e32 v149, v148
	v_min_u32_e32 v149, 32, v149
	s_delay_alu instid0(VALU_DEP_1) | instskip(SKIP_1) | instid1(VALU_DEP_1)
	v_subrev_nc_u32_e32 v150, 28, v149
	v_sub_nc_u32_e32 v149, 29, v149
	v_dual_cndmask_b32 v149, v151, v149 :: v_dual_lshlrev_b32 v150, v150, v146
	v_lshlrev_b32_e32 v146, 24, v146
	s_delay_alu instid0(VALU_DEP_2) | instskip(NEXT) | instid1(VALU_DEP_3)
	v_and_b32_e32 v150, 7, v150
	v_lshl_add_u32 v149, v149, 23, 0x3b800000
	s_delay_alu instid0(VALU_DEP_3) | instskip(NEXT) | instid1(VALU_DEP_3)
	v_and_b32_e32 v146, 0x80000000, v146
	v_cndmask_b32_e32 v148, v148, v150, vcc_lo
	s_delay_alu instid0(VALU_DEP_1) | instskip(NEXT) | instid1(VALU_DEP_1)
	v_lshlrev_b32_e32 v148, 20, v148
	v_or3_b32 v148, v146, v149, v148
.LBB2_5968:                             ;   in Loop: Header=BB2_5836 Depth=3
	s_or_b32 exec_lo, exec_lo, s31
	s_waitcnt vmcnt(3) lgkmcnt(3)
	v_and_b32_e32 v149, 0xff, v145
	s_mov_b32 s13, 0
	s_mov_b32 s34, exec_lo
                                        ; implicit-def: $sgpr31
	s_delay_alu instid0(VALU_DEP_1)
	v_cmpx_lt_i16_e64 0x7f, v149
	s_xor_b32 s34, exec_lo, s34
	s_cbranch_execnz .LBB2_6142
; %bb.5969:                             ;   in Loop: Header=BB2_5836 Depth=3
	s_or_saveexec_b32 s34, s34
	v_mov_b32_e32 v146, s31
	s_xor_b32 exec_lo, exec_lo, s34
	s_cbranch_execnz .LBB2_6145
.LBB2_5970:                             ;   in Loop: Header=BB2_5836 Depth=3
	s_or_b32 exec_lo, exec_lo, s34
	s_and_saveexec_b32 s31, s13
	s_cbranch_execz .LBB2_5972
.LBB2_5971:                             ;   in Loop: Header=BB2_5836 Depth=3
	v_and_b32_e32 v146, 7, v145
	v_lshrrev_b16 v151, 3, v145
	s_delay_alu instid0(VALU_DEP_2) | instskip(NEXT) | instid1(VALU_DEP_1)
	v_clz_i32_u32_e32 v149, v146
	v_min_u32_e32 v149, 32, v149
	s_delay_alu instid0(VALU_DEP_1) | instskip(SKIP_1) | instid1(VALU_DEP_2)
	v_subrev_nc_u32_e32 v150, 28, v149
	v_sub_nc_u32_e32 v149, 29, v149
	v_lshlrev_b32_e32 v150, v150, v145
	v_lshlrev_b32_e32 v145, 24, v145
	s_delay_alu instid0(VALU_DEP_2) | instskip(SKIP_1) | instid1(VALU_DEP_3)
	v_and_b32_e32 v150, 7, v150
	v_and_b32_e32 v151, 15, v151
	;; [unrolled: 1-line block ×3, first 2 shown]
	s_delay_alu instid0(VALU_DEP_2) | instskip(NEXT) | instid1(VALU_DEP_4)
	v_cmp_eq_u32_e32 vcc_lo, 0, v151
	v_dual_cndmask_b32 v146, v146, v150 :: v_dual_cndmask_b32 v149, v151, v149
	s_delay_alu instid0(VALU_DEP_1) | instskip(NEXT) | instid1(VALU_DEP_2)
	v_lshlrev_b32_e32 v146, 20, v146
	v_lshl_add_u32 v149, v149, 23, 0x3b800000
	s_delay_alu instid0(VALU_DEP_1)
	v_or3_b32 v146, v145, v149, v146
.LBB2_5972:                             ;   in Loop: Header=BB2_5836 Depth=3
	s_or_b32 exec_lo, exec_lo, s31
	s_delay_alu instid0(VALU_DEP_1) | instskip(NEXT) | instid1(VALU_DEP_1)
	v_dual_max_f32 v145, v146, v146 :: v_dual_max_f32 v146, v148, v148
	v_min_f32_e32 v148, v146, v145
.LBB2_5973:                             ;   in Loop: Header=BB2_5836 Depth=3
	s_waitcnt vmcnt(3) lgkmcnt(3)
	s_delay_alu instid0(VALU_DEP_1) | instskip(NEXT) | instid1(VALU_DEP_1)
	v_and_b32_e32 v145, 0x7f800000, v148
	v_cmp_ne_u32_e32 vcc_lo, 0x7f800000, v145
	v_mov_b32_e32 v145, 0x80
	s_and_saveexec_b32 s31, vcc_lo
	s_cbranch_execz .LBB2_5981
; %bb.5974:                             ;   in Loop: Header=BB2_5836 Depth=3
	v_mov_b32_e32 v145, 0
	s_mov_b32 s34, exec_lo
	v_cmpx_ne_u32_e32 0, v148
	s_cbranch_execz .LBB2_5980
; %bb.5975:                             ;   in Loop: Header=BB2_5836 Depth=3
	v_bfe_u32 v145, v148, 23, 8
	s_delay_alu instid0(VALU_DEP_1) | instskip(SKIP_1) | instid1(VALU_DEP_2)
	v_sub_nc_u32_e32 v149, 0x78, v145
	v_cmp_gt_u32_e32 vcc_lo, 0x79, v145
	v_dual_cndmask_b32 v149, 0, v149 :: v_dual_and_b32 v146, 0x7fffff, v148
	s_delay_alu instid0(VALU_DEP_1) | instskip(SKIP_2) | instid1(VALU_DEP_4)
	v_or_b32_e32 v150, 0x800000, v146
	v_cmp_eq_u32_e32 vcc_lo, 0, v145
	v_add_nc_u32_e32 v145, 0xffffff89, v145
	v_cndmask_b32_e64 v149, v149, 0x77, vcc_lo
	s_delay_alu instid0(VALU_DEP_4) | instskip(NEXT) | instid1(VALU_DEP_3)
	v_cndmask_b32_e32 v146, v150, v146, vcc_lo
	v_cndmask_b32_e64 v145, v145, 0xffffff8a, vcc_lo
	s_delay_alu instid0(VALU_DEP_3) | instskip(NEXT) | instid1(VALU_DEP_3)
	v_lshl_add_u32 v150, 0x100000, v149, -1
	v_lshrrev_b32_e32 v151, v149, v146
	v_lshlrev_b32_e64 v161, v149, 0x80000
	s_delay_alu instid0(VALU_DEP_4) | instskip(NEXT) | instid1(VALU_DEP_4)
	v_add_nc_u32_e32 v149, v149, v145
	v_and_b32_e32 v146, v150, v146
	s_delay_alu instid0(VALU_DEP_4) | instskip(NEXT) | instid1(VALU_DEP_2)
	v_bfe_u32 v160, v151, 20, 1
	v_cmp_eq_u32_e64 s13, v146, v161
	s_delay_alu instid0(VALU_DEP_2) | instskip(NEXT) | instid1(VALU_DEP_1)
	v_add_nc_u32_e32 v150, -1, v160
	v_cndmask_b32_e64 v146, 0, v150, s13
	v_lshrrev_b32_e32 v150, 23, v151
	s_mov_b32 s13, exec_lo
	s_delay_alu instid0(VALU_DEP_2) | instskip(NEXT) | instid1(VALU_DEP_2)
	v_add_nc_u32_e32 v146, v146, v151
	v_xor_b32_e32 v150, 1, v150
	s_delay_alu instid0(VALU_DEP_2) | instskip(NEXT) | instid1(VALU_DEP_1)
	v_and_b32_e32 v145, 0xfffff, v146
	v_add_nc_u32_e32 v146, v145, v151
                                        ; implicit-def: $vgpr145
	s_delay_alu instid0(VALU_DEP_3)
	v_cmpx_ne_u32_e64 v149, v150
	s_xor_b32 s13, exec_lo, s13
; %bb.5976:                             ;   in Loop: Header=BB2_5836 Depth=3
	s_delay_alu instid0(VALU_DEP_2) | instskip(SKIP_2) | instid1(VALU_DEP_2)
	v_cmp_lt_u32_e32 vcc_lo, 0xffffff, v146
	v_sub_nc_u32_e32 v145, v149, v150
	v_cndmask_b32_e64 v149, 0, 1, vcc_lo
	v_add_co_ci_u32_e32 v145, vcc_lo, 0, v145, vcc_lo
	s_delay_alu instid0(VALU_DEP_2)
	v_lshrrev_b32_e32 v146, v149, v146
; %bb.5977:                             ;   in Loop: Header=BB2_5836 Depth=3
	s_and_not1_saveexec_b32 s13, s13
; %bb.5978:                             ;   in Loop: Header=BB2_5836 Depth=3
	s_delay_alu instid0(VALU_DEP_1)
	v_bfe_u32 v145, v146, 23, 1
; %bb.5979:                             ;   in Loop: Header=BB2_5836 Depth=3
	s_or_b32 exec_lo, exec_lo, s13
	v_lshrrev_b32_e32 v146, 20, v146
	s_delay_alu instid0(VALU_DEP_2) | instskip(SKIP_2) | instid1(VALU_DEP_2)
	v_cmp_gt_i32_e32 vcc_lo, 16, v145
	v_min_i32_e32 v149, 15, v145
	v_lshrrev_b32_e32 v148, 24, v148
	v_dual_cndmask_b32 v146, 7, v146 :: v_dual_lshlrev_b32 v149, 3, v149
	s_delay_alu instid0(VALU_DEP_1) | instskip(SKIP_1) | instid1(VALU_DEP_2)
	v_or_b32_e32 v145, v145, v146
	v_and_b32_e32 v150, 7, v146
	v_cmp_ne_u32_e32 vcc_lo, 0, v145
	v_and_b32_e32 v148, 0x80, v148
	s_delay_alu instid0(VALU_DEP_1) | instskip(NEXT) | instid1(VALU_DEP_1)
	v_or3_b32 v146, v149, v148, v150
	v_cndmask_b32_e32 v145, 0, v146, vcc_lo
.LBB2_5980:                             ;   in Loop: Header=BB2_5836 Depth=3
	s_or_b32 exec_lo, exec_lo, s34
.LBB2_5981:                             ;   in Loop: Header=BB2_5836 Depth=3
	s_delay_alu instid0(SALU_CYCLE_1) | instskip(NEXT) | instid1(SALU_CYCLE_1)
	s_or_b32 exec_lo, exec_lo, s31
	s_and_not1_b32 vcc_lo, exec_lo, s16
	s_cbranch_vccnz .LBB2_5991
; %bb.5982:                             ;   in Loop: Header=BB2_5836 Depth=3
	v_and_b32_e32 v148, 0xff, v135
	s_mov_b32 s13, 0
	s_mov_b32 s34, exec_lo
                                        ; implicit-def: $sgpr31
	s_delay_alu instid0(VALU_DEP_1)
	v_cmpx_lt_i16_e64 0x7f, v148
	s_xor_b32 s34, exec_lo, s34
	s_cbranch_execnz .LBB2_6146
; %bb.5983:                             ;   in Loop: Header=BB2_5836 Depth=3
	s_or_saveexec_b32 s34, s34
	v_mov_b32_e32 v146, s31
	s_xor_b32 exec_lo, exec_lo, s34
	s_cbranch_execnz .LBB2_6149
.LBB2_5984:                             ;   in Loop: Header=BB2_5836 Depth=3
	s_or_b32 exec_lo, exec_lo, s34
	s_and_saveexec_b32 s31, s13
	s_cbranch_execz .LBB2_5986
.LBB2_5985:                             ;   in Loop: Header=BB2_5836 Depth=3
	v_and_b32_e32 v146, 7, v135
	v_lshrrev_b16 v150, 3, v135
	s_delay_alu instid0(VALU_DEP_2) | instskip(NEXT) | instid1(VALU_DEP_2)
	v_clz_i32_u32_e32 v148, v146
	v_and_b32_e32 v150, 15, v150
	s_delay_alu instid0(VALU_DEP_2) | instskip(NEXT) | instid1(VALU_DEP_2)
	v_min_u32_e32 v148, 32, v148
	v_cmp_eq_u32_e32 vcc_lo, 0, v150
	s_delay_alu instid0(VALU_DEP_2) | instskip(SKIP_1) | instid1(VALU_DEP_1)
	v_subrev_nc_u32_e32 v149, 28, v148
	v_sub_nc_u32_e32 v148, 29, v148
	v_dual_cndmask_b32 v148, v150, v148 :: v_dual_lshlrev_b32 v149, v149, v135
	s_delay_alu instid0(VALU_DEP_1) | instskip(SKIP_1) | instid1(VALU_DEP_3)
	v_and_b32_e32 v149, 7, v149
	v_lshlrev_b32_e32 v151, 24, v135
	v_lshl_add_u32 v148, v148, 23, 0x3b800000
	s_delay_alu instid0(VALU_DEP_2) | instskip(NEXT) | instid1(VALU_DEP_1)
	v_dual_cndmask_b32 v146, v146, v149 :: v_dual_and_b32 v149, 0x80000000, v151
	v_lshlrev_b32_e32 v146, 20, v146
	s_delay_alu instid0(VALU_DEP_1)
	v_or3_b32 v146, v149, v148, v146
.LBB2_5986:                             ;   in Loop: Header=BB2_5836 Depth=3
	s_or_b32 exec_lo, exec_lo, s31
	s_waitcnt vmcnt(2) lgkmcnt(2)
	v_and_b32_e32 v149, 0xff, v134
	s_mov_b32 s13, 0
	s_mov_b32 s34, exec_lo
                                        ; implicit-def: $sgpr31
	s_delay_alu instid0(VALU_DEP_1)
	v_cmpx_lt_i16_e64 0x7f, v149
	s_xor_b32 s34, exec_lo, s34
	s_cbranch_execnz .LBB2_6150
; %bb.5987:                             ;   in Loop: Header=BB2_5836 Depth=3
	s_or_saveexec_b32 s34, s34
	v_mov_b32_e32 v148, s31
	s_xor_b32 exec_lo, exec_lo, s34
	s_cbranch_execnz .LBB2_6153
.LBB2_5988:                             ;   in Loop: Header=BB2_5836 Depth=3
	s_or_b32 exec_lo, exec_lo, s34
	s_and_saveexec_b32 s31, s13
	s_cbranch_execz .LBB2_5990
.LBB2_5989:                             ;   in Loop: Header=BB2_5836 Depth=3
	v_lshrrev_b16 v151, 3, v134
	v_lshlrev_b32_e32 v160, 24, v134
	s_delay_alu instid0(VALU_DEP_2) | instskip(NEXT) | instid1(VALU_DEP_1)
	v_and_b32_e32 v151, 15, v151
	v_cmp_eq_u32_e32 vcc_lo, 0, v151
	v_and_b32_e32 v148, 7, v134
	s_delay_alu instid0(VALU_DEP_1) | instskip(NEXT) | instid1(VALU_DEP_1)
	v_clz_i32_u32_e32 v149, v148
	v_min_u32_e32 v149, 32, v149
	s_delay_alu instid0(VALU_DEP_1) | instskip(SKIP_1) | instid1(VALU_DEP_1)
	v_subrev_nc_u32_e32 v150, 28, v149
	v_sub_nc_u32_e32 v149, 29, v149
	v_dual_cndmask_b32 v149, v151, v149 :: v_dual_lshlrev_b32 v150, v150, v134
	s_delay_alu instid0(VALU_DEP_1) | instskip(NEXT) | instid1(VALU_DEP_2)
	v_and_b32_e32 v150, 7, v150
	v_lshl_add_u32 v149, v149, 23, 0x3b800000
	s_delay_alu instid0(VALU_DEP_2) | instskip(SKIP_1) | instid1(VALU_DEP_2)
	v_cndmask_b32_e32 v148, v148, v150, vcc_lo
	v_and_b32_e32 v150, 0x80000000, v160
	v_lshlrev_b32_e32 v148, 20, v148
	s_delay_alu instid0(VALU_DEP_1)
	v_or3_b32 v148, v150, v149, v148
.LBB2_5990:                             ;   in Loop: Header=BB2_5836 Depth=3
	s_or_b32 exec_lo, exec_lo, s31
	s_delay_alu instid0(VALU_DEP_1) | instskip(SKIP_2) | instid1(VALU_DEP_1)
	v_max_f32_e32 v148, v148, v148
	v_max_f32_e32 v146, v146, v146
	s_mov_b32 s13, 0
	v_max_f32_e32 v146, v146, v148
	s_branch .LBB2_5992
.LBB2_5991:                             ;   in Loop: Header=BB2_5836 Depth=3
	s_mov_b32 s13, -1
                                        ; implicit-def: $vgpr146
.LBB2_5992:                             ;   in Loop: Header=BB2_5836 Depth=3
	s_delay_alu instid0(SALU_CYCLE_1)
	s_and_b32 vcc_lo, exec_lo, s13
	s_cbranch_vccz .LBB2_6002
; %bb.5993:                             ;   in Loop: Header=BB2_5836 Depth=3
	v_and_b32_e32 v148, 0xff, v135
	s_mov_b32 s13, 0
	s_mov_b32 s34, exec_lo
                                        ; implicit-def: $sgpr31
	s_delay_alu instid0(VALU_DEP_1)
	v_cmpx_lt_i16_e64 0x7f, v148
	s_xor_b32 s34, exec_lo, s34
	s_cbranch_execnz .LBB2_6154
; %bb.5994:                             ;   in Loop: Header=BB2_5836 Depth=3
	s_or_saveexec_b32 s34, s34
	v_mov_b32_e32 v146, s31
	s_xor_b32 exec_lo, exec_lo, s34
	s_cbranch_execnz .LBB2_6157
.LBB2_5995:                             ;   in Loop: Header=BB2_5836 Depth=3
	s_or_b32 exec_lo, exec_lo, s34
	s_and_saveexec_b32 s31, s13
	s_cbranch_execz .LBB2_5997
.LBB2_5996:                             ;   in Loop: Header=BB2_5836 Depth=3
	v_and_b32_e32 v146, 7, v135
	v_lshrrev_b16 v150, 3, v135
	s_delay_alu instid0(VALU_DEP_2) | instskip(NEXT) | instid1(VALU_DEP_2)
	v_clz_i32_u32_e32 v148, v146
	v_and_b32_e32 v150, 15, v150
	s_delay_alu instid0(VALU_DEP_2) | instskip(NEXT) | instid1(VALU_DEP_2)
	v_min_u32_e32 v148, 32, v148
	v_cmp_eq_u32_e32 vcc_lo, 0, v150
	s_delay_alu instid0(VALU_DEP_2) | instskip(SKIP_1) | instid1(VALU_DEP_1)
	v_subrev_nc_u32_e32 v149, 28, v148
	v_sub_nc_u32_e32 v148, 29, v148
	v_dual_cndmask_b32 v148, v150, v148 :: v_dual_lshlrev_b32 v149, v149, v135
	s_delay_alu instid0(VALU_DEP_1) | instskip(SKIP_1) | instid1(VALU_DEP_3)
	v_and_b32_e32 v149, 7, v149
	v_lshlrev_b32_e32 v135, 24, v135
	v_lshl_add_u32 v148, v148, 23, 0x3b800000
	s_delay_alu instid0(VALU_DEP_2) | instskip(NEXT) | instid1(VALU_DEP_1)
	v_dual_cndmask_b32 v146, v146, v149 :: v_dual_and_b32 v135, 0x80000000, v135
	v_lshlrev_b32_e32 v146, 20, v146
	s_delay_alu instid0(VALU_DEP_1)
	v_or3_b32 v146, v135, v148, v146
.LBB2_5997:                             ;   in Loop: Header=BB2_5836 Depth=3
	s_or_b32 exec_lo, exec_lo, s31
	s_waitcnt vmcnt(2) lgkmcnt(2)
	v_and_b32_e32 v148, 0xff, v134
	s_mov_b32 s13, 0
	s_mov_b32 s34, exec_lo
                                        ; implicit-def: $sgpr31
	s_delay_alu instid0(VALU_DEP_1)
	v_cmpx_lt_i16_e64 0x7f, v148
	s_xor_b32 s34, exec_lo, s34
	s_cbranch_execnz .LBB2_6158
; %bb.5998:                             ;   in Loop: Header=BB2_5836 Depth=3
	s_or_saveexec_b32 s34, s34
	v_mov_b32_e32 v135, s31
	s_xor_b32 exec_lo, exec_lo, s34
	s_cbranch_execnz .LBB2_6161
.LBB2_5999:                             ;   in Loop: Header=BB2_5836 Depth=3
	s_or_b32 exec_lo, exec_lo, s34
	s_and_saveexec_b32 s31, s13
	s_cbranch_execz .LBB2_6001
.LBB2_6000:                             ;   in Loop: Header=BB2_5836 Depth=3
	v_lshrrev_b16 v150, 3, v134
	s_delay_alu instid0(VALU_DEP_1) | instskip(NEXT) | instid1(VALU_DEP_1)
	v_and_b32_e32 v150, 15, v150
	v_cmp_eq_u32_e32 vcc_lo, 0, v150
	v_and_b32_e32 v135, 7, v134
	s_delay_alu instid0(VALU_DEP_1) | instskip(NEXT) | instid1(VALU_DEP_1)
	v_clz_i32_u32_e32 v148, v135
	v_min_u32_e32 v148, 32, v148
	s_delay_alu instid0(VALU_DEP_1) | instskip(SKIP_1) | instid1(VALU_DEP_1)
	v_subrev_nc_u32_e32 v149, 28, v148
	v_sub_nc_u32_e32 v148, 29, v148
	v_dual_cndmask_b32 v148, v150, v148 :: v_dual_lshlrev_b32 v149, v149, v134
	v_lshlrev_b32_e32 v134, 24, v134
	s_delay_alu instid0(VALU_DEP_2) | instskip(NEXT) | instid1(VALU_DEP_3)
	v_and_b32_e32 v149, 7, v149
	v_lshl_add_u32 v148, v148, 23, 0x3b800000
	s_delay_alu instid0(VALU_DEP_2) | instskip(NEXT) | instid1(VALU_DEP_1)
	v_dual_cndmask_b32 v135, v135, v149 :: v_dual_and_b32 v134, 0x80000000, v134
	v_lshlrev_b32_e32 v135, 20, v135
	s_delay_alu instid0(VALU_DEP_1)
	v_or3_b32 v135, v134, v148, v135
.LBB2_6001:                             ;   in Loop: Header=BB2_5836 Depth=3
	s_or_b32 exec_lo, exec_lo, s31
	s_delay_alu instid0(VALU_DEP_1) | instskip(NEXT) | instid1(VALU_DEP_1)
	v_dual_max_f32 v134, v135, v135 :: v_dual_max_f32 v135, v146, v146
	v_min_f32_e32 v146, v135, v134
.LBB2_6002:                             ;   in Loop: Header=BB2_5836 Depth=3
	s_waitcnt vmcnt(2) lgkmcnt(2)
	s_delay_alu instid0(VALU_DEP_1) | instskip(NEXT) | instid1(VALU_DEP_1)
	v_and_b32_e32 v134, 0x7f800000, v146
	v_cmp_ne_u32_e32 vcc_lo, 0x7f800000, v134
	v_mov_b32_e32 v134, 0x80
	s_and_saveexec_b32 s31, vcc_lo
	s_cbranch_execz .LBB2_6010
; %bb.6003:                             ;   in Loop: Header=BB2_5836 Depth=3
	v_mov_b32_e32 v134, 0
	s_mov_b32 s34, exec_lo
	v_cmpx_ne_u32_e32 0, v146
	s_cbranch_execz .LBB2_6009
; %bb.6004:                             ;   in Loop: Header=BB2_5836 Depth=3
	v_bfe_u32 v134, v146, 23, 8
	s_delay_alu instid0(VALU_DEP_1) | instskip(SKIP_1) | instid1(VALU_DEP_2)
	v_sub_nc_u32_e32 v148, 0x78, v134
	v_cmp_gt_u32_e32 vcc_lo, 0x79, v134
	v_dual_cndmask_b32 v148, 0, v148 :: v_dual_and_b32 v135, 0x7fffff, v146
	s_delay_alu instid0(VALU_DEP_1) | instskip(SKIP_2) | instid1(VALU_DEP_4)
	v_or_b32_e32 v149, 0x800000, v135
	v_cmp_eq_u32_e32 vcc_lo, 0, v134
	v_add_nc_u32_e32 v134, 0xffffff89, v134
	v_cndmask_b32_e64 v148, v148, 0x77, vcc_lo
	s_delay_alu instid0(VALU_DEP_4) | instskip(NEXT) | instid1(VALU_DEP_3)
	v_cndmask_b32_e32 v135, v149, v135, vcc_lo
	v_cndmask_b32_e64 v134, v134, 0xffffff8a, vcc_lo
	s_delay_alu instid0(VALU_DEP_3) | instskip(NEXT) | instid1(VALU_DEP_3)
	v_lshl_add_u32 v149, 0x100000, v148, -1
	v_lshrrev_b32_e32 v150, v148, v135
	v_lshlrev_b32_e64 v160, v148, 0x80000
	s_delay_alu instid0(VALU_DEP_4) | instskip(NEXT) | instid1(VALU_DEP_4)
	v_add_nc_u32_e32 v148, v148, v134
	v_and_b32_e32 v135, v149, v135
	s_delay_alu instid0(VALU_DEP_4) | instskip(NEXT) | instid1(VALU_DEP_2)
	v_bfe_u32 v151, v150, 20, 1
	v_cmp_eq_u32_e64 s13, v135, v160
	s_delay_alu instid0(VALU_DEP_2) | instskip(NEXT) | instid1(VALU_DEP_1)
	v_add_nc_u32_e32 v149, -1, v151
	v_cndmask_b32_e64 v135, 0, v149, s13
	v_lshrrev_b32_e32 v149, 23, v150
	s_mov_b32 s13, exec_lo
	s_delay_alu instid0(VALU_DEP_2) | instskip(NEXT) | instid1(VALU_DEP_2)
	v_add_nc_u32_e32 v135, v135, v150
	v_xor_b32_e32 v149, 1, v149
	s_delay_alu instid0(VALU_DEP_2) | instskip(NEXT) | instid1(VALU_DEP_1)
	v_and_b32_e32 v134, 0xfffff, v135
	v_add_nc_u32_e32 v135, v134, v150
                                        ; implicit-def: $vgpr134
	s_delay_alu instid0(VALU_DEP_3)
	v_cmpx_ne_u32_e64 v148, v149
	s_xor_b32 s13, exec_lo, s13
; %bb.6005:                             ;   in Loop: Header=BB2_5836 Depth=3
	s_delay_alu instid0(VALU_DEP_2) | instskip(SKIP_2) | instid1(VALU_DEP_2)
	v_cmp_lt_u32_e32 vcc_lo, 0xffffff, v135
	v_sub_nc_u32_e32 v134, v148, v149
	v_cndmask_b32_e64 v148, 0, 1, vcc_lo
	v_add_co_ci_u32_e32 v134, vcc_lo, 0, v134, vcc_lo
	s_delay_alu instid0(VALU_DEP_2)
	v_lshrrev_b32_e32 v135, v148, v135
; %bb.6006:                             ;   in Loop: Header=BB2_5836 Depth=3
	s_and_not1_saveexec_b32 s13, s13
; %bb.6007:                             ;   in Loop: Header=BB2_5836 Depth=3
	s_delay_alu instid0(VALU_DEP_1)
	v_bfe_u32 v134, v135, 23, 1
; %bb.6008:                             ;   in Loop: Header=BB2_5836 Depth=3
	s_or_b32 exec_lo, exec_lo, s13
	v_lshrrev_b32_e32 v135, 20, v135
	s_delay_alu instid0(VALU_DEP_2) | instskip(SKIP_2) | instid1(VALU_DEP_2)
	v_cmp_gt_i32_e32 vcc_lo, 16, v134
	v_lshrrev_b32_e32 v146, 24, v146
	v_min_i32_e32 v148, 15, v134
	v_dual_cndmask_b32 v135, 7, v135 :: v_dual_and_b32 v146, 0x80, v146
	s_delay_alu instid0(VALU_DEP_2) | instskip(NEXT) | instid1(VALU_DEP_2)
	v_lshlrev_b32_e32 v148, 3, v148
	v_and_b32_e32 v149, 7, v135
	v_or_b32_e32 v134, v134, v135
	s_delay_alu instid0(VALU_DEP_2) | instskip(NEXT) | instid1(VALU_DEP_2)
	v_or3_b32 v135, v148, v146, v149
	v_cmp_ne_u32_e32 vcc_lo, 0, v134
	s_delay_alu instid0(VALU_DEP_2)
	v_cndmask_b32_e32 v134, 0, v135, vcc_lo
.LBB2_6009:                             ;   in Loop: Header=BB2_5836 Depth=3
	s_or_b32 exec_lo, exec_lo, s34
.LBB2_6010:                             ;   in Loop: Header=BB2_5836 Depth=3
	s_delay_alu instid0(SALU_CYCLE_1) | instskip(NEXT) | instid1(SALU_CYCLE_1)
	s_or_b32 exec_lo, exec_lo, s31
	s_and_not1_b32 vcc_lo, exec_lo, s16
	s_cbranch_vccnz .LBB2_6020
; %bb.6011:                             ;   in Loop: Header=BB2_5836 Depth=3
	v_and_b32_e32 v146, 0xff, v70
	s_mov_b32 s13, 0
	s_mov_b32 s34, exec_lo
                                        ; implicit-def: $sgpr31
	s_delay_alu instid0(VALU_DEP_1)
	v_cmpx_lt_i16_e64 0x7f, v146
	s_xor_b32 s34, exec_lo, s34
	s_cbranch_execnz .LBB2_6162
; %bb.6012:                             ;   in Loop: Header=BB2_5836 Depth=3
	s_or_saveexec_b32 s34, s34
	v_mov_b32_e32 v135, s31
	s_xor_b32 exec_lo, exec_lo, s34
	s_cbranch_execnz .LBB2_6165
.LBB2_6013:                             ;   in Loop: Header=BB2_5836 Depth=3
	s_or_b32 exec_lo, exec_lo, s34
	s_and_saveexec_b32 s31, s13
	s_cbranch_execz .LBB2_6015
.LBB2_6014:                             ;   in Loop: Header=BB2_5836 Depth=3
	v_and_b32_e32 v135, 7, v70
	v_lshrrev_b16 v149, 3, v70
	s_delay_alu instid0(VALU_DEP_2) | instskip(NEXT) | instid1(VALU_DEP_2)
	v_clz_i32_u32_e32 v146, v135
	v_and_b32_e32 v149, 15, v149
	s_delay_alu instid0(VALU_DEP_2) | instskip(NEXT) | instid1(VALU_DEP_2)
	v_min_u32_e32 v146, 32, v146
	v_cmp_eq_u32_e32 vcc_lo, 0, v149
	s_delay_alu instid0(VALU_DEP_2) | instskip(SKIP_1) | instid1(VALU_DEP_2)
	v_subrev_nc_u32_e32 v148, 28, v146
	v_sub_nc_u32_e32 v146, 29, v146
	v_lshlrev_b32_e32 v148, v148, v70
	s_delay_alu instid0(VALU_DEP_1) | instskip(NEXT) | instid1(VALU_DEP_1)
	v_and_b32_e32 v148, 7, v148
	v_dual_cndmask_b32 v135, v135, v148 :: v_dual_lshlrev_b32 v150, 24, v70
	s_delay_alu instid0(VALU_DEP_4) | instskip(NEXT) | instid1(VALU_DEP_2)
	v_cndmask_b32_e32 v146, v149, v146, vcc_lo
	v_and_b32_e32 v148, 0x80000000, v150
	s_delay_alu instid0(VALU_DEP_3) | instskip(NEXT) | instid1(VALU_DEP_3)
	v_lshlrev_b32_e32 v135, 20, v135
	v_lshl_add_u32 v146, v146, 23, 0x3b800000
	s_delay_alu instid0(VALU_DEP_1)
	v_or3_b32 v135, v148, v146, v135
.LBB2_6015:                             ;   in Loop: Header=BB2_5836 Depth=3
	s_or_b32 exec_lo, exec_lo, s31
	s_waitcnt vmcnt(1) lgkmcnt(1)
	v_and_b32_e32 v148, 0xff, v69
	s_mov_b32 s13, 0
	s_mov_b32 s34, exec_lo
                                        ; implicit-def: $sgpr31
	s_delay_alu instid0(VALU_DEP_1)
	v_cmpx_lt_i16_e64 0x7f, v148
	s_xor_b32 s34, exec_lo, s34
	s_cbranch_execnz .LBB2_6166
; %bb.6016:                             ;   in Loop: Header=BB2_5836 Depth=3
	s_or_saveexec_b32 s34, s34
	v_mov_b32_e32 v146, s31
	s_xor_b32 exec_lo, exec_lo, s34
	s_cbranch_execnz .LBB2_6169
.LBB2_6017:                             ;   in Loop: Header=BB2_5836 Depth=3
	s_or_b32 exec_lo, exec_lo, s34
	s_and_saveexec_b32 s31, s13
	s_cbranch_execz .LBB2_6019
.LBB2_6018:                             ;   in Loop: Header=BB2_5836 Depth=3
	v_and_b32_e32 v146, 7, v69
	v_lshrrev_b16 v150, 3, v69
	v_lshlrev_b32_e32 v151, 24, v69
	s_delay_alu instid0(VALU_DEP_3) | instskip(NEXT) | instid1(VALU_DEP_3)
	v_clz_i32_u32_e32 v148, v146
	v_and_b32_e32 v150, 15, v150
	s_delay_alu instid0(VALU_DEP_2) | instskip(NEXT) | instid1(VALU_DEP_2)
	v_min_u32_e32 v148, 32, v148
	v_cmp_eq_u32_e32 vcc_lo, 0, v150
	s_delay_alu instid0(VALU_DEP_2) | instskip(SKIP_1) | instid1(VALU_DEP_1)
	v_subrev_nc_u32_e32 v149, 28, v148
	v_sub_nc_u32_e32 v148, 29, v148
	v_dual_cndmask_b32 v148, v150, v148 :: v_dual_lshlrev_b32 v149, v149, v69
	s_delay_alu instid0(VALU_DEP_1) | instskip(NEXT) | instid1(VALU_DEP_2)
	v_and_b32_e32 v149, 7, v149
	v_lshl_add_u32 v148, v148, 23, 0x3b800000
	s_delay_alu instid0(VALU_DEP_2) | instskip(NEXT) | instid1(VALU_DEP_1)
	v_dual_cndmask_b32 v146, v146, v149 :: v_dual_and_b32 v149, 0x80000000, v151
	v_lshlrev_b32_e32 v146, 20, v146
	s_delay_alu instid0(VALU_DEP_1)
	v_or3_b32 v146, v149, v148, v146
.LBB2_6019:                             ;   in Loop: Header=BB2_5836 Depth=3
	s_or_b32 exec_lo, exec_lo, s31
	s_delay_alu instid0(VALU_DEP_1) | instskip(SKIP_1) | instid1(VALU_DEP_1)
	v_dual_max_f32 v146, v146, v146 :: v_dual_max_f32 v135, v135, v135
	s_mov_b32 s13, 0
	v_max_f32_e32 v135, v135, v146
	s_branch .LBB2_6021
.LBB2_6020:                             ;   in Loop: Header=BB2_5836 Depth=3
	s_mov_b32 s13, -1
                                        ; implicit-def: $vgpr135
.LBB2_6021:                             ;   in Loop: Header=BB2_5836 Depth=3
	s_delay_alu instid0(SALU_CYCLE_1)
	s_and_b32 vcc_lo, exec_lo, s13
	s_cbranch_vccz .LBB2_6031
; %bb.6022:                             ;   in Loop: Header=BB2_5836 Depth=3
	v_and_b32_e32 v146, 0xff, v70
	s_mov_b32 s13, 0
	s_mov_b32 s34, exec_lo
                                        ; implicit-def: $sgpr31
	s_delay_alu instid0(VALU_DEP_1)
	v_cmpx_lt_i16_e64 0x7f, v146
	s_xor_b32 s34, exec_lo, s34
	s_cbranch_execnz .LBB2_6170
; %bb.6023:                             ;   in Loop: Header=BB2_5836 Depth=3
	s_or_saveexec_b32 s34, s34
	v_mov_b32_e32 v135, s31
	s_xor_b32 exec_lo, exec_lo, s34
	s_cbranch_execnz .LBB2_6173
.LBB2_6024:                             ;   in Loop: Header=BB2_5836 Depth=3
	s_or_b32 exec_lo, exec_lo, s34
	s_and_saveexec_b32 s31, s13
	s_cbranch_execz .LBB2_6026
.LBB2_6025:                             ;   in Loop: Header=BB2_5836 Depth=3
	v_and_b32_e32 v135, 7, v70
	v_lshrrev_b16 v149, 3, v70
	s_delay_alu instid0(VALU_DEP_2) | instskip(NEXT) | instid1(VALU_DEP_2)
	v_clz_i32_u32_e32 v146, v135
	v_and_b32_e32 v149, 15, v149
	s_delay_alu instid0(VALU_DEP_2) | instskip(NEXT) | instid1(VALU_DEP_2)
	v_min_u32_e32 v146, 32, v146
	v_cmp_eq_u32_e32 vcc_lo, 0, v149
	s_delay_alu instid0(VALU_DEP_2) | instskip(SKIP_1) | instid1(VALU_DEP_2)
	v_subrev_nc_u32_e32 v148, 28, v146
	v_sub_nc_u32_e32 v146, 29, v146
	v_lshlrev_b32_e32 v148, v148, v70
	s_delay_alu instid0(VALU_DEP_1) | instskip(NEXT) | instid1(VALU_DEP_1)
	v_and_b32_e32 v148, 7, v148
	v_dual_cndmask_b32 v135, v135, v148 :: v_dual_lshlrev_b32 v70, 24, v70
	s_delay_alu instid0(VALU_DEP_4) | instskip(NEXT) | instid1(VALU_DEP_2)
	v_cndmask_b32_e32 v146, v149, v146, vcc_lo
	v_and_b32_e32 v70, 0x80000000, v70
	s_delay_alu instid0(VALU_DEP_3) | instskip(NEXT) | instid1(VALU_DEP_3)
	v_lshlrev_b32_e32 v135, 20, v135
	v_lshl_add_u32 v146, v146, 23, 0x3b800000
	s_delay_alu instid0(VALU_DEP_1)
	v_or3_b32 v135, v70, v146, v135
.LBB2_6026:                             ;   in Loop: Header=BB2_5836 Depth=3
	s_or_b32 exec_lo, exec_lo, s31
	s_waitcnt vmcnt(1) lgkmcnt(1)
	v_and_b32_e32 v146, 0xff, v69
	s_mov_b32 s13, 0
	s_mov_b32 s34, exec_lo
                                        ; implicit-def: $sgpr31
	s_delay_alu instid0(VALU_DEP_1)
	v_cmpx_lt_i16_e64 0x7f, v146
	s_xor_b32 s34, exec_lo, s34
	s_cbranch_execnz .LBB2_6174
; %bb.6027:                             ;   in Loop: Header=BB2_5836 Depth=3
	s_or_saveexec_b32 s34, s34
	v_mov_b32_e32 v70, s31
	s_xor_b32 exec_lo, exec_lo, s34
	s_cbranch_execnz .LBB2_6177
.LBB2_6028:                             ;   in Loop: Header=BB2_5836 Depth=3
	s_or_b32 exec_lo, exec_lo, s34
	s_and_saveexec_b32 s31, s13
	s_cbranch_execz .LBB2_6030
.LBB2_6029:                             ;   in Loop: Header=BB2_5836 Depth=3
	v_and_b32_e32 v70, 7, v69
	v_lshrrev_b16 v149, 3, v69
	s_delay_alu instid0(VALU_DEP_2) | instskip(NEXT) | instid1(VALU_DEP_1)
	v_clz_i32_u32_e32 v146, v70
	v_min_u32_e32 v146, 32, v146
	s_delay_alu instid0(VALU_DEP_1) | instskip(SKIP_1) | instid1(VALU_DEP_2)
	v_subrev_nc_u32_e32 v148, 28, v146
	v_sub_nc_u32_e32 v146, 29, v146
	v_lshlrev_b32_e32 v148, v148, v69
	s_delay_alu instid0(VALU_DEP_1) | instskip(SKIP_1) | instid1(VALU_DEP_1)
	v_and_b32_e32 v148, 7, v148
	v_and_b32_e32 v149, 15, v149
	v_cmp_eq_u32_e32 vcc_lo, 0, v149
	s_delay_alu instid0(VALU_DEP_3) | instskip(SKIP_1) | instid1(VALU_DEP_2)
	v_dual_cndmask_b32 v70, v70, v148 :: v_dual_lshlrev_b32 v69, 24, v69
	v_cndmask_b32_e32 v146, v149, v146, vcc_lo
	v_lshlrev_b32_e32 v70, 20, v70
	s_delay_alu instid0(VALU_DEP_3) | instskip(NEXT) | instid1(VALU_DEP_3)
	v_and_b32_e32 v69, 0x80000000, v69
	v_lshl_add_u32 v146, v146, 23, 0x3b800000
	s_delay_alu instid0(VALU_DEP_1)
	v_or3_b32 v70, v69, v146, v70
.LBB2_6030:                             ;   in Loop: Header=BB2_5836 Depth=3
	s_or_b32 exec_lo, exec_lo, s31
	s_delay_alu instid0(VALU_DEP_1) | instskip(NEXT) | instid1(VALU_DEP_1)
	v_dual_max_f32 v69, v70, v70 :: v_dual_max_f32 v70, v135, v135
	v_min_f32_e32 v135, v70, v69
.LBB2_6031:                             ;   in Loop: Header=BB2_5836 Depth=3
	s_waitcnt vmcnt(1) lgkmcnt(1)
	s_delay_alu instid0(VALU_DEP_1) | instskip(NEXT) | instid1(VALU_DEP_1)
	v_and_b32_e32 v69, 0x7f800000, v135
	v_cmp_ne_u32_e32 vcc_lo, 0x7f800000, v69
	v_mov_b32_e32 v69, 0x80
	s_and_saveexec_b32 s31, vcc_lo
	s_cbranch_execz .LBB2_6039
; %bb.6032:                             ;   in Loop: Header=BB2_5836 Depth=3
	v_mov_b32_e32 v69, 0
	s_mov_b32 s34, exec_lo
	v_cmpx_ne_u32_e32 0, v135
	s_cbranch_execz .LBB2_6038
; %bb.6033:                             ;   in Loop: Header=BB2_5836 Depth=3
	v_bfe_u32 v69, v135, 23, 8
	v_and_b32_e32 v70, 0x7fffff, v135
	s_delay_alu instid0(VALU_DEP_2) | instskip(SKIP_1) | instid1(VALU_DEP_3)
	v_sub_nc_u32_e32 v146, 0x78, v69
	v_cmp_gt_u32_e32 vcc_lo, 0x79, v69
	v_or_b32_e32 v148, 0x800000, v70
	s_delay_alu instid0(VALU_DEP_3) | instskip(SKIP_2) | instid1(VALU_DEP_3)
	v_cndmask_b32_e32 v146, 0, v146, vcc_lo
	v_cmp_eq_u32_e32 vcc_lo, 0, v69
	v_add_nc_u32_e32 v69, 0xffffff89, v69
	v_cndmask_b32_e64 v146, v146, 0x77, vcc_lo
	v_cndmask_b32_e32 v70, v148, v70, vcc_lo
	s_delay_alu instid0(VALU_DEP_3) | instskip(NEXT) | instid1(VALU_DEP_3)
	v_cndmask_b32_e64 v69, v69, 0xffffff8a, vcc_lo
	v_lshl_add_u32 v148, 0x100000, v146, -1
	s_delay_alu instid0(VALU_DEP_3) | instskip(SKIP_1) | instid1(VALU_DEP_4)
	v_lshrrev_b32_e32 v149, v146, v70
	v_lshlrev_b32_e64 v151, v146, 0x80000
	v_add_nc_u32_e32 v146, v146, v69
	s_delay_alu instid0(VALU_DEP_4) | instskip(NEXT) | instid1(VALU_DEP_4)
	v_and_b32_e32 v70, v148, v70
	v_bfe_u32 v150, v149, 20, 1
	s_delay_alu instid0(VALU_DEP_2) | instskip(NEXT) | instid1(VALU_DEP_2)
	v_cmp_eq_u32_e64 s13, v70, v151
	v_add_nc_u32_e32 v148, -1, v150
	s_delay_alu instid0(VALU_DEP_1) | instskip(SKIP_2) | instid1(VALU_DEP_2)
	v_cndmask_b32_e64 v70, 0, v148, s13
	v_lshrrev_b32_e32 v148, 23, v149
	s_mov_b32 s13, exec_lo
	v_add_nc_u32_e32 v70, v70, v149
	s_delay_alu instid0(VALU_DEP_2) | instskip(NEXT) | instid1(VALU_DEP_2)
	v_xor_b32_e32 v148, 1, v148
	v_and_b32_e32 v69, 0xfffff, v70
	s_delay_alu instid0(VALU_DEP_1) | instskip(NEXT) | instid1(VALU_DEP_3)
	v_add_nc_u32_e32 v70, v69, v149
                                        ; implicit-def: $vgpr69
	v_cmpx_ne_u32_e64 v146, v148
	s_xor_b32 s13, exec_lo, s13
; %bb.6034:                             ;   in Loop: Header=BB2_5836 Depth=3
	s_delay_alu instid0(VALU_DEP_2) | instskip(SKIP_2) | instid1(VALU_DEP_2)
	v_cmp_lt_u32_e32 vcc_lo, 0xffffff, v70
	v_sub_nc_u32_e32 v69, v146, v148
	v_cndmask_b32_e64 v146, 0, 1, vcc_lo
	v_add_co_ci_u32_e32 v69, vcc_lo, 0, v69, vcc_lo
	s_delay_alu instid0(VALU_DEP_2)
	v_lshrrev_b32_e32 v70, v146, v70
; %bb.6035:                             ;   in Loop: Header=BB2_5836 Depth=3
	s_and_not1_saveexec_b32 s13, s13
; %bb.6036:                             ;   in Loop: Header=BB2_5836 Depth=3
	s_delay_alu instid0(VALU_DEP_1)
	v_bfe_u32 v69, v70, 23, 1
; %bb.6037:                             ;   in Loop: Header=BB2_5836 Depth=3
	s_or_b32 exec_lo, exec_lo, s13
	v_lshrrev_b32_e32 v70, 20, v70
	s_delay_alu instid0(VALU_DEP_2) | instskip(SKIP_2) | instid1(VALU_DEP_2)
	v_cmp_gt_i32_e32 vcc_lo, 16, v69
	v_lshrrev_b32_e32 v135, 24, v135
	v_min_i32_e32 v146, 15, v69
	v_dual_cndmask_b32 v70, 7, v70 :: v_dual_and_b32 v135, 0x80, v135
	s_delay_alu instid0(VALU_DEP_2) | instskip(NEXT) | instid1(VALU_DEP_2)
	v_lshlrev_b32_e32 v146, 3, v146
	v_and_b32_e32 v148, 7, v70
	v_or_b32_e32 v69, v69, v70
	s_delay_alu instid0(VALU_DEP_2) | instskip(NEXT) | instid1(VALU_DEP_2)
	v_or3_b32 v70, v146, v135, v148
	v_cmp_ne_u32_e32 vcc_lo, 0, v69
	s_delay_alu instid0(VALU_DEP_2)
	v_cndmask_b32_e32 v69, 0, v70, vcc_lo
.LBB2_6038:                             ;   in Loop: Header=BB2_5836 Depth=3
	s_or_b32 exec_lo, exec_lo, s34
.LBB2_6039:                             ;   in Loop: Header=BB2_5836 Depth=3
	s_delay_alu instid0(SALU_CYCLE_1) | instskip(NEXT) | instid1(SALU_CYCLE_1)
	s_or_b32 exec_lo, exec_lo, s31
	s_and_not1_b32 vcc_lo, exec_lo, s16
	s_cbranch_vccnz .LBB2_6049
; %bb.6040:                             ;   in Loop: Header=BB2_5836 Depth=3
	v_and_b32_e32 v135, 0xff, v67
	s_mov_b32 s13, 0
	s_mov_b32 s34, exec_lo
                                        ; implicit-def: $sgpr31
	s_delay_alu instid0(VALU_DEP_1)
	v_cmpx_lt_i16_e64 0x7f, v135
	s_xor_b32 s34, exec_lo, s34
	s_cbranch_execnz .LBB2_6178
; %bb.6041:                             ;   in Loop: Header=BB2_5836 Depth=3
	s_or_saveexec_b32 s34, s34
	v_mov_b32_e32 v70, s31
	s_xor_b32 exec_lo, exec_lo, s34
	s_cbranch_execnz .LBB2_6181
.LBB2_6042:                             ;   in Loop: Header=BB2_5836 Depth=3
	s_or_b32 exec_lo, exec_lo, s34
	s_and_saveexec_b32 s31, s13
	s_cbranch_execz .LBB2_6044
.LBB2_6043:                             ;   in Loop: Header=BB2_5836 Depth=3
	v_and_b32_e32 v70, 7, v67
	v_lshrrev_b16 v148, 3, v67
	s_delay_alu instid0(VALU_DEP_2) | instskip(NEXT) | instid1(VALU_DEP_2)
	v_clz_i32_u32_e32 v135, v70
	v_and_b32_e32 v148, 15, v148
	s_delay_alu instid0(VALU_DEP_2) | instskip(NEXT) | instid1(VALU_DEP_2)
	v_min_u32_e32 v135, 32, v135
	v_cmp_eq_u32_e32 vcc_lo, 0, v148
	s_delay_alu instid0(VALU_DEP_2) | instskip(SKIP_1) | instid1(VALU_DEP_2)
	v_subrev_nc_u32_e32 v146, 28, v135
	v_sub_nc_u32_e32 v135, 29, v135
	v_lshlrev_b32_e32 v146, v146, v67
	s_delay_alu instid0(VALU_DEP_1) | instskip(SKIP_1) | instid1(VALU_DEP_2)
	v_dual_cndmask_b32 v135, v148, v135 :: v_dual_and_b32 v146, 7, v146
	v_lshlrev_b32_e32 v149, 24, v67
	v_lshl_add_u32 v135, v135, 23, 0x3b800000
	s_delay_alu instid0(VALU_DEP_3) | instskip(NEXT) | instid1(VALU_DEP_3)
	v_cndmask_b32_e32 v70, v70, v146, vcc_lo
	v_and_b32_e32 v146, 0x80000000, v149
	s_delay_alu instid0(VALU_DEP_2) | instskip(NEXT) | instid1(VALU_DEP_1)
	v_lshlrev_b32_e32 v70, 20, v70
	v_or3_b32 v70, v146, v135, v70
.LBB2_6044:                             ;   in Loop: Header=BB2_5836 Depth=3
	s_or_b32 exec_lo, exec_lo, s31
	s_waitcnt vmcnt(0) lgkmcnt(0)
	v_and_b32_e32 v146, 0xff, v66
	s_mov_b32 s13, 0
	s_mov_b32 s34, exec_lo
                                        ; implicit-def: $sgpr31
	s_delay_alu instid0(VALU_DEP_1)
	v_cmpx_lt_i16_e64 0x7f, v146
	s_xor_b32 s34, exec_lo, s34
	s_cbranch_execnz .LBB2_6182
; %bb.6045:                             ;   in Loop: Header=BB2_5836 Depth=3
	s_or_saveexec_b32 s34, s34
	v_mov_b32_e32 v135, s31
	s_xor_b32 exec_lo, exec_lo, s34
	s_cbranch_execnz .LBB2_6185
.LBB2_6046:                             ;   in Loop: Header=BB2_5836 Depth=3
	s_or_b32 exec_lo, exec_lo, s34
	s_and_saveexec_b32 s31, s13
	s_cbranch_execz .LBB2_6048
.LBB2_6047:                             ;   in Loop: Header=BB2_5836 Depth=3
	v_and_b32_e32 v135, 7, v66
	v_lshrrev_b16 v149, 3, v66
	s_delay_alu instid0(VALU_DEP_2) | instskip(NEXT) | instid1(VALU_DEP_2)
	v_clz_i32_u32_e32 v146, v135
	v_and_b32_e32 v149, 15, v149
	s_delay_alu instid0(VALU_DEP_2) | instskip(NEXT) | instid1(VALU_DEP_2)
	v_min_u32_e32 v146, 32, v146
	v_cmp_eq_u32_e32 vcc_lo, 0, v149
	s_delay_alu instid0(VALU_DEP_2) | instskip(SKIP_1) | instid1(VALU_DEP_2)
	v_subrev_nc_u32_e32 v148, 28, v146
	v_sub_nc_u32_e32 v146, 29, v146
	v_lshlrev_b32_e32 v148, v148, v66
	s_delay_alu instid0(VALU_DEP_1) | instskip(NEXT) | instid1(VALU_DEP_1)
	v_and_b32_e32 v148, 7, v148
	v_dual_cndmask_b32 v135, v135, v148 :: v_dual_lshlrev_b32 v150, 24, v66
	s_delay_alu instid0(VALU_DEP_4) | instskip(NEXT) | instid1(VALU_DEP_2)
	v_cndmask_b32_e32 v146, v149, v146, vcc_lo
	v_and_b32_e32 v148, 0x80000000, v150
	s_delay_alu instid0(VALU_DEP_3) | instskip(NEXT) | instid1(VALU_DEP_3)
	v_lshlrev_b32_e32 v135, 20, v135
	v_lshl_add_u32 v146, v146, 23, 0x3b800000
	s_delay_alu instid0(VALU_DEP_1)
	v_or3_b32 v135, v148, v146, v135
.LBB2_6048:                             ;   in Loop: Header=BB2_5836 Depth=3
	s_or_b32 exec_lo, exec_lo, s31
	s_delay_alu instid0(VALU_DEP_1) | instskip(SKIP_1) | instid1(VALU_DEP_1)
	v_dual_max_f32 v135, v135, v135 :: v_dual_max_f32 v70, v70, v70
	s_mov_b32 s13, 0
	v_max_f32_e32 v70, v70, v135
	s_branch .LBB2_6050
.LBB2_6049:                             ;   in Loop: Header=BB2_5836 Depth=3
	s_mov_b32 s13, -1
                                        ; implicit-def: $vgpr70
.LBB2_6050:                             ;   in Loop: Header=BB2_5836 Depth=3
	s_delay_alu instid0(SALU_CYCLE_1)
	s_and_b32 vcc_lo, exec_lo, s13
	s_cbranch_vccz .LBB2_6060
; %bb.6051:                             ;   in Loop: Header=BB2_5836 Depth=3
	v_and_b32_e32 v135, 0xff, v67
	s_mov_b32 s13, 0
	s_mov_b32 s34, exec_lo
                                        ; implicit-def: $sgpr31
	s_delay_alu instid0(VALU_DEP_1)
	v_cmpx_lt_i16_e64 0x7f, v135
	s_xor_b32 s34, exec_lo, s34
	s_cbranch_execnz .LBB2_6186
; %bb.6052:                             ;   in Loop: Header=BB2_5836 Depth=3
	s_or_saveexec_b32 s34, s34
	v_mov_b32_e32 v70, s31
	s_xor_b32 exec_lo, exec_lo, s34
	s_cbranch_execnz .LBB2_6189
.LBB2_6053:                             ;   in Loop: Header=BB2_5836 Depth=3
	s_or_b32 exec_lo, exec_lo, s34
	s_and_saveexec_b32 s31, s13
	s_cbranch_execz .LBB2_6055
.LBB2_6054:                             ;   in Loop: Header=BB2_5836 Depth=3
	v_and_b32_e32 v70, 7, v67
	v_lshrrev_b16 v148, 3, v67
	s_delay_alu instid0(VALU_DEP_2) | instskip(NEXT) | instid1(VALU_DEP_2)
	v_clz_i32_u32_e32 v135, v70
	v_and_b32_e32 v148, 15, v148
	s_delay_alu instid0(VALU_DEP_2) | instskip(NEXT) | instid1(VALU_DEP_2)
	v_min_u32_e32 v135, 32, v135
	v_cmp_eq_u32_e32 vcc_lo, 0, v148
	s_delay_alu instid0(VALU_DEP_2) | instskip(SKIP_1) | instid1(VALU_DEP_2)
	v_subrev_nc_u32_e32 v146, 28, v135
	v_sub_nc_u32_e32 v135, 29, v135
	v_lshlrev_b32_e32 v146, v146, v67
	s_delay_alu instid0(VALU_DEP_1) | instskip(SKIP_1) | instid1(VALU_DEP_2)
	v_dual_cndmask_b32 v135, v148, v135 :: v_dual_and_b32 v146, 7, v146
	v_lshlrev_b32_e32 v67, 24, v67
	v_lshl_add_u32 v135, v135, 23, 0x3b800000
	s_delay_alu instid0(VALU_DEP_2) | instskip(NEXT) | instid1(VALU_DEP_1)
	v_dual_cndmask_b32 v70, v70, v146 :: v_dual_and_b32 v67, 0x80000000, v67
	v_lshlrev_b32_e32 v70, 20, v70
	s_delay_alu instid0(VALU_DEP_1)
	v_or3_b32 v70, v67, v135, v70
.LBB2_6055:                             ;   in Loop: Header=BB2_5836 Depth=3
	s_or_b32 exec_lo, exec_lo, s31
	s_waitcnt vmcnt(0) lgkmcnt(0)
	v_and_b32_e32 v135, 0xff, v66
	s_mov_b32 s13, 0
	s_mov_b32 s34, exec_lo
                                        ; implicit-def: $sgpr31
	s_delay_alu instid0(VALU_DEP_1)
	v_cmpx_lt_i16_e64 0x7f, v135
	s_xor_b32 s34, exec_lo, s34
	s_cbranch_execnz .LBB2_6190
; %bb.6056:                             ;   in Loop: Header=BB2_5836 Depth=3
	s_or_saveexec_b32 s34, s34
	v_mov_b32_e32 v67, s31
	s_xor_b32 exec_lo, exec_lo, s34
	s_cbranch_execnz .LBB2_6193
.LBB2_6057:                             ;   in Loop: Header=BB2_5836 Depth=3
	s_or_b32 exec_lo, exec_lo, s34
	s_and_saveexec_b32 s31, s13
	s_cbranch_execz .LBB2_6059
.LBB2_6058:                             ;   in Loop: Header=BB2_5836 Depth=3
	v_and_b32_e32 v67, 7, v66
	v_lshrrev_b16 v148, 3, v66
	s_delay_alu instid0(VALU_DEP_2) | instskip(NEXT) | instid1(VALU_DEP_2)
	v_clz_i32_u32_e32 v135, v67
	v_and_b32_e32 v148, 15, v148
	s_delay_alu instid0(VALU_DEP_2) | instskip(NEXT) | instid1(VALU_DEP_2)
	v_min_u32_e32 v135, 32, v135
	v_cmp_eq_u32_e32 vcc_lo, 0, v148
	s_delay_alu instid0(VALU_DEP_2) | instskip(SKIP_1) | instid1(VALU_DEP_1)
	v_subrev_nc_u32_e32 v146, 28, v135
	v_sub_nc_u32_e32 v135, 29, v135
	v_dual_cndmask_b32 v135, v148, v135 :: v_dual_lshlrev_b32 v146, v146, v66
	v_lshlrev_b32_e32 v66, 24, v66
	s_delay_alu instid0(VALU_DEP_2) | instskip(NEXT) | instid1(VALU_DEP_3)
	v_and_b32_e32 v146, 7, v146
	v_lshl_add_u32 v135, v135, 23, 0x3b800000
	s_delay_alu instid0(VALU_DEP_3) | instskip(NEXT) | instid1(VALU_DEP_3)
	v_and_b32_e32 v66, 0x80000000, v66
	v_cndmask_b32_e32 v67, v67, v146, vcc_lo
	s_delay_alu instid0(VALU_DEP_1) | instskip(NEXT) | instid1(VALU_DEP_1)
	v_lshlrev_b32_e32 v67, 20, v67
	v_or3_b32 v67, v66, v135, v67
.LBB2_6059:                             ;   in Loop: Header=BB2_5836 Depth=3
	s_or_b32 exec_lo, exec_lo, s31
	s_delay_alu instid0(VALU_DEP_1) | instskip(NEXT) | instid1(VALU_DEP_1)
	v_dual_max_f32 v66, v67, v67 :: v_dual_max_f32 v67, v70, v70
	v_min_f32_e32 v70, v67, v66
.LBB2_6060:                             ;   in Loop: Header=BB2_5836 Depth=3
	s_waitcnt vmcnt(0) lgkmcnt(0)
	s_delay_alu instid0(VALU_DEP_1) | instskip(NEXT) | instid1(VALU_DEP_1)
	v_and_b32_e32 v66, 0x7f800000, v70
	v_cmp_ne_u32_e32 vcc_lo, 0x7f800000, v66
	v_mov_b32_e32 v66, 0x80
	s_and_saveexec_b32 s31, vcc_lo
	s_cbranch_execz .LBB2_5835
; %bb.6061:                             ;   in Loop: Header=BB2_5836 Depth=3
	v_mov_b32_e32 v66, 0
	s_mov_b32 s34, exec_lo
	v_cmpx_ne_u32_e32 0, v70
	s_cbranch_execz .LBB2_5834
; %bb.6062:                             ;   in Loop: Header=BB2_5836 Depth=3
	v_bfe_u32 v66, v70, 23, 8
	v_and_b32_e32 v67, 0x7fffff, v70
	s_delay_alu instid0(VALU_DEP_2) | instskip(SKIP_1) | instid1(VALU_DEP_3)
	v_sub_nc_u32_e32 v135, 0x78, v66
	v_cmp_gt_u32_e32 vcc_lo, 0x79, v66
	v_or_b32_e32 v146, 0x800000, v67
	s_delay_alu instid0(VALU_DEP_3) | instskip(SKIP_2) | instid1(VALU_DEP_3)
	v_cndmask_b32_e32 v135, 0, v135, vcc_lo
	v_cmp_eq_u32_e32 vcc_lo, 0, v66
	v_add_nc_u32_e32 v66, 0xffffff89, v66
	v_cndmask_b32_e64 v135, v135, 0x77, vcc_lo
	v_cndmask_b32_e32 v67, v146, v67, vcc_lo
	s_delay_alu instid0(VALU_DEP_3) | instskip(NEXT) | instid1(VALU_DEP_3)
	v_cndmask_b32_e64 v66, v66, 0xffffff8a, vcc_lo
	v_lshl_add_u32 v146, 0x100000, v135, -1
	s_delay_alu instid0(VALU_DEP_3) | instskip(SKIP_1) | instid1(VALU_DEP_4)
	v_lshrrev_b32_e32 v148, v135, v67
	v_lshlrev_b32_e64 v150, v135, 0x80000
	v_add_nc_u32_e32 v135, v135, v66
	s_delay_alu instid0(VALU_DEP_4) | instskip(NEXT) | instid1(VALU_DEP_4)
	v_and_b32_e32 v67, v146, v67
	v_bfe_u32 v149, v148, 20, 1
	s_delay_alu instid0(VALU_DEP_2) | instskip(NEXT) | instid1(VALU_DEP_2)
	v_cmp_eq_u32_e64 s13, v67, v150
	v_add_nc_u32_e32 v146, -1, v149
	s_delay_alu instid0(VALU_DEP_1) | instskip(SKIP_2) | instid1(VALU_DEP_2)
	v_cndmask_b32_e64 v67, 0, v146, s13
	v_lshrrev_b32_e32 v146, 23, v148
	s_mov_b32 s13, exec_lo
	v_add_nc_u32_e32 v67, v67, v148
	s_delay_alu instid0(VALU_DEP_2) | instskip(NEXT) | instid1(VALU_DEP_2)
	v_xor_b32_e32 v146, 1, v146
	v_and_b32_e32 v66, 0xfffff, v67
	s_delay_alu instid0(VALU_DEP_1) | instskip(NEXT) | instid1(VALU_DEP_3)
	v_add_nc_u32_e32 v67, v66, v148
                                        ; implicit-def: $vgpr66
	v_cmpx_ne_u32_e64 v135, v146
	s_xor_b32 s13, exec_lo, s13
; %bb.6063:                             ;   in Loop: Header=BB2_5836 Depth=3
	s_delay_alu instid0(VALU_DEP_2) | instskip(SKIP_2) | instid1(VALU_DEP_2)
	v_cmp_lt_u32_e32 vcc_lo, 0xffffff, v67
	v_sub_nc_u32_e32 v66, v135, v146
	v_cndmask_b32_e64 v135, 0, 1, vcc_lo
	v_add_co_ci_u32_e32 v66, vcc_lo, 0, v66, vcc_lo
	s_delay_alu instid0(VALU_DEP_2)
	v_lshrrev_b32_e32 v67, v135, v67
; %bb.6064:                             ;   in Loop: Header=BB2_5836 Depth=3
	s_and_not1_saveexec_b32 s13, s13
	s_cbranch_execz .LBB2_5833
; %bb.6065:                             ;   in Loop: Header=BB2_5836 Depth=3
	s_delay_alu instid0(VALU_DEP_1)
	v_bfe_u32 v66, v67, 23, 1
	s_branch .LBB2_5833
.LBB2_6066:                             ;   in Loop: Header=BB2_5836 Depth=3
	s_mov_b32 s13, -1
	s_mov_b32 s35, exec_lo
                                        ; implicit-def: $sgpr31
	v_cmpx_eq_u16_e64 0x80, v161
; %bb.6067:                             ;   in Loop: Header=BB2_5836 Depth=3
	s_mov_b32 s31, 0x7f800001
	s_xor_b32 s13, exec_lo, -1
; %bb.6068:                             ;   in Loop: Header=BB2_5836 Depth=3
	s_or_b32 exec_lo, exec_lo, s35
	s_delay_alu instid0(SALU_CYCLE_1)
	s_and_b32 s13, s13, exec_lo
                                        ; implicit-def: $vgpr161
	s_or_saveexec_b32 s34, s34
	v_mov_b32_e32 v160, s31
	s_xor_b32 exec_lo, exec_lo, s34
	s_cbranch_execz .LBB2_5839
.LBB2_6069:                             ;   in Loop: Header=BB2_5836 Depth=3
	v_cmp_ne_u16_e64 vcc_lo, 0, v161
	v_mov_b32_e32 v160, 0
	s_and_not1_b32 s13, s13, exec_lo
	s_delay_alu instid0(VALU_DEP_2) | instskip(NEXT) | instid1(SALU_CYCLE_1)
	s_and_b32 vcc_lo, vcc_lo, exec_lo
	s_or_b32 s13, s13, vcc_lo
	s_or_b32 exec_lo, exec_lo, s34
	s_and_saveexec_b32 s31, s13
	s_cbranch_execnz .LBB2_5840
	s_branch .LBB2_5841
.LBB2_6070:                             ;   in Loop: Header=BB2_5836 Depth=3
	s_mov_b32 s13, -1
	s_mov_b32 s35, exec_lo
                                        ; implicit-def: $sgpr31
	v_cmpx_eq_u16_e64 0x80, v162
; %bb.6071:                             ;   in Loop: Header=BB2_5836 Depth=3
	s_mov_b32 s31, 0x7f800001
	s_xor_b32 s13, exec_lo, -1
; %bb.6072:                             ;   in Loop: Header=BB2_5836 Depth=3
	s_or_b32 exec_lo, exec_lo, s35
	s_delay_alu instid0(SALU_CYCLE_1)
	s_and_b32 s13, s13, exec_lo
                                        ; implicit-def: $vgpr162
	s_or_saveexec_b32 s34, s34
	v_mov_b32_e32 v161, s31
	s_xor_b32 exec_lo, exec_lo, s34
	s_cbranch_execz .LBB2_5843
.LBB2_6073:                             ;   in Loop: Header=BB2_5836 Depth=3
	v_cmp_ne_u16_e64 vcc_lo, 0, v162
	v_mov_b32_e32 v161, 0
	s_and_not1_b32 s13, s13, exec_lo
	s_delay_alu instid0(VALU_DEP_2) | instskip(NEXT) | instid1(SALU_CYCLE_1)
	s_and_b32 vcc_lo, vcc_lo, exec_lo
	s_or_b32 s13, s13, vcc_lo
	s_or_b32 exec_lo, exec_lo, s34
	s_and_saveexec_b32 s31, s13
	s_cbranch_execnz .LBB2_5844
	s_branch .LBB2_5845
.LBB2_6074:                             ;   in Loop: Header=BB2_5836 Depth=3
	s_mov_b32 s13, -1
	s_mov_b32 s35, exec_lo
                                        ; implicit-def: $sgpr31
	v_cmpx_eq_u16_e64 0x80, v161
; %bb.6075:                             ;   in Loop: Header=BB2_5836 Depth=3
	s_mov_b32 s31, 0x7f800001
	s_xor_b32 s13, exec_lo, -1
; %bb.6076:                             ;   in Loop: Header=BB2_5836 Depth=3
	s_or_b32 exec_lo, exec_lo, s35
	s_delay_alu instid0(SALU_CYCLE_1)
	s_and_b32 s13, s13, exec_lo
                                        ; implicit-def: $vgpr161
	s_or_saveexec_b32 s34, s34
	v_mov_b32_e32 v160, s31
	s_xor_b32 exec_lo, exec_lo, s34
	s_cbranch_execz .LBB2_5850
.LBB2_6077:                             ;   in Loop: Header=BB2_5836 Depth=3
	v_cmp_ne_u16_e64 vcc_lo, 0, v161
	v_mov_b32_e32 v160, 0
	s_and_not1_b32 s13, s13, exec_lo
	s_delay_alu instid0(VALU_DEP_2) | instskip(NEXT) | instid1(SALU_CYCLE_1)
	s_and_b32 vcc_lo, vcc_lo, exec_lo
	s_or_b32 s13, s13, vcc_lo
	s_or_b32 exec_lo, exec_lo, s34
	s_and_saveexec_b32 s31, s13
	s_cbranch_execnz .LBB2_5851
	s_branch .LBB2_5852
.LBB2_6078:                             ;   in Loop: Header=BB2_5836 Depth=3
	s_mov_b32 s13, -1
	s_mov_b32 s35, exec_lo
                                        ; implicit-def: $sgpr31
	v_cmpx_eq_u16_e64 0x80, v161
; %bb.6079:                             ;   in Loop: Header=BB2_5836 Depth=3
	s_mov_b32 s31, 0x7f800001
	s_xor_b32 s13, exec_lo, -1
; %bb.6080:                             ;   in Loop: Header=BB2_5836 Depth=3
	s_or_b32 exec_lo, exec_lo, s35
	s_delay_alu instid0(SALU_CYCLE_1)
	s_and_b32 s13, s13, exec_lo
                                        ; implicit-def: $vgpr161
	s_or_saveexec_b32 s34, s34
	v_mov_b32_e32 v151, s31
	s_xor_b32 exec_lo, exec_lo, s34
	s_cbranch_execz .LBB2_5854
.LBB2_6081:                             ;   in Loop: Header=BB2_5836 Depth=3
	v_cmp_ne_u16_e64 vcc_lo, 0, v161
	v_mov_b32_e32 v151, 0
	s_and_not1_b32 s13, s13, exec_lo
	s_delay_alu instid0(VALU_DEP_2) | instskip(NEXT) | instid1(SALU_CYCLE_1)
	s_and_b32 vcc_lo, vcc_lo, exec_lo
	s_or_b32 s13, s13, vcc_lo
	s_or_b32 exec_lo, exec_lo, s34
	s_and_saveexec_b32 s31, s13
	s_cbranch_execnz .LBB2_5855
	s_branch .LBB2_5856
.LBB2_6082:                             ;   in Loop: Header=BB2_5836 Depth=3
	s_mov_b32 s13, -1
	s_mov_b32 s35, exec_lo
                                        ; implicit-def: $sgpr31
	v_cmpx_eq_u16_e64 0x80, v160
; %bb.6083:                             ;   in Loop: Header=BB2_5836 Depth=3
	s_mov_b32 s31, 0x7f800001
	s_xor_b32 s13, exec_lo, -1
; %bb.6084:                             ;   in Loop: Header=BB2_5836 Depth=3
	s_or_b32 exec_lo, exec_lo, s35
	s_delay_alu instid0(SALU_CYCLE_1)
	s_and_b32 s13, s13, exec_lo
                                        ; implicit-def: $vgpr160
	s_or_saveexec_b32 s34, s34
	v_mov_b32_e32 v151, s31
	s_xor_b32 exec_lo, exec_lo, s34
	s_cbranch_execz .LBB2_5868
.LBB2_6085:                             ;   in Loop: Header=BB2_5836 Depth=3
	v_cmp_ne_u16_e64 vcc_lo, 0, v160
	v_mov_b32_e32 v151, 0
	s_and_not1_b32 s13, s13, exec_lo
	s_delay_alu instid0(VALU_DEP_2) | instskip(NEXT) | instid1(SALU_CYCLE_1)
	s_and_b32 vcc_lo, vcc_lo, exec_lo
	s_or_b32 s13, s13, vcc_lo
	s_or_b32 exec_lo, exec_lo, s34
	s_and_saveexec_b32 s31, s13
	s_cbranch_execnz .LBB2_5869
	s_branch .LBB2_5870
.LBB2_6086:                             ;   in Loop: Header=BB2_5836 Depth=3
	s_mov_b32 s13, -1
	s_mov_b32 s35, exec_lo
                                        ; implicit-def: $sgpr31
	v_cmpx_eq_u16_e64 0x80, v161
; %bb.6087:                             ;   in Loop: Header=BB2_5836 Depth=3
	s_mov_b32 s31, 0x7f800001
	s_xor_b32 s13, exec_lo, -1
; %bb.6088:                             ;   in Loop: Header=BB2_5836 Depth=3
	s_or_b32 exec_lo, exec_lo, s35
	s_delay_alu instid0(SALU_CYCLE_1)
	s_and_b32 s13, s13, exec_lo
                                        ; implicit-def: $vgpr161
	s_or_saveexec_b32 s34, s34
	v_mov_b32_e32 v160, s31
	s_xor_b32 exec_lo, exec_lo, s34
	s_cbranch_execz .LBB2_5872
.LBB2_6089:                             ;   in Loop: Header=BB2_5836 Depth=3
	v_cmp_ne_u16_e64 vcc_lo, 0, v161
	v_mov_b32_e32 v160, 0
	s_and_not1_b32 s13, s13, exec_lo
	s_delay_alu instid0(VALU_DEP_2) | instskip(NEXT) | instid1(SALU_CYCLE_1)
	s_and_b32 vcc_lo, vcc_lo, exec_lo
	s_or_b32 s13, s13, vcc_lo
	s_or_b32 exec_lo, exec_lo, s34
	s_and_saveexec_b32 s31, s13
	s_cbranch_execnz .LBB2_5873
	s_branch .LBB2_5874
.LBB2_6090:                             ;   in Loop: Header=BB2_5836 Depth=3
	s_mov_b32 s13, -1
	s_mov_b32 s35, exec_lo
                                        ; implicit-def: $sgpr31
	v_cmpx_eq_u16_e64 0x80, v160
; %bb.6091:                             ;   in Loop: Header=BB2_5836 Depth=3
	s_mov_b32 s31, 0x7f800001
	s_xor_b32 s13, exec_lo, -1
; %bb.6092:                             ;   in Loop: Header=BB2_5836 Depth=3
	s_or_b32 exec_lo, exec_lo, s35
	s_delay_alu instid0(SALU_CYCLE_1)
	s_and_b32 s13, s13, exec_lo
                                        ; implicit-def: $vgpr160
	s_or_saveexec_b32 s34, s34
	v_mov_b32_e32 v151, s31
	s_xor_b32 exec_lo, exec_lo, s34
	s_cbranch_execz .LBB2_5879
.LBB2_6093:                             ;   in Loop: Header=BB2_5836 Depth=3
	v_cmp_ne_u16_e64 vcc_lo, 0, v160
	v_mov_b32_e32 v151, 0
	s_and_not1_b32 s13, s13, exec_lo
	s_delay_alu instid0(VALU_DEP_2) | instskip(NEXT) | instid1(SALU_CYCLE_1)
	s_and_b32 vcc_lo, vcc_lo, exec_lo
	s_or_b32 s13, s13, vcc_lo
	s_or_b32 exec_lo, exec_lo, s34
	s_and_saveexec_b32 s31, s13
	s_cbranch_execnz .LBB2_5880
	s_branch .LBB2_5881
.LBB2_6094:                             ;   in Loop: Header=BB2_5836 Depth=3
	s_mov_b32 s13, -1
	s_mov_b32 s35, exec_lo
                                        ; implicit-def: $sgpr31
	v_cmpx_eq_u16_e64 0x80, v160
; %bb.6095:                             ;   in Loop: Header=BB2_5836 Depth=3
	s_mov_b32 s31, 0x7f800001
	s_xor_b32 s13, exec_lo, -1
; %bb.6096:                             ;   in Loop: Header=BB2_5836 Depth=3
	s_or_b32 exec_lo, exec_lo, s35
	s_delay_alu instid0(SALU_CYCLE_1)
	s_and_b32 s13, s13, exec_lo
                                        ; implicit-def: $vgpr160
	s_or_saveexec_b32 s34, s34
	v_mov_b32_e32 v150, s31
	s_xor_b32 exec_lo, exec_lo, s34
	s_cbranch_execz .LBB2_5883
.LBB2_6097:                             ;   in Loop: Header=BB2_5836 Depth=3
	v_cmp_ne_u16_e64 vcc_lo, 0, v160
	v_mov_b32_e32 v150, 0
	s_and_not1_b32 s13, s13, exec_lo
	s_delay_alu instid0(VALU_DEP_2) | instskip(NEXT) | instid1(SALU_CYCLE_1)
	s_and_b32 vcc_lo, vcc_lo, exec_lo
	s_or_b32 s13, s13, vcc_lo
	s_or_b32 exec_lo, exec_lo, s34
	s_and_saveexec_b32 s31, s13
	s_cbranch_execnz .LBB2_5884
	s_branch .LBB2_5885
.LBB2_6098:                             ;   in Loop: Header=BB2_5836 Depth=3
	s_mov_b32 s13, -1
	s_mov_b32 s35, exec_lo
                                        ; implicit-def: $sgpr31
	v_cmpx_eq_u16_e64 0x80, v151
; %bb.6099:                             ;   in Loop: Header=BB2_5836 Depth=3
	s_mov_b32 s31, 0x7f800001
	s_xor_b32 s13, exec_lo, -1
; %bb.6100:                             ;   in Loop: Header=BB2_5836 Depth=3
	s_or_b32 exec_lo, exec_lo, s35
	s_delay_alu instid0(SALU_CYCLE_1)
	s_and_b32 s13, s13, exec_lo
                                        ; implicit-def: $vgpr151
	s_or_saveexec_b32 s34, s34
	v_mov_b32_e32 v150, s31
	s_xor_b32 exec_lo, exec_lo, s34
	s_cbranch_execz .LBB2_5897
.LBB2_6101:                             ;   in Loop: Header=BB2_5836 Depth=3
	v_cmp_ne_u16_e64 vcc_lo, 0, v151
	v_mov_b32_e32 v150, 0
	s_and_not1_b32 s13, s13, exec_lo
	s_delay_alu instid0(VALU_DEP_2) | instskip(NEXT) | instid1(SALU_CYCLE_1)
	s_and_b32 vcc_lo, vcc_lo, exec_lo
	s_or_b32 s13, s13, vcc_lo
	s_or_b32 exec_lo, exec_lo, s34
	s_and_saveexec_b32 s31, s13
	s_cbranch_execnz .LBB2_5898
	s_branch .LBB2_5899
.LBB2_6102:                             ;   in Loop: Header=BB2_5836 Depth=3
	s_mov_b32 s13, -1
	s_mov_b32 s35, exec_lo
                                        ; implicit-def: $sgpr31
	v_cmpx_eq_u16_e64 0x80, v160
; %bb.6103:                             ;   in Loop: Header=BB2_5836 Depth=3
	s_mov_b32 s31, 0x7f800001
	s_xor_b32 s13, exec_lo, -1
; %bb.6104:                             ;   in Loop: Header=BB2_5836 Depth=3
	s_or_b32 exec_lo, exec_lo, s35
	s_delay_alu instid0(SALU_CYCLE_1)
	s_and_b32 s13, s13, exec_lo
                                        ; implicit-def: $vgpr160
	s_or_saveexec_b32 s34, s34
	v_mov_b32_e32 v151, s31
	s_xor_b32 exec_lo, exec_lo, s34
	s_cbranch_execz .LBB2_5901
.LBB2_6105:                             ;   in Loop: Header=BB2_5836 Depth=3
	v_cmp_ne_u16_e64 vcc_lo, 0, v160
	v_mov_b32_e32 v151, 0
	s_and_not1_b32 s13, s13, exec_lo
	s_delay_alu instid0(VALU_DEP_2) | instskip(NEXT) | instid1(SALU_CYCLE_1)
	s_and_b32 vcc_lo, vcc_lo, exec_lo
	s_or_b32 s13, s13, vcc_lo
	s_or_b32 exec_lo, exec_lo, s34
	s_and_saveexec_b32 s31, s13
	s_cbranch_execnz .LBB2_5902
	s_branch .LBB2_5903
.LBB2_6106:                             ;   in Loop: Header=BB2_5836 Depth=3
	s_mov_b32 s13, -1
	s_mov_b32 s35, exec_lo
                                        ; implicit-def: $sgpr31
	v_cmpx_eq_u16_e64 0x80, v151
; %bb.6107:                             ;   in Loop: Header=BB2_5836 Depth=3
	s_mov_b32 s31, 0x7f800001
	s_xor_b32 s13, exec_lo, -1
; %bb.6108:                             ;   in Loop: Header=BB2_5836 Depth=3
	s_or_b32 exec_lo, exec_lo, s35
	s_delay_alu instid0(SALU_CYCLE_1)
	s_and_b32 s13, s13, exec_lo
                                        ; implicit-def: $vgpr151
	s_or_saveexec_b32 s34, s34
	v_mov_b32_e32 v150, s31
	s_xor_b32 exec_lo, exec_lo, s34
	s_cbranch_execz .LBB2_5908
.LBB2_6109:                             ;   in Loop: Header=BB2_5836 Depth=3
	v_cmp_ne_u16_e64 vcc_lo, 0, v151
	v_mov_b32_e32 v150, 0
	s_and_not1_b32 s13, s13, exec_lo
	s_delay_alu instid0(VALU_DEP_2) | instskip(NEXT) | instid1(SALU_CYCLE_1)
	s_and_b32 vcc_lo, vcc_lo, exec_lo
	s_or_b32 s13, s13, vcc_lo
	s_or_b32 exec_lo, exec_lo, s34
	s_and_saveexec_b32 s31, s13
	s_cbranch_execnz .LBB2_5909
	s_branch .LBB2_5910
.LBB2_6110:                             ;   in Loop: Header=BB2_5836 Depth=3
	s_mov_b32 s13, -1
	s_mov_b32 s35, exec_lo
                                        ; implicit-def: $sgpr31
	v_cmpx_eq_u16_e64 0x80, v151
; %bb.6111:                             ;   in Loop: Header=BB2_5836 Depth=3
	s_mov_b32 s31, 0x7f800001
	s_xor_b32 s13, exec_lo, -1
; %bb.6112:                             ;   in Loop: Header=BB2_5836 Depth=3
	s_or_b32 exec_lo, exec_lo, s35
	s_delay_alu instid0(SALU_CYCLE_1)
	s_and_b32 s13, s13, exec_lo
                                        ; implicit-def: $vgpr151
	s_or_saveexec_b32 s34, s34
	v_mov_b32_e32 v149, s31
	s_xor_b32 exec_lo, exec_lo, s34
	s_cbranch_execz .LBB2_5912
.LBB2_6113:                             ;   in Loop: Header=BB2_5836 Depth=3
	v_cmp_ne_u16_e64 vcc_lo, 0, v151
	v_mov_b32_e32 v149, 0
	s_and_not1_b32 s13, s13, exec_lo
	s_delay_alu instid0(VALU_DEP_2) | instskip(NEXT) | instid1(SALU_CYCLE_1)
	s_and_b32 vcc_lo, vcc_lo, exec_lo
	s_or_b32 s13, s13, vcc_lo
	s_or_b32 exec_lo, exec_lo, s34
	s_and_saveexec_b32 s31, s13
	s_cbranch_execnz .LBB2_5913
	s_branch .LBB2_5914
.LBB2_6114:                             ;   in Loop: Header=BB2_5836 Depth=3
	s_mov_b32 s13, -1
	s_mov_b32 s35, exec_lo
                                        ; implicit-def: $sgpr31
	v_cmpx_eq_u16_e64 0x80, v150
; %bb.6115:                             ;   in Loop: Header=BB2_5836 Depth=3
	s_mov_b32 s31, 0x7f800001
	s_xor_b32 s13, exec_lo, -1
; %bb.6116:                             ;   in Loop: Header=BB2_5836 Depth=3
	s_or_b32 exec_lo, exec_lo, s35
	s_delay_alu instid0(SALU_CYCLE_1)
	s_and_b32 s13, s13, exec_lo
                                        ; implicit-def: $vgpr150
	s_or_saveexec_b32 s34, s34
	v_mov_b32_e32 v149, s31
	s_xor_b32 exec_lo, exec_lo, s34
	s_cbranch_execz .LBB2_5926
.LBB2_6117:                             ;   in Loop: Header=BB2_5836 Depth=3
	v_cmp_ne_u16_e64 vcc_lo, 0, v150
	v_mov_b32_e32 v149, 0
	s_and_not1_b32 s13, s13, exec_lo
	s_delay_alu instid0(VALU_DEP_2) | instskip(NEXT) | instid1(SALU_CYCLE_1)
	s_and_b32 vcc_lo, vcc_lo, exec_lo
	s_or_b32 s13, s13, vcc_lo
	s_or_b32 exec_lo, exec_lo, s34
	s_and_saveexec_b32 s31, s13
	s_cbranch_execnz .LBB2_5927
	s_branch .LBB2_5928
.LBB2_6118:                             ;   in Loop: Header=BB2_5836 Depth=3
	s_mov_b32 s13, -1
	s_mov_b32 s35, exec_lo
                                        ; implicit-def: $sgpr31
	v_cmpx_eq_u16_e64 0x80, v151
; %bb.6119:                             ;   in Loop: Header=BB2_5836 Depth=3
	s_mov_b32 s31, 0x7f800001
	s_xor_b32 s13, exec_lo, -1
; %bb.6120:                             ;   in Loop: Header=BB2_5836 Depth=3
	s_or_b32 exec_lo, exec_lo, s35
	s_delay_alu instid0(SALU_CYCLE_1)
	s_and_b32 s13, s13, exec_lo
                                        ; implicit-def: $vgpr151
	s_or_saveexec_b32 s34, s34
	v_mov_b32_e32 v150, s31
	s_xor_b32 exec_lo, exec_lo, s34
	s_cbranch_execz .LBB2_5930
.LBB2_6121:                             ;   in Loop: Header=BB2_5836 Depth=3
	v_cmp_ne_u16_e64 vcc_lo, 0, v151
	v_mov_b32_e32 v150, 0
	s_and_not1_b32 s13, s13, exec_lo
	s_delay_alu instid0(VALU_DEP_2) | instskip(NEXT) | instid1(SALU_CYCLE_1)
	s_and_b32 vcc_lo, vcc_lo, exec_lo
	s_or_b32 s13, s13, vcc_lo
	s_or_b32 exec_lo, exec_lo, s34
	s_and_saveexec_b32 s31, s13
	s_cbranch_execnz .LBB2_5931
	s_branch .LBB2_5932
.LBB2_6122:                             ;   in Loop: Header=BB2_5836 Depth=3
	s_mov_b32 s13, -1
	s_mov_b32 s35, exec_lo
                                        ; implicit-def: $sgpr31
	v_cmpx_eq_u16_e64 0x80, v150
; %bb.6123:                             ;   in Loop: Header=BB2_5836 Depth=3
	s_mov_b32 s31, 0x7f800001
	s_xor_b32 s13, exec_lo, -1
; %bb.6124:                             ;   in Loop: Header=BB2_5836 Depth=3
	s_or_b32 exec_lo, exec_lo, s35
	s_delay_alu instid0(SALU_CYCLE_1)
	s_and_b32 s13, s13, exec_lo
                                        ; implicit-def: $vgpr150
	s_or_saveexec_b32 s34, s34
	v_mov_b32_e32 v149, s31
	s_xor_b32 exec_lo, exec_lo, s34
	s_cbranch_execz .LBB2_5937
.LBB2_6125:                             ;   in Loop: Header=BB2_5836 Depth=3
	v_cmp_ne_u16_e64 vcc_lo, 0, v150
	v_mov_b32_e32 v149, 0
	s_and_not1_b32 s13, s13, exec_lo
	s_delay_alu instid0(VALU_DEP_2) | instskip(NEXT) | instid1(SALU_CYCLE_1)
	s_and_b32 vcc_lo, vcc_lo, exec_lo
	s_or_b32 s13, s13, vcc_lo
	s_or_b32 exec_lo, exec_lo, s34
	s_and_saveexec_b32 s31, s13
	s_cbranch_execnz .LBB2_5938
	s_branch .LBB2_5939
.LBB2_6126:                             ;   in Loop: Header=BB2_5836 Depth=3
	s_mov_b32 s13, -1
	s_mov_b32 s35, exec_lo
                                        ; implicit-def: $sgpr31
	v_cmpx_eq_u16_e64 0x80, v150
; %bb.6127:                             ;   in Loop: Header=BB2_5836 Depth=3
	s_mov_b32 s31, 0x7f800001
	s_xor_b32 s13, exec_lo, -1
; %bb.6128:                             ;   in Loop: Header=BB2_5836 Depth=3
	s_or_b32 exec_lo, exec_lo, s35
	s_delay_alu instid0(SALU_CYCLE_1)
	s_and_b32 s13, s13, exec_lo
                                        ; implicit-def: $vgpr150
	s_or_saveexec_b32 s34, s34
	v_mov_b32_e32 v148, s31
	s_xor_b32 exec_lo, exec_lo, s34
	s_cbranch_execz .LBB2_5941
.LBB2_6129:                             ;   in Loop: Header=BB2_5836 Depth=3
	v_cmp_ne_u16_e64 vcc_lo, 0, v150
	v_mov_b32_e32 v148, 0
	s_and_not1_b32 s13, s13, exec_lo
	s_delay_alu instid0(VALU_DEP_2) | instskip(NEXT) | instid1(SALU_CYCLE_1)
	s_and_b32 vcc_lo, vcc_lo, exec_lo
	s_or_b32 s13, s13, vcc_lo
	s_or_b32 exec_lo, exec_lo, s34
	s_and_saveexec_b32 s31, s13
	s_cbranch_execnz .LBB2_5942
	s_branch .LBB2_5943
.LBB2_6130:                             ;   in Loop: Header=BB2_5836 Depth=3
	s_mov_b32 s13, -1
	s_mov_b32 s35, exec_lo
                                        ; implicit-def: $sgpr31
	v_cmpx_eq_u16_e64 0x80, v149
; %bb.6131:                             ;   in Loop: Header=BB2_5836 Depth=3
	s_mov_b32 s31, 0x7f800001
	s_xor_b32 s13, exec_lo, -1
; %bb.6132:                             ;   in Loop: Header=BB2_5836 Depth=3
	s_or_b32 exec_lo, exec_lo, s35
	s_delay_alu instid0(SALU_CYCLE_1)
	s_and_b32 s13, s13, exec_lo
                                        ; implicit-def: $vgpr149
	s_or_saveexec_b32 s34, s34
	v_mov_b32_e32 v148, s31
	s_xor_b32 exec_lo, exec_lo, s34
	s_cbranch_execz .LBB2_5955
.LBB2_6133:                             ;   in Loop: Header=BB2_5836 Depth=3
	v_cmp_ne_u16_e64 vcc_lo, 0, v149
	v_mov_b32_e32 v148, 0
	s_and_not1_b32 s13, s13, exec_lo
	s_delay_alu instid0(VALU_DEP_2) | instskip(NEXT) | instid1(SALU_CYCLE_1)
	s_and_b32 vcc_lo, vcc_lo, exec_lo
	s_or_b32 s13, s13, vcc_lo
	s_or_b32 exec_lo, exec_lo, s34
	s_and_saveexec_b32 s31, s13
	s_cbranch_execnz .LBB2_5956
	s_branch .LBB2_5957
.LBB2_6134:                             ;   in Loop: Header=BB2_5836 Depth=3
	s_mov_b32 s13, -1
	s_mov_b32 s35, exec_lo
                                        ; implicit-def: $sgpr31
	v_cmpx_eq_u16_e64 0x80, v150
; %bb.6135:                             ;   in Loop: Header=BB2_5836 Depth=3
	s_mov_b32 s31, 0x7f800001
	s_xor_b32 s13, exec_lo, -1
; %bb.6136:                             ;   in Loop: Header=BB2_5836 Depth=3
	s_or_b32 exec_lo, exec_lo, s35
	s_delay_alu instid0(SALU_CYCLE_1)
	s_and_b32 s13, s13, exec_lo
                                        ; implicit-def: $vgpr150
	s_or_saveexec_b32 s34, s34
	v_mov_b32_e32 v149, s31
	s_xor_b32 exec_lo, exec_lo, s34
	s_cbranch_execz .LBB2_5959
.LBB2_6137:                             ;   in Loop: Header=BB2_5836 Depth=3
	v_cmp_ne_u16_e64 vcc_lo, 0, v150
	v_mov_b32_e32 v149, 0
	s_and_not1_b32 s13, s13, exec_lo
	s_delay_alu instid0(VALU_DEP_2) | instskip(NEXT) | instid1(SALU_CYCLE_1)
	s_and_b32 vcc_lo, vcc_lo, exec_lo
	s_or_b32 s13, s13, vcc_lo
	s_or_b32 exec_lo, exec_lo, s34
	s_and_saveexec_b32 s31, s13
	s_cbranch_execnz .LBB2_5960
	s_branch .LBB2_5961
.LBB2_6138:                             ;   in Loop: Header=BB2_5836 Depth=3
	s_mov_b32 s13, -1
	s_mov_b32 s35, exec_lo
                                        ; implicit-def: $sgpr31
	v_cmpx_eq_u16_e64 0x80, v149
; %bb.6139:                             ;   in Loop: Header=BB2_5836 Depth=3
	s_mov_b32 s31, 0x7f800001
	s_xor_b32 s13, exec_lo, -1
; %bb.6140:                             ;   in Loop: Header=BB2_5836 Depth=3
	s_or_b32 exec_lo, exec_lo, s35
	s_delay_alu instid0(SALU_CYCLE_1)
	s_and_b32 s13, s13, exec_lo
                                        ; implicit-def: $vgpr149
	s_or_saveexec_b32 s34, s34
	v_mov_b32_e32 v148, s31
	s_xor_b32 exec_lo, exec_lo, s34
	s_cbranch_execz .LBB2_5966
.LBB2_6141:                             ;   in Loop: Header=BB2_5836 Depth=3
	v_cmp_ne_u16_e64 vcc_lo, 0, v149
	v_mov_b32_e32 v148, 0
	s_and_not1_b32 s13, s13, exec_lo
	s_delay_alu instid0(VALU_DEP_2) | instskip(NEXT) | instid1(SALU_CYCLE_1)
	s_and_b32 vcc_lo, vcc_lo, exec_lo
	s_or_b32 s13, s13, vcc_lo
	s_or_b32 exec_lo, exec_lo, s34
	s_and_saveexec_b32 s31, s13
	s_cbranch_execnz .LBB2_5967
	s_branch .LBB2_5968
.LBB2_6142:                             ;   in Loop: Header=BB2_5836 Depth=3
	s_mov_b32 s13, -1
	s_mov_b32 s35, exec_lo
                                        ; implicit-def: $sgpr31
	v_cmpx_eq_u16_e64 0x80, v149
; %bb.6143:                             ;   in Loop: Header=BB2_5836 Depth=3
	s_mov_b32 s31, 0x7f800001
	s_xor_b32 s13, exec_lo, -1
; %bb.6144:                             ;   in Loop: Header=BB2_5836 Depth=3
	s_or_b32 exec_lo, exec_lo, s35
	s_delay_alu instid0(SALU_CYCLE_1)
	s_and_b32 s13, s13, exec_lo
                                        ; implicit-def: $vgpr149
	s_or_saveexec_b32 s34, s34
	v_mov_b32_e32 v146, s31
	s_xor_b32 exec_lo, exec_lo, s34
	s_cbranch_execz .LBB2_5970
.LBB2_6145:                             ;   in Loop: Header=BB2_5836 Depth=3
	v_cmp_ne_u16_e64 vcc_lo, 0, v149
	v_mov_b32_e32 v146, 0
	s_and_not1_b32 s13, s13, exec_lo
	s_delay_alu instid0(VALU_DEP_2) | instskip(NEXT) | instid1(SALU_CYCLE_1)
	s_and_b32 vcc_lo, vcc_lo, exec_lo
	s_or_b32 s13, s13, vcc_lo
	s_or_b32 exec_lo, exec_lo, s34
	s_and_saveexec_b32 s31, s13
	s_cbranch_execnz .LBB2_5971
	s_branch .LBB2_5972
.LBB2_6146:                             ;   in Loop: Header=BB2_5836 Depth=3
	s_mov_b32 s13, -1
	s_mov_b32 s35, exec_lo
                                        ; implicit-def: $sgpr31
	v_cmpx_eq_u16_e64 0x80, v148
; %bb.6147:                             ;   in Loop: Header=BB2_5836 Depth=3
	s_mov_b32 s31, 0x7f800001
	s_xor_b32 s13, exec_lo, -1
; %bb.6148:                             ;   in Loop: Header=BB2_5836 Depth=3
	s_or_b32 exec_lo, exec_lo, s35
	s_delay_alu instid0(SALU_CYCLE_1)
	s_and_b32 s13, s13, exec_lo
                                        ; implicit-def: $vgpr148
	s_or_saveexec_b32 s34, s34
	v_mov_b32_e32 v146, s31
	s_xor_b32 exec_lo, exec_lo, s34
	s_cbranch_execz .LBB2_5984
.LBB2_6149:                             ;   in Loop: Header=BB2_5836 Depth=3
	v_cmp_ne_u16_e64 vcc_lo, 0, v148
	v_mov_b32_e32 v146, 0
	s_and_not1_b32 s13, s13, exec_lo
	s_delay_alu instid0(VALU_DEP_2) | instskip(NEXT) | instid1(SALU_CYCLE_1)
	s_and_b32 vcc_lo, vcc_lo, exec_lo
	s_or_b32 s13, s13, vcc_lo
	s_or_b32 exec_lo, exec_lo, s34
	s_and_saveexec_b32 s31, s13
	s_cbranch_execnz .LBB2_5985
	s_branch .LBB2_5986
.LBB2_6150:                             ;   in Loop: Header=BB2_5836 Depth=3
	s_mov_b32 s13, -1
	s_mov_b32 s35, exec_lo
                                        ; implicit-def: $sgpr31
	v_cmpx_eq_u16_e64 0x80, v149
; %bb.6151:                             ;   in Loop: Header=BB2_5836 Depth=3
	s_mov_b32 s31, 0x7f800001
	s_xor_b32 s13, exec_lo, -1
; %bb.6152:                             ;   in Loop: Header=BB2_5836 Depth=3
	s_or_b32 exec_lo, exec_lo, s35
	s_delay_alu instid0(SALU_CYCLE_1)
	s_and_b32 s13, s13, exec_lo
                                        ; implicit-def: $vgpr149
	s_or_saveexec_b32 s34, s34
	v_mov_b32_e32 v148, s31
	s_xor_b32 exec_lo, exec_lo, s34
	s_cbranch_execz .LBB2_5988
.LBB2_6153:                             ;   in Loop: Header=BB2_5836 Depth=3
	v_cmp_ne_u16_e64 vcc_lo, 0, v149
	v_mov_b32_e32 v148, 0
	s_and_not1_b32 s13, s13, exec_lo
	s_delay_alu instid0(VALU_DEP_2) | instskip(NEXT) | instid1(SALU_CYCLE_1)
	s_and_b32 vcc_lo, vcc_lo, exec_lo
	s_or_b32 s13, s13, vcc_lo
	s_or_b32 exec_lo, exec_lo, s34
	s_and_saveexec_b32 s31, s13
	s_cbranch_execnz .LBB2_5989
	s_branch .LBB2_5990
.LBB2_6154:                             ;   in Loop: Header=BB2_5836 Depth=3
	s_mov_b32 s13, -1
	s_mov_b32 s35, exec_lo
                                        ; implicit-def: $sgpr31
	v_cmpx_eq_u16_e64 0x80, v148
; %bb.6155:                             ;   in Loop: Header=BB2_5836 Depth=3
	s_mov_b32 s31, 0x7f800001
	s_xor_b32 s13, exec_lo, -1
; %bb.6156:                             ;   in Loop: Header=BB2_5836 Depth=3
	s_or_b32 exec_lo, exec_lo, s35
	s_delay_alu instid0(SALU_CYCLE_1)
	s_and_b32 s13, s13, exec_lo
                                        ; implicit-def: $vgpr148
	s_or_saveexec_b32 s34, s34
	v_mov_b32_e32 v146, s31
	s_xor_b32 exec_lo, exec_lo, s34
	s_cbranch_execz .LBB2_5995
.LBB2_6157:                             ;   in Loop: Header=BB2_5836 Depth=3
	v_cmp_ne_u16_e64 vcc_lo, 0, v148
	v_mov_b32_e32 v146, 0
	s_and_not1_b32 s13, s13, exec_lo
	s_delay_alu instid0(VALU_DEP_2) | instskip(NEXT) | instid1(SALU_CYCLE_1)
	s_and_b32 vcc_lo, vcc_lo, exec_lo
	s_or_b32 s13, s13, vcc_lo
	s_or_b32 exec_lo, exec_lo, s34
	s_and_saveexec_b32 s31, s13
	s_cbranch_execnz .LBB2_5996
	s_branch .LBB2_5997
.LBB2_6158:                             ;   in Loop: Header=BB2_5836 Depth=3
	s_mov_b32 s13, -1
	s_mov_b32 s35, exec_lo
                                        ; implicit-def: $sgpr31
	v_cmpx_eq_u16_e64 0x80, v148
; %bb.6159:                             ;   in Loop: Header=BB2_5836 Depth=3
	s_mov_b32 s31, 0x7f800001
	s_xor_b32 s13, exec_lo, -1
; %bb.6160:                             ;   in Loop: Header=BB2_5836 Depth=3
	s_or_b32 exec_lo, exec_lo, s35
	s_delay_alu instid0(SALU_CYCLE_1)
	s_and_b32 s13, s13, exec_lo
                                        ; implicit-def: $vgpr148
	s_or_saveexec_b32 s34, s34
	v_mov_b32_e32 v135, s31
	s_xor_b32 exec_lo, exec_lo, s34
	s_cbranch_execz .LBB2_5999
.LBB2_6161:                             ;   in Loop: Header=BB2_5836 Depth=3
	v_cmp_ne_u16_e64 vcc_lo, 0, v148
	v_mov_b32_e32 v135, 0
	s_and_not1_b32 s13, s13, exec_lo
	s_delay_alu instid0(VALU_DEP_2) | instskip(NEXT) | instid1(SALU_CYCLE_1)
	s_and_b32 vcc_lo, vcc_lo, exec_lo
	s_or_b32 s13, s13, vcc_lo
	s_or_b32 exec_lo, exec_lo, s34
	s_and_saveexec_b32 s31, s13
	s_cbranch_execnz .LBB2_6000
	s_branch .LBB2_6001
.LBB2_6162:                             ;   in Loop: Header=BB2_5836 Depth=3
	s_mov_b32 s13, -1
	s_mov_b32 s35, exec_lo
                                        ; implicit-def: $sgpr31
	v_cmpx_eq_u16_e64 0x80, v146
; %bb.6163:                             ;   in Loop: Header=BB2_5836 Depth=3
	s_mov_b32 s31, 0x7f800001
	s_xor_b32 s13, exec_lo, -1
; %bb.6164:                             ;   in Loop: Header=BB2_5836 Depth=3
	s_or_b32 exec_lo, exec_lo, s35
	s_delay_alu instid0(SALU_CYCLE_1)
	s_and_b32 s13, s13, exec_lo
                                        ; implicit-def: $vgpr146
	s_or_saveexec_b32 s34, s34
	v_mov_b32_e32 v135, s31
	s_xor_b32 exec_lo, exec_lo, s34
	s_cbranch_execz .LBB2_6013
.LBB2_6165:                             ;   in Loop: Header=BB2_5836 Depth=3
	v_cmp_ne_u16_e64 vcc_lo, 0, v146
	v_mov_b32_e32 v135, 0
	s_and_not1_b32 s13, s13, exec_lo
	s_delay_alu instid0(VALU_DEP_2) | instskip(NEXT) | instid1(SALU_CYCLE_1)
	s_and_b32 vcc_lo, vcc_lo, exec_lo
	s_or_b32 s13, s13, vcc_lo
	s_or_b32 exec_lo, exec_lo, s34
	s_and_saveexec_b32 s31, s13
	s_cbranch_execnz .LBB2_6014
	s_branch .LBB2_6015
.LBB2_6166:                             ;   in Loop: Header=BB2_5836 Depth=3
	s_mov_b32 s13, -1
	s_mov_b32 s35, exec_lo
                                        ; implicit-def: $sgpr31
	v_cmpx_eq_u16_e64 0x80, v148
; %bb.6167:                             ;   in Loop: Header=BB2_5836 Depth=3
	s_mov_b32 s31, 0x7f800001
	s_xor_b32 s13, exec_lo, -1
; %bb.6168:                             ;   in Loop: Header=BB2_5836 Depth=3
	s_or_b32 exec_lo, exec_lo, s35
	s_delay_alu instid0(SALU_CYCLE_1)
	s_and_b32 s13, s13, exec_lo
                                        ; implicit-def: $vgpr148
	s_or_saveexec_b32 s34, s34
	v_mov_b32_e32 v146, s31
	s_xor_b32 exec_lo, exec_lo, s34
	s_cbranch_execz .LBB2_6017
.LBB2_6169:                             ;   in Loop: Header=BB2_5836 Depth=3
	v_cmp_ne_u16_e64 vcc_lo, 0, v148
	v_mov_b32_e32 v146, 0
	s_and_not1_b32 s13, s13, exec_lo
	s_delay_alu instid0(VALU_DEP_2) | instskip(NEXT) | instid1(SALU_CYCLE_1)
	s_and_b32 vcc_lo, vcc_lo, exec_lo
	s_or_b32 s13, s13, vcc_lo
	s_or_b32 exec_lo, exec_lo, s34
	s_and_saveexec_b32 s31, s13
	s_cbranch_execnz .LBB2_6018
	s_branch .LBB2_6019
.LBB2_6170:                             ;   in Loop: Header=BB2_5836 Depth=3
	s_mov_b32 s13, -1
	s_mov_b32 s35, exec_lo
                                        ; implicit-def: $sgpr31
	v_cmpx_eq_u16_e64 0x80, v146
; %bb.6171:                             ;   in Loop: Header=BB2_5836 Depth=3
	s_mov_b32 s31, 0x7f800001
	s_xor_b32 s13, exec_lo, -1
; %bb.6172:                             ;   in Loop: Header=BB2_5836 Depth=3
	s_or_b32 exec_lo, exec_lo, s35
	s_delay_alu instid0(SALU_CYCLE_1)
	s_and_b32 s13, s13, exec_lo
                                        ; implicit-def: $vgpr146
	s_or_saveexec_b32 s34, s34
	v_mov_b32_e32 v135, s31
	s_xor_b32 exec_lo, exec_lo, s34
	s_cbranch_execz .LBB2_6024
.LBB2_6173:                             ;   in Loop: Header=BB2_5836 Depth=3
	v_cmp_ne_u16_e64 vcc_lo, 0, v146
	v_mov_b32_e32 v135, 0
	s_and_not1_b32 s13, s13, exec_lo
	s_delay_alu instid0(VALU_DEP_2) | instskip(NEXT) | instid1(SALU_CYCLE_1)
	s_and_b32 vcc_lo, vcc_lo, exec_lo
	s_or_b32 s13, s13, vcc_lo
	s_or_b32 exec_lo, exec_lo, s34
	s_and_saveexec_b32 s31, s13
	s_cbranch_execnz .LBB2_6025
	s_branch .LBB2_6026
.LBB2_6174:                             ;   in Loop: Header=BB2_5836 Depth=3
	s_mov_b32 s13, -1
	s_mov_b32 s35, exec_lo
                                        ; implicit-def: $sgpr31
	v_cmpx_eq_u16_e64 0x80, v146
; %bb.6175:                             ;   in Loop: Header=BB2_5836 Depth=3
	s_mov_b32 s31, 0x7f800001
	s_xor_b32 s13, exec_lo, -1
; %bb.6176:                             ;   in Loop: Header=BB2_5836 Depth=3
	s_or_b32 exec_lo, exec_lo, s35
	s_delay_alu instid0(SALU_CYCLE_1)
	s_and_b32 s13, s13, exec_lo
                                        ; implicit-def: $vgpr146
	s_or_saveexec_b32 s34, s34
	v_mov_b32_e32 v70, s31
	s_xor_b32 exec_lo, exec_lo, s34
	s_cbranch_execz .LBB2_6028
.LBB2_6177:                             ;   in Loop: Header=BB2_5836 Depth=3
	v_cmp_ne_u16_e64 vcc_lo, 0, v146
	v_mov_b32_e32 v70, 0
	s_and_not1_b32 s13, s13, exec_lo
	s_delay_alu instid0(VALU_DEP_2) | instskip(NEXT) | instid1(SALU_CYCLE_1)
	s_and_b32 vcc_lo, vcc_lo, exec_lo
	s_or_b32 s13, s13, vcc_lo
	s_or_b32 exec_lo, exec_lo, s34
	s_and_saveexec_b32 s31, s13
	s_cbranch_execnz .LBB2_6029
	s_branch .LBB2_6030
.LBB2_6178:                             ;   in Loop: Header=BB2_5836 Depth=3
	s_mov_b32 s13, -1
	s_mov_b32 s35, exec_lo
                                        ; implicit-def: $sgpr31
	v_cmpx_eq_u16_e64 0x80, v135
; %bb.6179:                             ;   in Loop: Header=BB2_5836 Depth=3
	s_mov_b32 s31, 0x7f800001
	s_xor_b32 s13, exec_lo, -1
; %bb.6180:                             ;   in Loop: Header=BB2_5836 Depth=3
	s_or_b32 exec_lo, exec_lo, s35
	s_delay_alu instid0(SALU_CYCLE_1)
	s_and_b32 s13, s13, exec_lo
                                        ; implicit-def: $vgpr135
	s_or_saveexec_b32 s34, s34
	v_mov_b32_e32 v70, s31
	s_xor_b32 exec_lo, exec_lo, s34
	s_cbranch_execz .LBB2_6042
.LBB2_6181:                             ;   in Loop: Header=BB2_5836 Depth=3
	v_cmp_ne_u16_e64 vcc_lo, 0, v135
	v_mov_b32_e32 v70, 0
	s_and_not1_b32 s13, s13, exec_lo
	s_delay_alu instid0(VALU_DEP_2) | instskip(NEXT) | instid1(SALU_CYCLE_1)
	s_and_b32 vcc_lo, vcc_lo, exec_lo
	s_or_b32 s13, s13, vcc_lo
	s_or_b32 exec_lo, exec_lo, s34
	s_and_saveexec_b32 s31, s13
	s_cbranch_execnz .LBB2_6043
	s_branch .LBB2_6044
.LBB2_6182:                             ;   in Loop: Header=BB2_5836 Depth=3
	s_mov_b32 s13, -1
	s_mov_b32 s35, exec_lo
                                        ; implicit-def: $sgpr31
	v_cmpx_eq_u16_e64 0x80, v146
; %bb.6183:                             ;   in Loop: Header=BB2_5836 Depth=3
	s_mov_b32 s31, 0x7f800001
	s_xor_b32 s13, exec_lo, -1
; %bb.6184:                             ;   in Loop: Header=BB2_5836 Depth=3
	s_or_b32 exec_lo, exec_lo, s35
	s_delay_alu instid0(SALU_CYCLE_1)
	s_and_b32 s13, s13, exec_lo
                                        ; implicit-def: $vgpr146
	s_or_saveexec_b32 s34, s34
	v_mov_b32_e32 v135, s31
	s_xor_b32 exec_lo, exec_lo, s34
	s_cbranch_execz .LBB2_6046
.LBB2_6185:                             ;   in Loop: Header=BB2_5836 Depth=3
	v_cmp_ne_u16_e64 vcc_lo, 0, v146
	v_mov_b32_e32 v135, 0
	s_and_not1_b32 s13, s13, exec_lo
	s_delay_alu instid0(VALU_DEP_2) | instskip(NEXT) | instid1(SALU_CYCLE_1)
	s_and_b32 vcc_lo, vcc_lo, exec_lo
	s_or_b32 s13, s13, vcc_lo
	s_or_b32 exec_lo, exec_lo, s34
	s_and_saveexec_b32 s31, s13
	s_cbranch_execnz .LBB2_6047
	s_branch .LBB2_6048
.LBB2_6186:                             ;   in Loop: Header=BB2_5836 Depth=3
	s_mov_b32 s13, -1
	s_mov_b32 s35, exec_lo
                                        ; implicit-def: $sgpr31
	v_cmpx_eq_u16_e64 0x80, v135
; %bb.6187:                             ;   in Loop: Header=BB2_5836 Depth=3
	s_mov_b32 s31, 0x7f800001
	s_xor_b32 s13, exec_lo, -1
; %bb.6188:                             ;   in Loop: Header=BB2_5836 Depth=3
	s_or_b32 exec_lo, exec_lo, s35
	s_delay_alu instid0(SALU_CYCLE_1)
	s_and_b32 s13, s13, exec_lo
                                        ; implicit-def: $vgpr135
	s_or_saveexec_b32 s34, s34
	v_mov_b32_e32 v70, s31
	s_xor_b32 exec_lo, exec_lo, s34
	s_cbranch_execz .LBB2_6053
.LBB2_6189:                             ;   in Loop: Header=BB2_5836 Depth=3
	v_cmp_ne_u16_e64 vcc_lo, 0, v135
	v_mov_b32_e32 v70, 0
	s_and_not1_b32 s13, s13, exec_lo
	s_delay_alu instid0(VALU_DEP_2) | instskip(NEXT) | instid1(SALU_CYCLE_1)
	s_and_b32 vcc_lo, vcc_lo, exec_lo
	s_or_b32 s13, s13, vcc_lo
	s_or_b32 exec_lo, exec_lo, s34
	s_and_saveexec_b32 s31, s13
	s_cbranch_execnz .LBB2_6054
	s_branch .LBB2_6055
.LBB2_6190:                             ;   in Loop: Header=BB2_5836 Depth=3
	s_mov_b32 s13, -1
	s_mov_b32 s35, exec_lo
                                        ; implicit-def: $sgpr31
	v_cmpx_eq_u16_e64 0x80, v135
; %bb.6191:                             ;   in Loop: Header=BB2_5836 Depth=3
	s_mov_b32 s31, 0x7f800001
	s_xor_b32 s13, exec_lo, -1
; %bb.6192:                             ;   in Loop: Header=BB2_5836 Depth=3
	s_or_b32 exec_lo, exec_lo, s35
	s_delay_alu instid0(SALU_CYCLE_1)
	s_and_b32 s13, s13, exec_lo
                                        ; implicit-def: $vgpr135
	s_or_saveexec_b32 s34, s34
	v_mov_b32_e32 v67, s31
	s_xor_b32 exec_lo, exec_lo, s34
	s_cbranch_execz .LBB2_6057
.LBB2_6193:                             ;   in Loop: Header=BB2_5836 Depth=3
	v_cmp_ne_u16_e64 vcc_lo, 0, v135
	v_mov_b32_e32 v67, 0
	s_and_not1_b32 s13, s13, exec_lo
	s_delay_alu instid0(VALU_DEP_2) | instskip(NEXT) | instid1(SALU_CYCLE_1)
	s_and_b32 vcc_lo, vcc_lo, exec_lo
	s_or_b32 s13, s13, vcc_lo
	s_or_b32 exec_lo, exec_lo, s34
	s_and_saveexec_b32 s31, s13
	s_cbranch_execnz .LBB2_6058
	s_branch .LBB2_6059
.LBB2_6194:                             ;   in Loop: Header=BB2_2404 Depth=2
	s_or_b32 exec_lo, exec_lo, s17
.LBB2_6195:                             ;   in Loop: Header=BB2_2404 Depth=2
	s_delay_alu instid0(SALU_CYCLE_1) | instskip(SKIP_2) | instid1(VALU_DEP_1)
	s_or_b32 exec_lo, exec_lo, s15
	v_lshlrev_b32_e32 v8, 8, v65
	s_mov_b32 s15, exec_lo
	v_cmpx_ne_u32_e64 v15, v8
	s_cbranch_execz .LBB2_6245
; %bb.6196:                             ;   in Loop: Header=BB2_2404 Depth=2
	v_ashrrev_i32_e32 v9, 31, v64
	v_lshlrev_b32_e32 v2, 5, v2
	s_delay_alu instid0(VALU_DEP_2) | instskip(NEXT) | instid1(VALU_DEP_1)
	v_lshrrev_b32_e32 v9, 27, v9
	v_add_nc_u32_e32 v9, v64, v9
	s_delay_alu instid0(VALU_DEP_1) | instskip(NEXT) | instid1(VALU_DEP_1)
	v_and_b32_e32 v9, 0xffffffe0, v9
	v_sub_nc_u32_e32 v9, v64, v9
	s_delay_alu instid0(VALU_DEP_1) | instskip(NEXT) | instid1(VALU_DEP_1)
	v_sub_nc_u32_e32 v2, v9, v2
	v_add_nc_u32_e32 v8, v8, v2
	s_delay_alu instid0(VALU_DEP_1) | instskip(NEXT) | instid1(VALU_DEP_1)
	v_sub_nc_u32_e32 v2, v15, v8
	v_cmp_lt_i32_e32 vcc_lo, 0, v2
	s_and_b32 exec_lo, exec_lo, vcc_lo
	s_cbranch_execz .LBB2_6245
; %bb.6197:                             ;   in Loop: Header=BB2_2404 Depth=2
	s_cbranch_execnz .LBB2_7372
; %bb.6198:                             ;   in Loop: Header=BB2_2404 Depth=2
	ds_load_b128 v[9:12], v0
	ds_load_b64 v[64:65], v0
	v_add_nc_u32_e32 v13, v8, v14
	s_bitcmp1_b32 s30, 0
	s_mov_b32 s16, 0
	s_cselect_b32 s17, -1, 0
	s_delay_alu instid0(VALU_DEP_1) | instskip(SKIP_2) | instid1(VALU_DEP_2)
	v_ashrrev_i32_e32 v14, 31, v13
	s_waitcnt lgkmcnt(1)
	v_add_co_u32 v8, vcc_lo, v9, v13
	v_add_co_ci_u32_e32 v9, vcc_lo, v10, v14, vcc_lo
	v_add_co_u32 v10, vcc_lo, v11, v13
	v_add_co_ci_u32_e32 v11, vcc_lo, v12, v14, vcc_lo
	s_waitcnt lgkmcnt(0)
	v_add_co_u32 v12, vcc_lo, v64, v13
	v_add_co_ci_u32_e32 v13, vcc_lo, v65, v14, vcc_lo
	s_branch .LBB2_6202
.LBB2_6199:                             ;   in Loop: Header=BB2_6202 Depth=3
	s_or_b32 exec_lo, exec_lo, s13
	s_delay_alu instid0(VALU_DEP_1) | instskip(NEXT) | instid1(VALU_DEP_2)
	v_lshrrev_b32_e32 v15, 20, v15
	v_cmp_gt_i32_e32 vcc_lo, 16, v14
	v_lshrrev_b32_e32 v64, 24, v66
	v_min_i32_e32 v65, 15, v14
	s_delay_alu instid0(VALU_DEP_2) | instskip(NEXT) | instid1(VALU_DEP_1)
	v_dual_cndmask_b32 v15, 7, v15 :: v_dual_and_b32 v64, 0x80, v64
	v_or_b32_e32 v14, v14, v15
	v_and_b32_e32 v66, 7, v15
	s_delay_alu instid0(VALU_DEP_2) | instskip(SKIP_1) | instid1(VALU_DEP_1)
	v_cmp_ne_u32_e32 vcc_lo, 0, v14
	v_lshlrev_b32_e32 v65, 3, v65
	v_or3_b32 v15, v65, v64, v66
	s_delay_alu instid0(VALU_DEP_1)
	v_cndmask_b32_e32 v14, 0, v15, vcc_lo
.LBB2_6200:                             ;   in Loop: Header=BB2_6202 Depth=3
	s_or_b32 exec_lo, exec_lo, s31
.LBB2_6201:                             ;   in Loop: Header=BB2_6202 Depth=3
	s_delay_alu instid0(SALU_CYCLE_1)
	s_or_b32 exec_lo, exec_lo, s30
	v_add_co_u32 v8, vcc_lo, v8, v114
	v_sub_nc_u32_e32 v2, v2, v99
	v_add_co_ci_u32_e32 v9, vcc_lo, v9, v115, vcc_lo
	v_add_co_u32 v10, vcc_lo, v10, v114
	v_add_co_ci_u32_e32 v11, vcc_lo, v11, v115, vcc_lo
	flat_store_b8 v[12:13], v14 glc slc dlc
	v_cmp_gt_i32_e32 vcc_lo, 1, v2
	v_add_co_u32 v12, s13, v12, v114
	s_delay_alu instid0(VALU_DEP_1) | instskip(SKIP_1) | instid1(SALU_CYCLE_1)
	v_add_co_ci_u32_e64 v13, s13, v13, v115, s13
	s_or_b32 s16, vcc_lo, s16
	s_and_not1_b32 exec_lo, exec_lo, s16
	s_cbranch_execz .LBB2_6245
.LBB2_6202:                             ;   Parent Loop BB2_51 Depth=1
                                        ;     Parent Loop BB2_2404 Depth=2
                                        ; =>    This Inner Loop Header: Depth=3
	flat_load_u8 v15, v[10:11] slc dlc
	flat_load_u8 v64, v[8:9] slc dlc
	s_waitcnt vmcnt(1) lgkmcnt(1)
	v_bfe_u32 v67, v15, 3, 4
	v_lshlrev_b32_e32 v68, 24, v15
	s_delay_alu instid0(VALU_DEP_2) | instskip(SKIP_1) | instid1(VALU_DEP_1)
	v_cmp_eq_u32_e32 vcc_lo, 0, v67
	v_and_b32_e32 v14, 7, v15
	v_clz_i32_u32_e32 v65, v14
	s_delay_alu instid0(VALU_DEP_1) | instskip(NEXT) | instid1(VALU_DEP_1)
	v_min_u32_e32 v65, 32, v65
	v_subrev_nc_u32_e32 v66, 28, v65
	v_sub_nc_u32_e32 v65, 29, v65
	s_delay_alu instid0(VALU_DEP_1) | instskip(NEXT) | instid1(VALU_DEP_1)
	v_dual_cndmask_b32 v65, v67, v65 :: v_dual_lshlrev_b32 v66, v66, v15
	v_and_b32_e32 v66, 7, v66
	s_delay_alu instid0(VALU_DEP_2) | instskip(SKIP_1) | instid1(VALU_DEP_2)
	v_lshl_add_u32 v67, v65, 23, 0x3b800000
	s_waitcnt vmcnt(0) lgkmcnt(0)
	v_dual_cndmask_b32 v14, v14, v66 :: v_dual_and_b32 v65, 0xff, v64
	v_and_b32_e32 v66, 0x80000000, v68
	s_and_b32 vcc_lo, exec_lo, s17
	s_delay_alu instid0(VALU_DEP_2) | instskip(NEXT) | instid1(VALU_DEP_3)
	v_cmp_lt_i16_e64 s13, 0x7f, v65
	v_lshlrev_b32_e32 v14, 20, v14
	s_delay_alu instid0(VALU_DEP_1)
	v_or3_b32 v14, v66, v67, v14
	s_cbranch_vccz .LBB2_6212
; %bb.6203:                             ;   in Loop: Header=BB2_6202 Depth=3
	s_mov_b32 s30, 0
                                        ; implicit-def: $sgpr31
	s_and_saveexec_b32 vcc_lo, s13
	s_delay_alu instid0(SALU_CYCLE_1)
	s_xor_b32 s13, exec_lo, vcc_lo
	s_cbranch_execnz .LBB2_6229
; %bb.6204:                             ;   in Loop: Header=BB2_6202 Depth=3
	s_or_saveexec_b32 s13, s13
	v_mov_b32_e32 v66, s31
	s_xor_b32 exec_lo, exec_lo, s13
	s_cbranch_execnz .LBB2_6232
.LBB2_6205:                             ;   in Loop: Header=BB2_6202 Depth=3
	s_or_b32 exec_lo, exec_lo, s13
	s_and_saveexec_b32 s13, s30
	s_cbranch_execz .LBB2_6207
.LBB2_6206:                             ;   in Loop: Header=BB2_6202 Depth=3
	v_lshrrev_b16 v69, 3, v64
	v_lshlrev_b32_e32 v70, 24, v64
	s_delay_alu instid0(VALU_DEP_2) | instskip(NEXT) | instid1(VALU_DEP_1)
	v_and_b32_e32 v69, 15, v69
	v_cmp_eq_u32_e32 vcc_lo, 0, v69
	v_and_b32_e32 v66, 7, v64
	s_delay_alu instid0(VALU_DEP_1) | instskip(NEXT) | instid1(VALU_DEP_1)
	v_clz_i32_u32_e32 v67, v66
	v_min_u32_e32 v67, 32, v67
	s_delay_alu instid0(VALU_DEP_1) | instskip(SKIP_1) | instid1(VALU_DEP_1)
	v_subrev_nc_u32_e32 v68, 28, v67
	v_sub_nc_u32_e32 v67, 29, v67
	v_dual_cndmask_b32 v67, v69, v67 :: v_dual_lshlrev_b32 v68, v68, v64
	s_delay_alu instid0(VALU_DEP_1) | instskip(NEXT) | instid1(VALU_DEP_2)
	v_and_b32_e32 v68, 7, v68
	v_lshl_add_u32 v67, v67, 23, 0x3b800000
	s_delay_alu instid0(VALU_DEP_2) | instskip(SKIP_1) | instid1(VALU_DEP_2)
	v_cndmask_b32_e32 v66, v66, v68, vcc_lo
	v_and_b32_e32 v68, 0x80000000, v70
	v_lshlrev_b32_e32 v66, 20, v66
	s_delay_alu instid0(VALU_DEP_1)
	v_or3_b32 v66, v68, v67, v66
.LBB2_6207:                             ;   in Loop: Header=BB2_6202 Depth=3
	s_or_b32 exec_lo, exec_lo, s13
	v_and_b32_e32 v67, 0xff, v15
	s_mov_b32 s13, 0
	s_mov_b32 s31, exec_lo
                                        ; implicit-def: $sgpr30
	s_delay_alu instid0(VALU_DEP_1)
	v_cmpx_lt_i16_e32 0x7f, v67
	s_xor_b32 s31, exec_lo, s31
	s_cbranch_execnz .LBB2_6233
; %bb.6208:                             ;   in Loop: Header=BB2_6202 Depth=3
	s_or_saveexec_b32 s31, s31
	v_mov_b32_e32 v68, s30
	s_xor_b32 exec_lo, exec_lo, s31
	s_cbranch_execnz .LBB2_6236
.LBB2_6209:                             ;   in Loop: Header=BB2_6202 Depth=3
	s_or_b32 exec_lo, exec_lo, s31
	s_and_saveexec_b32 vcc_lo, s13
.LBB2_6210:                             ;   in Loop: Header=BB2_6202 Depth=3
	v_mov_b32_e32 v68, v14
.LBB2_6211:                             ;   in Loop: Header=BB2_6202 Depth=3
	s_or_b32 exec_lo, exec_lo, vcc_lo
	s_delay_alu instid0(VALU_DEP_1) | instskip(SKIP_1) | instid1(VALU_DEP_1)
	v_dual_max_f32 v67, v68, v68 :: v_dual_max_f32 v66, v66, v66
	s_mov_b32 s13, 0
	v_max_f32_e32 v66, v66, v67
	s_branch .LBB2_6213
.LBB2_6212:                             ;   in Loop: Header=BB2_6202 Depth=3
	s_mov_b32 s13, -1
                                        ; implicit-def: $vgpr66
.LBB2_6213:                             ;   in Loop: Header=BB2_6202 Depth=3
	s_delay_alu instid0(SALU_CYCLE_1)
	s_and_b32 vcc_lo, exec_lo, s13
	s_cbranch_vccz .LBB2_6223
; %bb.6214:                             ;   in Loop: Header=BB2_6202 Depth=3
	s_mov_b32 s13, 0
	s_mov_b32 s31, exec_lo
                                        ; implicit-def: $sgpr30
	v_cmpx_lt_i16_e32 0x7f, v65
	s_xor_b32 s31, exec_lo, s31
	s_cbranch_execnz .LBB2_6237
; %bb.6215:                             ;   in Loop: Header=BB2_6202 Depth=3
	s_or_saveexec_b32 s31, s31
	v_mov_b32_e32 v66, s30
	s_xor_b32 exec_lo, exec_lo, s31
	s_cbranch_execnz .LBB2_6240
.LBB2_6216:                             ;   in Loop: Header=BB2_6202 Depth=3
	s_or_b32 exec_lo, exec_lo, s31
	s_and_saveexec_b32 s30, s13
	s_cbranch_execz .LBB2_6218
.LBB2_6217:                             ;   in Loop: Header=BB2_6202 Depth=3
	v_lshrrev_b16 v68, 3, v64
	s_delay_alu instid0(VALU_DEP_1) | instskip(NEXT) | instid1(VALU_DEP_1)
	v_and_b32_e32 v68, 15, v68
	v_cmp_eq_u32_e32 vcc_lo, 0, v68
	v_and_b32_e32 v65, 7, v64
	s_delay_alu instid0(VALU_DEP_1) | instskip(NEXT) | instid1(VALU_DEP_1)
	v_clz_i32_u32_e32 v66, v65
	v_min_u32_e32 v66, 32, v66
	s_delay_alu instid0(VALU_DEP_1) | instskip(SKIP_1) | instid1(VALU_DEP_1)
	v_subrev_nc_u32_e32 v67, 28, v66
	v_sub_nc_u32_e32 v66, 29, v66
	v_dual_cndmask_b32 v66, v68, v66 :: v_dual_lshlrev_b32 v67, v67, v64
	v_lshlrev_b32_e32 v64, 24, v64
	s_delay_alu instid0(VALU_DEP_2) | instskip(NEXT) | instid1(VALU_DEP_3)
	v_and_b32_e32 v67, 7, v67
	v_lshl_add_u32 v66, v66, 23, 0x3b800000
	s_delay_alu instid0(VALU_DEP_2) | instskip(NEXT) | instid1(VALU_DEP_1)
	v_dual_cndmask_b32 v65, v65, v67 :: v_dual_and_b32 v64, 0x80000000, v64
	v_lshlrev_b32_e32 v65, 20, v65
	s_delay_alu instid0(VALU_DEP_1)
	v_or3_b32 v66, v64, v66, v65
.LBB2_6218:                             ;   in Loop: Header=BB2_6202 Depth=3
	s_or_b32 exec_lo, exec_lo, s30
	v_and_b32_e32 v15, 0xff, v15
	s_mov_b32 s13, 0
	s_mov_b32 s31, exec_lo
                                        ; implicit-def: $sgpr30
	s_delay_alu instid0(VALU_DEP_1)
	v_cmpx_lt_i16_e32 0x7f, v15
	s_xor_b32 s31, exec_lo, s31
	s_cbranch_execnz .LBB2_6241
; %bb.6219:                             ;   in Loop: Header=BB2_6202 Depth=3
	s_or_saveexec_b32 s31, s31
	v_mov_b32_e32 v64, s30
	s_xor_b32 exec_lo, exec_lo, s31
	s_cbranch_execnz .LBB2_6244
.LBB2_6220:                             ;   in Loop: Header=BB2_6202 Depth=3
	s_or_b32 exec_lo, exec_lo, s31
	s_and_saveexec_b32 vcc_lo, s13
.LBB2_6221:                             ;   in Loop: Header=BB2_6202 Depth=3
	v_mov_b32_e32 v64, v14
.LBB2_6222:                             ;   in Loop: Header=BB2_6202 Depth=3
	s_or_b32 exec_lo, exec_lo, vcc_lo
	s_delay_alu instid0(VALU_DEP_1) | instskip(NEXT) | instid1(VALU_DEP_1)
	v_dual_max_f32 v14, v64, v64 :: v_dual_max_f32 v15, v66, v66
	v_min_f32_e32 v66, v15, v14
.LBB2_6223:                             ;   in Loop: Header=BB2_6202 Depth=3
	s_delay_alu instid0(VALU_DEP_1) | instskip(NEXT) | instid1(VALU_DEP_1)
	v_and_b32_e32 v14, 0x7f800000, v66
	v_cmp_ne_u32_e32 vcc_lo, 0x7f800000, v14
	v_mov_b32_e32 v14, 0x80
	s_and_saveexec_b32 s30, vcc_lo
	s_cbranch_execz .LBB2_6201
; %bb.6224:                             ;   in Loop: Header=BB2_6202 Depth=3
	v_mov_b32_e32 v14, 0
	s_mov_b32 s31, exec_lo
	v_cmpx_ne_u32_e32 0, v66
	s_cbranch_execz .LBB2_6200
; %bb.6225:                             ;   in Loop: Header=BB2_6202 Depth=3
	v_bfe_u32 v14, v66, 23, 8
	s_delay_alu instid0(VALU_DEP_1) | instskip(SKIP_1) | instid1(VALU_DEP_2)
	v_sub_nc_u32_e32 v64, 0x78, v14
	v_cmp_gt_u32_e32 vcc_lo, 0x79, v14
	v_dual_cndmask_b32 v64, 0, v64 :: v_dual_and_b32 v15, 0x7fffff, v66
	s_delay_alu instid0(VALU_DEP_1) | instskip(SKIP_2) | instid1(VALU_DEP_4)
	v_or_b32_e32 v65, 0x800000, v15
	v_cmp_eq_u32_e32 vcc_lo, 0, v14
	v_add_nc_u32_e32 v14, 0xffffff89, v14
	v_cndmask_b32_e64 v64, v64, 0x77, vcc_lo
	s_delay_alu instid0(VALU_DEP_4) | instskip(NEXT) | instid1(VALU_DEP_3)
	v_cndmask_b32_e32 v15, v65, v15, vcc_lo
	v_cndmask_b32_e64 v14, v14, 0xffffff8a, vcc_lo
	s_delay_alu instid0(VALU_DEP_3) | instskip(NEXT) | instid1(VALU_DEP_3)
	v_lshl_add_u32 v65, 0x100000, v64, -1
	v_lshrrev_b32_e32 v67, v64, v15
	v_lshlrev_b32_e64 v69, v64, 0x80000
	s_delay_alu instid0(VALU_DEP_4) | instskip(NEXT) | instid1(VALU_DEP_4)
	v_add_nc_u32_e32 v64, v64, v14
	v_and_b32_e32 v15, v65, v15
	s_delay_alu instid0(VALU_DEP_4) | instskip(NEXT) | instid1(VALU_DEP_2)
	v_bfe_u32 v68, v67, 20, 1
	v_cmp_eq_u32_e64 s13, v15, v69
	s_delay_alu instid0(VALU_DEP_2) | instskip(NEXT) | instid1(VALU_DEP_1)
	v_add_nc_u32_e32 v65, -1, v68
	v_cndmask_b32_e64 v15, 0, v65, s13
	v_lshrrev_b32_e32 v65, 23, v67
	s_mov_b32 s13, exec_lo
	s_delay_alu instid0(VALU_DEP_2) | instskip(NEXT) | instid1(VALU_DEP_2)
	v_add_nc_u32_e32 v15, v15, v67
	v_xor_b32_e32 v65, 1, v65
	s_delay_alu instid0(VALU_DEP_2) | instskip(NEXT) | instid1(VALU_DEP_1)
	v_and_b32_e32 v14, 0xfffff, v15
	v_add_nc_u32_e32 v15, v14, v67
                                        ; implicit-def: $vgpr14
	s_delay_alu instid0(VALU_DEP_3)
	v_cmpx_ne_u32_e64 v64, v65
	s_xor_b32 s13, exec_lo, s13
; %bb.6226:                             ;   in Loop: Header=BB2_6202 Depth=3
	s_delay_alu instid0(VALU_DEP_2) | instskip(SKIP_2) | instid1(VALU_DEP_2)
	v_cmp_lt_u32_e32 vcc_lo, 0xffffff, v15
	v_sub_nc_u32_e32 v14, v64, v65
	v_cndmask_b32_e64 v64, 0, 1, vcc_lo
	v_add_co_ci_u32_e32 v14, vcc_lo, 0, v14, vcc_lo
	s_delay_alu instid0(VALU_DEP_2)
	v_lshrrev_b32_e32 v15, v64, v15
; %bb.6227:                             ;   in Loop: Header=BB2_6202 Depth=3
	s_and_not1_saveexec_b32 s13, s13
	s_cbranch_execz .LBB2_6199
; %bb.6228:                             ;   in Loop: Header=BB2_6202 Depth=3
	s_delay_alu instid0(VALU_DEP_1)
	v_bfe_u32 v14, v15, 23, 1
	s_branch .LBB2_6199
.LBB2_6229:                             ;   in Loop: Header=BB2_6202 Depth=3
	s_mov_b32 s30, -1
	s_mov_b32 s34, exec_lo
                                        ; implicit-def: $sgpr31
	v_cmpx_eq_u16_e32 0x80, v65
; %bb.6230:                             ;   in Loop: Header=BB2_6202 Depth=3
	s_mov_b32 s31, 0x7f800001
	s_xor_b32 s30, exec_lo, -1
; %bb.6231:                             ;   in Loop: Header=BB2_6202 Depth=3
	s_or_b32 exec_lo, exec_lo, s34
	s_delay_alu instid0(SALU_CYCLE_1)
	s_and_b32 s30, s30, exec_lo
	s_or_saveexec_b32 s13, s13
	v_mov_b32_e32 v66, s31
	s_xor_b32 exec_lo, exec_lo, s13
	s_cbranch_execz .LBB2_6205
.LBB2_6232:                             ;   in Loop: Header=BB2_6202 Depth=3
	v_cmp_ne_u16_e32 vcc_lo, 0, v65
	v_mov_b32_e32 v66, 0
	s_and_not1_b32 s30, s30, exec_lo
	s_and_b32 vcc_lo, vcc_lo, exec_lo
	s_delay_alu instid0(SALU_CYCLE_1)
	s_or_b32 s30, s30, vcc_lo
	s_or_b32 exec_lo, exec_lo, s13
	s_and_saveexec_b32 s13, s30
	s_cbranch_execnz .LBB2_6206
	s_branch .LBB2_6207
.LBB2_6233:                             ;   in Loop: Header=BB2_6202 Depth=3
	s_mov_b32 s13, -1
	s_mov_b32 s34, exec_lo
                                        ; implicit-def: $sgpr30
	v_cmpx_eq_u16_e32 0x80, v67
; %bb.6234:                             ;   in Loop: Header=BB2_6202 Depth=3
	s_mov_b32 s30, 0x7f800001
	s_xor_b32 s13, exec_lo, -1
; %bb.6235:                             ;   in Loop: Header=BB2_6202 Depth=3
	s_or_b32 exec_lo, exec_lo, s34
	s_delay_alu instid0(SALU_CYCLE_1)
	s_and_b32 s13, s13, exec_lo
                                        ; implicit-def: $vgpr67
	s_or_saveexec_b32 s31, s31
	v_mov_b32_e32 v68, s30
	s_xor_b32 exec_lo, exec_lo, s31
	s_cbranch_execz .LBB2_6209
.LBB2_6236:                             ;   in Loop: Header=BB2_6202 Depth=3
	v_cmp_ne_u16_e32 vcc_lo, 0, v67
	v_mov_b32_e32 v68, 0
	s_and_not1_b32 s13, s13, exec_lo
	s_and_b32 vcc_lo, vcc_lo, exec_lo
	s_delay_alu instid0(SALU_CYCLE_1)
	s_or_b32 s13, s13, vcc_lo
	s_or_b32 exec_lo, exec_lo, s31
	s_and_saveexec_b32 vcc_lo, s13
	s_cbranch_execnz .LBB2_6210
	s_branch .LBB2_6211
.LBB2_6237:                             ;   in Loop: Header=BB2_6202 Depth=3
	s_mov_b32 s13, -1
	s_mov_b32 s34, exec_lo
                                        ; implicit-def: $sgpr30
	v_cmpx_eq_u16_e32 0x80, v65
; %bb.6238:                             ;   in Loop: Header=BB2_6202 Depth=3
	s_mov_b32 s30, 0x7f800001
	s_xor_b32 s13, exec_lo, -1
; %bb.6239:                             ;   in Loop: Header=BB2_6202 Depth=3
	s_or_b32 exec_lo, exec_lo, s34
	s_delay_alu instid0(SALU_CYCLE_1)
	s_and_b32 s13, s13, exec_lo
                                        ; implicit-def: $vgpr65
	s_or_saveexec_b32 s31, s31
	v_mov_b32_e32 v66, s30
	s_xor_b32 exec_lo, exec_lo, s31
	s_cbranch_execz .LBB2_6216
.LBB2_6240:                             ;   in Loop: Header=BB2_6202 Depth=3
	v_cmp_ne_u16_e32 vcc_lo, 0, v65
	v_mov_b32_e32 v66, 0
	s_and_not1_b32 s13, s13, exec_lo
	s_and_b32 vcc_lo, vcc_lo, exec_lo
	s_delay_alu instid0(SALU_CYCLE_1)
	s_or_b32 s13, s13, vcc_lo
	s_or_b32 exec_lo, exec_lo, s31
	s_and_saveexec_b32 s30, s13
	s_cbranch_execnz .LBB2_6217
	s_branch .LBB2_6218
.LBB2_6241:                             ;   in Loop: Header=BB2_6202 Depth=3
	s_mov_b32 s13, -1
	s_mov_b32 s34, exec_lo
                                        ; implicit-def: $sgpr30
	v_cmpx_eq_u16_e32 0x80, v15
; %bb.6242:                             ;   in Loop: Header=BB2_6202 Depth=3
	s_mov_b32 s30, 0x7f800001
	s_xor_b32 s13, exec_lo, -1
; %bb.6243:                             ;   in Loop: Header=BB2_6202 Depth=3
	s_or_b32 exec_lo, exec_lo, s34
	s_delay_alu instid0(SALU_CYCLE_1)
	s_and_b32 s13, s13, exec_lo
                                        ; implicit-def: $vgpr15
	s_or_saveexec_b32 s31, s31
	v_mov_b32_e32 v64, s30
	s_xor_b32 exec_lo, exec_lo, s31
	s_cbranch_execz .LBB2_6220
.LBB2_6244:                             ;   in Loop: Header=BB2_6202 Depth=3
	v_cmp_ne_u16_e32 vcc_lo, 0, v15
	v_mov_b32_e32 v64, 0
	s_and_not1_b32 s13, s13, exec_lo
	s_and_b32 vcc_lo, vcc_lo, exec_lo
	s_delay_alu instid0(SALU_CYCLE_1)
	s_or_b32 s13, s13, vcc_lo
	s_or_b32 exec_lo, exec_lo, s31
	s_and_saveexec_b32 vcc_lo, s13
	s_cbranch_execnz .LBB2_6221
	s_branch .LBB2_6222
.LBB2_6245:                             ;   in Loop: Header=BB2_2404 Depth=2
	s_or_b32 exec_lo, exec_lo, s15
.LBB2_6246:                             ;   in Loop: Header=BB2_2404 Depth=2
	s_delay_alu instid0(SALU_CYCLE_1)
	s_or_b32 exec_lo, exec_lo, s14
.LBB2_6247:                             ;   in Loop: Header=BB2_2404 Depth=2
	s_and_saveexec_b32 s13, s3
	s_cbranch_execz .LBB2_6269
; %bb.6248:                             ;   in Loop: Header=BB2_2404 Depth=2
	s_and_saveexec_b32 s14, s4
	s_delay_alu instid0(SALU_CYCLE_1)
	s_xor_b32 s14, exec_lo, s14
	s_cbranch_execz .LBB2_6266
; %bb.6249:                             ;   in Loop: Header=BB2_2404 Depth=2
	s_and_saveexec_b32 s15, s1
	s_cbranch_execz .LBB2_6265
; %bb.6250:                             ;   in Loop: Header=BB2_2404 Depth=2
	s_mov_b32 s17, exec_lo
	s_mov_b32 s16, exec_lo
	v_mbcnt_lo_u32_b32 v2, s17, 0
	s_waitcnt vmcnt(0) lgkmcnt(0)
	s_waitcnt_vscnt null, 0x0
	buffer_gl1_inv
	buffer_gl0_inv
	v_cmpx_eq_u32_e32 0, v2
	s_cbranch_execz .LBB2_6252
; %bb.6251:                             ;   in Loop: Header=BB2_2404 Depth=2
	s_bcnt1_i32_b32 s17, s17
	s_delay_alu instid0(SALU_CYCLE_1)
	v_mov_b32_e32 v2, s17
	ds_add_u64 v0, v[2:3]
	s_cbranch_execnz .LBB2_7272
.LBB2_6252:                             ;   in Loop: Header=BB2_2404 Depth=2
	s_or_b32 exec_lo, exec_lo, s16
	s_cbranch_execnz .LBB2_7242
; %bb.6253:                             ;   in Loop: Header=BB2_2404 Depth=2
	ds_load_b64 v[8:9], v0
	v_add_co_u32 v32, vcc_lo, v32, v83
	v_add_co_ci_u32_e32 v33, vcc_lo, 0, v33, vcc_lo
	s_mov_b32 s16, exec_lo
	s_waitcnt lgkmcnt(0)
	s_delay_alu instid0(VALU_DEP_1)
	v_cmpx_lt_u64_e64 v[8:9], v[32:33]
	s_cbranch_execz .LBB2_6264
; %bb.6254:                             ;   in Loop: Header=BB2_2404 Depth=2
	s_mov_b32 s17, 0
	s_mov_b32 s34, 0
                                        ; implicit-def: $sgpr30
                                        ; implicit-def: $sgpr31
	s_branch .LBB2_6256
.LBB2_6255:                             ;   in Loop: Header=BB2_6256 Depth=3
	s_or_b32 exec_lo, exec_lo, s36
	s_delay_alu instid0(SALU_CYCLE_1) | instskip(NEXT) | instid1(SALU_CYCLE_1)
	s_and_b32 vcc_lo, exec_lo, vcc_lo
	s_or_b32 s17, vcc_lo, s17
	s_and_not1_b32 vcc_lo, s30, exec_lo
	s_and_b32 s30, s31, exec_lo
	s_delay_alu instid0(SALU_CYCLE_1)
	s_or_b32 s30, vcc_lo, s30
	s_and_not1_b32 exec_lo, exec_lo, s17
	s_cbranch_execz .LBB2_6262
.LBB2_6256:                             ;   Parent Loop BB2_51 Depth=1
                                        ;     Parent Loop BB2_2404 Depth=2
                                        ; =>    This Inner Loop Header: Depth=3
	s_add_i32 s34, s34, 1
                                        ; implicit-def: $sgpr36
	s_delay_alu instid0(SALU_CYCLE_1) | instskip(SKIP_1) | instid1(SALU_CYCLE_1)
	s_cmpk_lg_i32 s34, 0x2710
	s_cselect_b32 s35, -1, 0
	s_and_b32 vcc_lo, exec_lo, s35
	s_cbranch_vccz .LBB2_6260
.LBB2_6257:                             ;   in Loop: Header=BB2_6256 Depth=3
	s_and_not1_b32 s31, s31, exec_lo
	s_and_b32 s36, s36, exec_lo
	s_mov_b32 vcc_lo, -1
	s_or_b32 s31, s31, s36
	s_and_saveexec_b32 s36, s35
	s_cbranch_execz .LBB2_6255
; %bb.6258:                             ;   in Loop: Header=BB2_6256 Depth=3
	s_sleep 1
	s_cbranch_execnz .LBB2_7326
; %bb.6259:                             ;   in Loop: Header=BB2_6256 Depth=3
	ds_load_b64 v[8:9], v0
	s_and_not1_b32 s31, s31, exec_lo
	s_waitcnt lgkmcnt(0)
	v_cmp_ge_u64_e32 vcc_lo, v[8:9], v[32:33]
	s_or_not1_b32 vcc_lo, vcc_lo, exec_lo
	s_branch .LBB2_6255
.LBB2_6260:                             ;   in Loop: Header=BB2_6256 Depth=3
	s_cbranch_execnz .LBB2_7346
; %bb.6261:                             ;   in Loop: Header=BB2_6256 Depth=3
	ds_load_b64 v[8:9], v0
	s_and_not1_b32 s35, s35, exec_lo
	s_mov_b32 s34, 0
	s_mov_b32 s36, -1
	s_waitcnt lgkmcnt(0)
	flat_load_b32 v2, v[8:9] glc
	s_waitcnt vmcnt(0) lgkmcnt(0)
	buffer_gl1_inv
	buffer_gl0_inv
	v_cmp_eq_u32_e32 vcc_lo, 0, v2
	s_and_b32 vcc_lo, vcc_lo, exec_lo
	s_delay_alu instid0(SALU_CYCLE_1)
	s_or_b32 s35, s35, vcc_lo
	s_branch .LBB2_6257
.LBB2_6262:                             ;   in Loop: Header=BB2_2404 Depth=2
	s_or_b32 exec_lo, exec_lo, s17
	s_and_saveexec_b32 s17, s30
	s_delay_alu instid0(SALU_CYCLE_1)
	s_xor_b32 s17, exec_lo, s17
	s_cbranch_execz .LBB2_6264
; %bb.6263:                             ;   in Loop: Header=BB2_2404 Depth=2
	ds_store_b32 v0, v119
	s_cbranch_execnz .LBB2_7452
.LBB2_6264:                             ;   in Loop: Header=BB2_2404 Depth=2
	s_or_b32 exec_lo, exec_lo, s16
	;;#ASMSTART
	s_wakeup
	;;#ASMEND
.LBB2_6265:                             ;   in Loop: Header=BB2_2404 Depth=2
	s_or_b32 exec_lo, exec_lo, s15
.LBB2_6266:                             ;   in Loop: Header=BB2_2404 Depth=2
	s_and_not1_saveexec_b32 s14, s14
	s_cbranch_execz .LBB2_6268
; %bb.6267:                             ;   in Loop: Header=BB2_2404 Depth=2
	s_waitcnt vmcnt(0) lgkmcnt(0)
	s_waitcnt_vscnt null, 0x0
	buffer_gl1_inv
	buffer_gl0_inv
	s_barrier
.LBB2_6268:                             ;   in Loop: Header=BB2_2404 Depth=2
	s_or_b32 exec_lo, exec_lo, s14
.LBB2_6269:                             ;   in Loop: Header=BB2_2404 Depth=2
	s_delay_alu instid0(SALU_CYCLE_1) | instskip(SKIP_1) | instid1(SALU_CYCLE_1)
	s_or_b32 exec_lo, exec_lo, s13
                                        ; implicit-def: $vgpr2
	s_and_saveexec_b32 s13, s7
	s_xor_b32 s14, exec_lo, s13
	s_cbranch_execz .LBB2_6273
; %bb.6270:                             ;   in Loop: Header=BB2_2404 Depth=2
	v_and_b32_e32 v2, 16, v30
	v_cmp_lt_i32_e32 vcc_lo, 0, v55
	s_delay_alu instid0(VALU_DEP_2) | instskip(SKIP_1) | instid1(VALU_DEP_2)
	v_cmp_ne_u32_e64 s13, 0, v2
	v_and_b32_e32 v2, 16, v30
	s_and_b32 s15, s13, vcc_lo
	s_delay_alu instid0(SALU_CYCLE_1)
	s_and_saveexec_b32 s13, s15
	s_cbranch_execz .LBB2_6272
; %bb.6271:                             ;   in Loop: Header=BB2_2404 Depth=2
	v_mov_b32_e32 v2, 1
	s_waitcnt vmcnt(0) lgkmcnt(0)
	s_waitcnt_vscnt null, 0x0
	buffer_gl1_inv
	buffer_gl0_inv
.LBB2_6272:                             ;   in Loop: Header=BB2_2404 Depth=2
	s_or_b32 exec_lo, exec_lo, s13
.LBB2_6273:                             ;   in Loop: Header=BB2_2404 Depth=2
	s_and_not1_saveexec_b32 s13, s14
	s_cbranch_execz .LBB2_6295
; %bb.6274:                             ;   in Loop: Header=BB2_2404 Depth=2
	s_and_saveexec_b32 s14, s4
	s_delay_alu instid0(SALU_CYCLE_1)
	s_xor_b32 s14, exec_lo, s14
	s_cbranch_execz .LBB2_6292
; %bb.6275:                             ;   in Loop: Header=BB2_2404 Depth=2
	s_and_saveexec_b32 s15, s1
	s_cbranch_execz .LBB2_6291
; %bb.6276:                             ;   in Loop: Header=BB2_2404 Depth=2
	s_mov_b32 s17, exec_lo
	s_mov_b32 s16, exec_lo
	v_mbcnt_lo_u32_b32 v2, s17, 0
	;;#ASMSTART
	s_waitcnt lgkmcnt(0) vmcnt(0)
	;;#ASMEND
	s_delay_alu instid0(VALU_DEP_1)
	v_cmpx_eq_u32_e32 0, v2
	s_cbranch_execz .LBB2_6278
; %bb.6277:                             ;   in Loop: Header=BB2_2404 Depth=2
	s_bcnt1_i32_b32 s17, s17
	s_delay_alu instid0(SALU_CYCLE_1)
	v_mov_b32_e32 v2, s17
	ds_add_u64 v0, v[2:3]
	s_cbranch_execnz .LBB2_7276
.LBB2_6278:                             ;   in Loop: Header=BB2_2404 Depth=2
	s_or_b32 exec_lo, exec_lo, s16
	s_cbranch_execnz .LBB2_7252
; %bb.6279:                             ;   in Loop: Header=BB2_2404 Depth=2
	ds_load_b64 v[8:9], v0
	v_add_co_u32 v32, vcc_lo, v32, v83
	v_add_co_ci_u32_e32 v33, vcc_lo, 0, v33, vcc_lo
	s_mov_b32 s16, exec_lo
	s_waitcnt lgkmcnt(0)
	s_delay_alu instid0(VALU_DEP_1)
	v_cmpx_lt_u64_e64 v[8:9], v[32:33]
	s_cbranch_execz .LBB2_6290
; %bb.6280:                             ;   in Loop: Header=BB2_2404 Depth=2
	s_mov_b32 s17, 0
	s_mov_b32 s34, 0
                                        ; implicit-def: $sgpr30
                                        ; implicit-def: $sgpr31
	s_branch .LBB2_6282
.LBB2_6281:                             ;   in Loop: Header=BB2_6282 Depth=3
	s_or_b32 exec_lo, exec_lo, s36
	s_delay_alu instid0(SALU_CYCLE_1) | instskip(NEXT) | instid1(SALU_CYCLE_1)
	s_and_b32 vcc_lo, exec_lo, vcc_lo
	s_or_b32 s17, vcc_lo, s17
	s_and_not1_b32 vcc_lo, s30, exec_lo
	s_and_b32 s30, s31, exec_lo
	s_delay_alu instid0(SALU_CYCLE_1)
	s_or_b32 s30, vcc_lo, s30
	s_and_not1_b32 exec_lo, exec_lo, s17
	s_cbranch_execz .LBB2_6288
.LBB2_6282:                             ;   Parent Loop BB2_51 Depth=1
                                        ;     Parent Loop BB2_2404 Depth=2
                                        ; =>    This Inner Loop Header: Depth=3
	s_add_i32 s34, s34, 1
                                        ; implicit-def: $sgpr36
	s_delay_alu instid0(SALU_CYCLE_1) | instskip(SKIP_1) | instid1(SALU_CYCLE_1)
	s_cmpk_lg_i32 s34, 0x2710
	s_cselect_b32 s35, -1, 0
	s_and_b32 vcc_lo, exec_lo, s35
	s_cbranch_vccz .LBB2_6286
.LBB2_6283:                             ;   in Loop: Header=BB2_6282 Depth=3
	s_and_not1_b32 s31, s31, exec_lo
	s_and_b32 s36, s36, exec_lo
	s_mov_b32 vcc_lo, -1
	s_or_b32 s31, s31, s36
	s_and_saveexec_b32 s36, s35
	s_cbranch_execz .LBB2_6281
; %bb.6284:                             ;   in Loop: Header=BB2_6282 Depth=3
	s_sleep 1
	s_cbranch_execnz .LBB2_7338
; %bb.6285:                             ;   in Loop: Header=BB2_6282 Depth=3
	ds_load_b64 v[8:9], v0
	s_and_not1_b32 s31, s31, exec_lo
	s_waitcnt lgkmcnt(0)
	v_cmp_ge_u64_e32 vcc_lo, v[8:9], v[32:33]
	s_or_not1_b32 vcc_lo, vcc_lo, exec_lo
	s_branch .LBB2_6281
.LBB2_6286:                             ;   in Loop: Header=BB2_6282 Depth=3
	s_cbranch_execnz .LBB2_7354
; %bb.6287:                             ;   in Loop: Header=BB2_6282 Depth=3
	ds_load_b64 v[8:9], v0
	s_and_not1_b32 s35, s35, exec_lo
	s_mov_b32 s34, 0
	s_mov_b32 s36, -1
	s_waitcnt vmcnt(0) lgkmcnt(0)
	s_waitcnt_vscnt null, 0x0
	flat_load_b32 v2, v[8:9] glc
	s_waitcnt vmcnt(0) lgkmcnt(0)
	buffer_gl1_inv
	buffer_gl0_inv
	v_cmp_eq_u32_e32 vcc_lo, 0, v2
	s_and_b32 vcc_lo, vcc_lo, exec_lo
	s_delay_alu instid0(SALU_CYCLE_1)
	s_or_b32 s35, s35, vcc_lo
	s_branch .LBB2_6283
.LBB2_6288:                             ;   in Loop: Header=BB2_2404 Depth=2
	s_or_b32 exec_lo, exec_lo, s17
	s_and_saveexec_b32 s17, s30
	s_delay_alu instid0(SALU_CYCLE_1)
	s_xor_b32 s17, exec_lo, s17
	s_cbranch_execz .LBB2_6290
; %bb.6289:                             ;   in Loop: Header=BB2_2404 Depth=2
	ds_store_b32 v0, v119
	s_cbranch_execnz .LBB2_7456
.LBB2_6290:                             ;   in Loop: Header=BB2_2404 Depth=2
	s_or_b32 exec_lo, exec_lo, s16
	;;#ASMSTART
	s_wakeup
	;;#ASMEND
.LBB2_6291:                             ;   in Loop: Header=BB2_2404 Depth=2
	s_or_b32 exec_lo, exec_lo, s15
.LBB2_6292:                             ;   in Loop: Header=BB2_2404 Depth=2
	s_and_not1_saveexec_b32 s14, s14
	s_cbranch_execz .LBB2_6294
; %bb.6293:                             ;   in Loop: Header=BB2_2404 Depth=2
	;;#ASMSTART
	s_waitcnt lgkmcnt(0) vmcnt(0)
	;;#ASMEND
	s_waitcnt vmcnt(0) lgkmcnt(0)
	s_waitcnt_vscnt null, 0x0
	s_barrier
.LBB2_6294:                             ;   in Loop: Header=BB2_2404 Depth=2
	s_or_b32 exec_lo, exec_lo, s14
	v_and_b32_e32 v2, 16, v30
.LBB2_6295:                             ;   in Loop: Header=BB2_2404 Depth=2
	s_or_b32 exec_lo, exec_lo, s13
	s_delay_alu instid0(VALU_DEP_1) | instskip(SKIP_1) | instid1(SALU_CYCLE_1)
	v_cmp_ne_u32_e32 vcc_lo, 0, v2
	s_xor_b32 s13, s10, -1
	s_and_b32 s14, vcc_lo, s13
	s_delay_alu instid0(SALU_CYCLE_1)
	s_and_saveexec_b32 s13, s14
	s_cbranch_execz .LBB2_6297
; %bb.6296:                             ;   in Loop: Header=BB2_2404 Depth=2
	s_waitcnt vmcnt(0) lgkmcnt(0)
	s_waitcnt_vscnt null, 0x0
	flat_store_b32 v[28:29], v119
.LBB2_6297:                             ;   in Loop: Header=BB2_2404 Depth=2
	s_or_b32 exec_lo, exec_lo, s13
	v_and_b32_e32 v2, 48, v30
	s_mov_b32 s13, exec_lo
	s_delay_alu instid0(VALU_DEP_1)
	v_cmpx_ne_u32_e32 0, v2
	s_cbranch_execz .LBB2_6299
; %bb.6298:                             ;   in Loop: Header=BB2_2404 Depth=2
	v_add_co_u32 v24, vcc_lo, v24, 2
	v_add_co_ci_u32_e32 v25, vcc_lo, 0, v25, vcc_lo
	s_waitcnt vmcnt(0) lgkmcnt(0)
	s_waitcnt_vscnt null, 0x0
	flat_store_b64 v[22:23], v[24:25]
.LBB2_6299:                             ;   in Loop: Header=BB2_2404 Depth=2
	s_or_b32 exec_lo, exec_lo, s13
	v_add_nc_u32_e32 v131, v54, v131
	v_readlane_b32 s13, v42, 1
	v_readlane_b32 s37, v42, 3
	;; [unrolled: 1-line block ×4, first 2 shown]
	v_cmp_ge_i32_e32 vcc_lo, v131, v130
	s_xor_b32 s13, s13, -1
	v_readlane_b32 s31, v42, 6
	v_readlane_b32 s30, v42, 8
	v_readlane_b32 s35, v42, 7
	s_or_b32 s13, s13, vcc_lo
	s_mov_b32 s15, 0
	s_and_b32 s14, exec_lo, s13
	v_readlane_b32 s13, v42, 2
	s_or_b32 s37, s14, s37
	s_mov_b32 s16, 2
	s_delay_alu instid0(VALU_DEP_1)
	v_mov_b32_e32 v2, s13
	s_and_not1_b32 exec_lo, exec_lo, s37
	s_cbranch_execz .LBB2_6300
; %bb.7726:                             ;   in Loop: Header=BB2_2404 Depth=2
	s_getpc_b64 s[48:49]
.Lpost_getpc127:
	s_add_u32 s48, s48, (.LBB2_2404-.Lpost_getpc127)&4294967295
	s_addc_u32 s49, s49, (.LBB2_2404-.Lpost_getpc127)>>32
	s_setpc_b64 s[48:49]
.LBB2_6300:                             ;   in Loop: Header=BB2_51 Depth=1
	s_or_b32 exec_lo, exec_lo, s37
	v_readlane_b32 s13, v42, 0
.LBB2_6301:                             ;   in Loop: Header=BB2_51 Depth=1
	s_delay_alu instid0(VALU_DEP_1) | instskip(NEXT) | instid1(SALU_CYCLE_1)
	s_or_b32 exec_lo, exec_lo, s13
	s_mov_b32 s14, exec_lo
	v_cmpx_gt_i32_e32 2, v2
	s_cbranch_execz .LBB2_6385
; %bb.6302:                             ;   in Loop: Header=BB2_51 Depth=1
	v_cmp_eq_u32_e64 s13, 0, v2
	s_mov_b32 s15, 0
.LBB2_6303:                             ;   Parent Loop BB2_51 Depth=1
                                        ; =>  This Loop Header: Depth=2
                                        ;       Child Loop BB2_6309 Depth 3
                                        ;       Child Loop BB2_6339 Depth 3
	;; [unrolled: 1-line block ×3, first 2 shown]
	v_and_b32_e32 v2, 12, v30
	s_mov_b32 s17, -1
	s_mov_b32 s16, exec_lo
	s_delay_alu instid0(VALU_DEP_1)
	v_cmpx_ne_u32_e32 0, v2
	s_cbranch_execz .LBB2_6317
; %bb.6304:                             ;   in Loop: Header=BB2_6303 Depth=2
	v_and_b32_e32 v2, 8, v30
	s_delay_alu instid0(VALU_DEP_1) | instskip(SKIP_3) | instid1(VALU_DEP_1)
	v_add_co_u32 v10, vcc_lo, v34, v2
	v_add_co_ci_u32_e32 v11, vcc_lo, 0, v35, vcc_lo
	v_add_co_u32 v8, vcc_lo, v24, 2
	v_add_co_ci_u32_e32 v9, vcc_lo, 0, v25, vcc_lo
	v_cmp_lt_u64_e32 vcc_lo, v[10:11], v[8:9]
	v_mov_b32_e32 v10, 1
	s_and_saveexec_b32 s17, vcc_lo
	s_cbranch_execz .LBB2_6316
; %bb.6305:                             ;   in Loop: Header=BB2_6303 Depth=2
	v_mov_b32_e32 v10, 0
	s_mov_b32 s37, 0
                                        ; implicit-def: $sgpr38
	s_branch .LBB2_6309
.LBB2_6306:                             ;   in Loop: Header=BB2_6309 Depth=3
	s_or_b32 exec_lo, exec_lo, s42
	v_mov_b32_e32 v11, 0
	s_or_not1_b32 s41, s41, exec_lo
.LBB2_6307:                             ;   in Loop: Header=BB2_6309 Depth=3
	s_or_b32 exec_lo, exec_lo, s40
	s_delay_alu instid0(VALU_DEP_1) | instskip(SKIP_2) | instid1(SALU_CYCLE_1)
	v_mov_b32_e32 v10, v11
	s_and_not1_b32 vcc_lo, s38, exec_lo
	s_and_b32 s38, s41, exec_lo
	s_or_b32 s38, vcc_lo, s38
.LBB2_6308:                             ;   in Loop: Header=BB2_6309 Depth=3
	s_or_b32 exec_lo, exec_lo, s39
	s_waitcnt vmcnt(0) lgkmcnt(0)
	v_add_co_u32 v11, vcc_lo, v34, v2
	v_add_co_ci_u32_e32 v12, vcc_lo, 0, v35, vcc_lo
	s_xor_b32 s39, s38, -1
	s_delay_alu instid0(VALU_DEP_1) | instskip(SKIP_1) | instid1(SALU_CYCLE_1)
	v_cmp_ge_u64_e32 vcc_lo, v[11:12], v[8:9]
	s_or_b32 vcc_lo, s39, vcc_lo
	s_and_b32 vcc_lo, exec_lo, vcc_lo
	s_delay_alu instid0(SALU_CYCLE_1) | instskip(NEXT) | instid1(SALU_CYCLE_1)
	s_or_b32 s37, vcc_lo, s37
	s_and_not1_b32 exec_lo, exec_lo, s37
	s_cbranch_execz .LBB2_6315
.LBB2_6309:                             ;   Parent Loop BB2_51 Depth=1
                                        ;     Parent Loop BB2_6303 Depth=2
                                        ; =>    This Inner Loop Header: Depth=3
	s_sleep 1
	flat_load_b64 v[34:35], v[22:23] glc
	v_and_b32_e32 v11, 64, v30
	s_and_not1_b32 s38, s38, exec_lo
	s_mov_b32 s39, exec_lo
	s_delay_alu instid0(VALU_DEP_1)
	v_cmpx_eq_u32_e32 0, v11
	s_cbranch_execz .LBB2_6308
; %bb.6310:                             ;   in Loop: Header=BB2_6309 Depth=3
	v_add_nc_u32_e32 v11, 1, v10
	s_mov_b32 s41, -1
	s_mov_b32 s40, exec_lo
	v_cmpx_lt_i32_e32 0x270e, v10
	s_cbranch_execz .LBB2_6307
; %bb.6311:                             ;   in Loop: Header=BB2_6309 Depth=3
	s_cbranch_execnz .LBB2_7050
; %bb.6312:                             ;   in Loop: Header=BB2_6309 Depth=3
	ds_load_b64 v[10:11], v0
	s_mov_b32 s42, exec_lo
	s_waitcnt vmcnt(0) lgkmcnt(0)
	s_waitcnt_vscnt null, 0x0
	flat_load_b32 v10, v[10:11] glc
	s_waitcnt vmcnt(0) lgkmcnt(0)
	buffer_gl1_inv
	buffer_gl0_inv
	v_cmpx_ne_u32_e32 0, v10
	s_cbranch_execz .LBB2_6306
; %bb.6313:                             ;   in Loop: Header=BB2_6309 Depth=3
	ds_store_b32 v0, v10
	s_cbranch_execnz .LBB2_7104
; %bb.6314:                             ;   in Loop: Header=BB2_6309 Depth=3
	v_or_b32_e32 v30, 64, v30
	s_xor_b32 s41, exec_lo, -1
	s_branch .LBB2_6306
.LBB2_6315:                             ;   in Loop: Header=BB2_6303 Depth=2
	s_or_b32 exec_lo, exec_lo, s37
	v_and_b32_e32 v10, 12, v30
.LBB2_6316:                             ;   in Loop: Header=BB2_6303 Depth=2
	s_or_b32 exec_lo, exec_lo, s17
	s_delay_alu instid0(VALU_DEP_1)
	v_cmp_eq_u32_e32 vcc_lo, 0, v10
	;;#ASMSTART
	s_wakeup
	;;#ASMEND
	s_or_not1_b32 s17, vcc_lo, exec_lo
.LBB2_6317:                             ;   in Loop: Header=BB2_6303 Depth=2
	s_or_b32 exec_lo, exec_lo, s16
	v_sub_nc_u32_e32 v2, v130, v131
	s_xor_b32 s13, s13, -1
	s_delay_alu instid0(SALU_CYCLE_1) | instskip(NEXT) | instid1(SALU_CYCLE_1)
	s_and_b32 s13, exec_lo, s13
	s_or_b32 s15, s13, s15
	s_delay_alu instid0(VALU_DEP_1) | instskip(SKIP_1) | instid1(SALU_CYCLE_1)
	v_min_i32_e32 v54, v54, v2
	s_xor_b32 s13, s17, -1
	s_and_saveexec_b32 s16, s13
	s_cbranch_execz .LBB2_6330
; %bb.6318:                             ;   in Loop: Header=BB2_6303 Depth=2
	v_and_b32_e32 v2, 0x108, v30
	s_delay_alu instid0(VALU_DEP_1) | instskip(SKIP_2) | instid1(SALU_CYCLE_1)
	v_cmp_ne_u32_e32 vcc_lo, 0x108, v2
	v_and_b32_e32 v2, 7, v24
	s_and_saveexec_b32 s13, vcc_lo
	s_xor_b32 s13, exec_lo, s13
	s_delay_alu instid0(SALU_CYCLE_1)
	s_and_not1_saveexec_b32 s13, s13
	s_cbranch_execz .LBB2_6320
; %bb.6319:                             ;   in Loop: Header=BB2_6303 Depth=2
	v_mad_u64_u32 v[8:9], null, v2, 24, v[6:7]
	v_ashrrev_i32_e32 v55, 31, v54
	flat_store_b64 v[8:9], v[54:55] offset:8
.LBB2_6320:                             ;   in Loop: Header=BB2_6303 Depth=2
	s_or_b32 exec_lo, exec_lo, s13
	v_and_b32_e32 v8, 0x100, v30
	s_mov_b32 s13, -1
	s_delay_alu instid0(VALU_DEP_1)
	v_cmp_ne_u32_e32 vcc_lo, 0, v8
                                        ; implicit-def: $vgpr8_vgpr9
	s_and_saveexec_b32 s17, vcc_lo
	s_cbranch_execnz .LBB2_6323
; %bb.6321:                             ;   in Loop: Header=BB2_6303 Depth=2
	s_or_b32 exec_lo, exec_lo, s17
	s_and_saveexec_b32 s17, s13
	s_cbranch_execnz .LBB2_6326
.LBB2_6322:                             ;   in Loop: Header=BB2_6303 Depth=2
	s_or_b32 exec_lo, exec_lo, s17
	s_cbranch_execnz .LBB2_7046
	s_branch .LBB2_6327
.LBB2_6323:                             ;   in Loop: Header=BB2_6303 Depth=2
	v_mad_u64_u32 v[10:11], null, v2, 24, v[6:7]
	s_delay_alu instid0(VALU_DEP_1) | instskip(NEXT) | instid1(VALU_DEP_1)
	v_mov_b32_e32 v8, v11
	v_mad_u64_u32 v[11:12], null, v3, 24, v[8:9]
	flat_load_b32 v8, v[10:11]
	s_waitcnt vmcnt(0) lgkmcnt(0)
	v_cmp_ne_u32_e32 vcc_lo, 1, v8
	v_cmp_eq_u32_e64 s13, 1, v8
                                        ; implicit-def: $vgpr8_vgpr9
	s_delay_alu instid0(VALU_DEP_1)
	s_and_saveexec_b32 s37, s13
	s_cbranch_execz .LBB2_6325
; %bb.6324:                             ;   in Loop: Header=BB2_6303 Depth=2
	flat_load_b32 v8, v[10:11] offset:4 glc
	s_waitcnt vmcnt(0) lgkmcnt(0)
	v_ashrrev_i32_e32 v9, 31, v8
.LBB2_6325:                             ;   in Loop: Header=BB2_6303 Depth=2
	s_or_b32 exec_lo, exec_lo, s37
	s_delay_alu instid0(SALU_CYCLE_1)
	s_or_not1_b32 s13, vcc_lo, exec_lo
	s_or_b32 exec_lo, exec_lo, s17
	s_and_saveexec_b32 s17, s13
	s_cbranch_execz .LBB2_6322
.LBB2_6326:                             ;   in Loop: Header=BB2_6303 Depth=2
	v_mul_lo_u32 v10, v3, v80
	v_mul_lo_u32 v11, v2, v82
	v_mad_u64_u32 v[8:9], null, v2, v80, 0
	s_delay_alu instid0(VALU_DEP_1)
	v_add3_u32 v9, v9, v11, v10
	s_or_b32 exec_lo, exec_lo, s17
	s_cbranch_execnz .LBB2_7046
.LBB2_6327:                             ;   in Loop: Header=BB2_6303 Depth=2
	s_delay_alu instid0(VALU_DEP_2)
	v_add_co_u32 v8, vcc_lo, v26, v8
	v_and_b32_e32 v2, 0x2000, v30
	v_add_co_ci_u32_e32 v9, vcc_lo, v27, v9, vcc_lo
	s_mov_b32 s13, exec_lo
	ds_store_b64 v0, v[8:9]
	v_cmpx_ne_u32_e32 0, v2
	s_cbranch_execz .LBB2_6329
; %bb.6328:                             ;   in Loop: Header=BB2_6303 Depth=2
	ds_load_b64 v[8:9], v0 offset:584
	s_waitcnt lgkmcnt(0)
	v_add_co_u32 v8, vcc_lo, v8, 1
	v_add_co_ci_u32_e32 v9, vcc_lo, 0, v9, vcc_lo
	ds_store_b64 v0, v[8:9] offset:584
.LBB2_6329:                             ;   in Loop: Header=BB2_6303 Depth=2
	s_or_b32 exec_lo, exec_lo, s13
	v_add_co_u32 v24, vcc_lo, v24, 2
	v_add_co_ci_u32_e32 v25, vcc_lo, 0, v25, vcc_lo
.LBB2_6330:                             ;   in Loop: Header=BB2_6303 Depth=2
	s_or_b32 exec_lo, exec_lo, s16
	s_and_saveexec_b32 s13, s3
	s_cbranch_execz .LBB2_6352
; %bb.6331:                             ;   in Loop: Header=BB2_6303 Depth=2
	s_and_saveexec_b32 s16, s4
	s_delay_alu instid0(SALU_CYCLE_1)
	s_xor_b32 s16, exec_lo, s16
	s_cbranch_execz .LBB2_6349
; %bb.6332:                             ;   in Loop: Header=BB2_6303 Depth=2
	s_and_saveexec_b32 s17, s1
	s_cbranch_execz .LBB2_6348
; %bb.6333:                             ;   in Loop: Header=BB2_6303 Depth=2
	s_mov_b32 s38, exec_lo
	s_mov_b32 s37, exec_lo
	v_mbcnt_lo_u32_b32 v2, s38, 0
	s_waitcnt vmcnt(0) lgkmcnt(0)
	s_waitcnt_vscnt null, 0x0
	buffer_gl1_inv
	buffer_gl0_inv
	v_cmpx_eq_u32_e32 0, v2
	s_cbranch_execz .LBB2_6335
; %bb.6334:                             ;   in Loop: Header=BB2_6303 Depth=2
	s_bcnt1_i32_b32 vcc_lo, s38
	s_delay_alu instid0(SALU_CYCLE_1)
	v_mov_b32_e32 v2, vcc_lo
	ds_add_u64 v0, v[2:3]
	s_cbranch_execnz .LBB2_7162
.LBB2_6335:                             ;   in Loop: Header=BB2_6303 Depth=2
	s_or_b32 exec_lo, exec_lo, s37
	s_cbranch_execnz .LBB2_7136
; %bb.6336:                             ;   in Loop: Header=BB2_6303 Depth=2
	ds_load_b64 v[8:9], v0
	v_add_co_u32 v32, vcc_lo, v32, v83
	v_add_co_ci_u32_e32 v33, vcc_lo, 0, v33, vcc_lo
	s_mov_b32 s37, exec_lo
	s_waitcnt lgkmcnt(0)
	s_delay_alu instid0(VALU_DEP_1)
	v_cmpx_lt_u64_e64 v[8:9], v[32:33]
	s_cbranch_execz .LBB2_6347
; %bb.6337:                             ;   in Loop: Header=BB2_6303 Depth=2
	s_mov_b32 s38, 0
	s_mov_b32 s41, 0
                                        ; implicit-def: $sgpr39
                                        ; implicit-def: $sgpr40
	s_branch .LBB2_6339
.LBB2_6338:                             ;   in Loop: Header=BB2_6339 Depth=3
	s_or_b32 exec_lo, exec_lo, s43
	s_delay_alu instid0(SALU_CYCLE_1) | instskip(NEXT) | instid1(SALU_CYCLE_1)
	s_and_b32 vcc_lo, exec_lo, vcc_lo
	s_or_b32 s38, vcc_lo, s38
	s_and_not1_b32 vcc_lo, s39, exec_lo
	s_and_b32 s39, s40, exec_lo
	s_delay_alu instid0(SALU_CYCLE_1)
	s_or_b32 s39, vcc_lo, s39
	s_and_not1_b32 exec_lo, exec_lo, s38
	s_cbranch_execz .LBB2_6345
.LBB2_6339:                             ;   Parent Loop BB2_51 Depth=1
                                        ;     Parent Loop BB2_6303 Depth=2
                                        ; =>    This Inner Loop Header: Depth=3
	s_add_i32 s41, s41, 1
                                        ; implicit-def: $sgpr43
	s_delay_alu instid0(SALU_CYCLE_1) | instskip(SKIP_1) | instid1(SALU_CYCLE_1)
	s_cmpk_lg_i32 s41, 0x2710
	s_cselect_b32 s42, -1, 0
	s_and_b32 vcc_lo, exec_lo, s42
	s_cbranch_vccz .LBB2_6343
.LBB2_6340:                             ;   in Loop: Header=BB2_6339 Depth=3
	s_and_not1_b32 s40, s40, exec_lo
	s_and_b32 s43, s43, exec_lo
	s_mov_b32 vcc_lo, -1
	s_or_b32 s40, s40, s43
	s_and_saveexec_b32 s43, s42
	s_cbranch_execz .LBB2_6338
; %bb.6341:                             ;   in Loop: Header=BB2_6339 Depth=3
	s_sleep 1
	s_cbranch_execnz .LBB2_7206
; %bb.6342:                             ;   in Loop: Header=BB2_6339 Depth=3
	ds_load_b64 v[8:9], v0
	s_and_not1_b32 s40, s40, exec_lo
	s_waitcnt lgkmcnt(0)
	v_cmp_ge_u64_e32 vcc_lo, v[8:9], v[32:33]
	s_or_not1_b32 vcc_lo, vcc_lo, exec_lo
	s_branch .LBB2_6338
.LBB2_6343:                             ;   in Loop: Header=BB2_6339 Depth=3
	s_cbranch_execnz .LBB2_7218
; %bb.6344:                             ;   in Loop: Header=BB2_6339 Depth=3
	ds_load_b64 v[8:9], v0
	s_and_not1_b32 s42, s42, exec_lo
	s_mov_b32 s41, 0
	s_mov_b32 s43, -1
	s_waitcnt lgkmcnt(0)
	flat_load_b32 v2, v[8:9] glc
	s_waitcnt vmcnt(0) lgkmcnt(0)
	buffer_gl1_inv
	buffer_gl0_inv
	v_cmp_eq_u32_e32 vcc_lo, 0, v2
	s_and_b32 vcc_lo, vcc_lo, exec_lo
	s_delay_alu instid0(SALU_CYCLE_1)
	s_or_b32 s42, s42, vcc_lo
	s_branch .LBB2_6340
.LBB2_6345:                             ;   in Loop: Header=BB2_6303 Depth=2
	s_or_b32 exec_lo, exec_lo, s38
	s_and_saveexec_b32 vcc_lo, s39
	s_delay_alu instid0(SALU_CYCLE_1)
	s_xor_b32 vcc_lo, exec_lo, vcc_lo
	s_cbranch_execz .LBB2_6347
; %bb.6346:                             ;   in Loop: Header=BB2_6303 Depth=2
	ds_store_b32 v0, v119
	s_cbranch_execnz .LBB2_7416
.LBB2_6347:                             ;   in Loop: Header=BB2_6303 Depth=2
	s_or_b32 exec_lo, exec_lo, s37
	;;#ASMSTART
	s_wakeup
	;;#ASMEND
.LBB2_6348:                             ;   in Loop: Header=BB2_6303 Depth=2
	s_or_b32 exec_lo, exec_lo, s17
.LBB2_6349:                             ;   in Loop: Header=BB2_6303 Depth=2
	s_and_not1_saveexec_b32 s16, s16
	s_cbranch_execz .LBB2_6351
; %bb.6350:                             ;   in Loop: Header=BB2_6303 Depth=2
	s_waitcnt vmcnt(0) lgkmcnt(0)
	s_waitcnt_vscnt null, 0x0
	buffer_gl1_inv
	buffer_gl0_inv
	s_barrier
.LBB2_6351:                             ;   in Loop: Header=BB2_6303 Depth=2
	s_or_b32 exec_lo, exec_lo, s16
.LBB2_6352:                             ;   in Loop: Header=BB2_6303 Depth=2
	s_delay_alu instid0(SALU_CYCLE_1) | instskip(SKIP_1) | instid1(SALU_CYCLE_1)
	s_or_b32 exec_lo, exec_lo, s13
                                        ; implicit-def: $vgpr2
	s_and_saveexec_b32 s13, s7
	s_xor_b32 s16, exec_lo, s13
	s_cbranch_execz .LBB2_6357
; %bb.6353:                             ;   in Loop: Header=BB2_6303 Depth=2
	s_cbranch_execnz .LBB2_7060
; %bb.6354:                             ;   in Loop: Header=BB2_6303 Depth=2
	ds_load_b32 v2, v0
	v_cmp_lt_i32_e32 vcc_lo, 0, v54
	s_waitcnt lgkmcnt(0)
	v_readfirstlane_b32 s13, v2
	v_and_b32_e32 v2, 16, v30
	s_delay_alu instid0(VALU_DEP_2) | instskip(NEXT) | instid1(VALU_DEP_1)
	s_cmp_eq_u32 s13, 0
	v_cmp_ne_u32_e64 s13, 0, v2
	s_cselect_b32 s17, -1, 0
	v_and_b32_e32 v2, 16, v30
	s_and_b32 s17, vcc_lo, s17
	s_delay_alu instid0(VALU_DEP_2) | instid1(SALU_CYCLE_1)
	s_and_b32 s17, s13, s17
	s_delay_alu instid0(SALU_CYCLE_1)
	s_and_saveexec_b32 s13, s17
	s_cbranch_execz .LBB2_6356
; %bb.6355:                             ;   in Loop: Header=BB2_6303 Depth=2
	v_mov_b32_e32 v2, 1
	s_waitcnt vmcnt(0)
	s_waitcnt_vscnt null, 0x0
	buffer_gl1_inv
	buffer_gl0_inv
.LBB2_6356:                             ;   in Loop: Header=BB2_6303 Depth=2
	s_or_b32 exec_lo, exec_lo, s13
.LBB2_6357:                             ;   in Loop: Header=BB2_6303 Depth=2
	s_and_not1_saveexec_b32 s13, s16
	s_cbranch_execz .LBB2_6379
; %bb.6358:                             ;   in Loop: Header=BB2_6303 Depth=2
	s_and_saveexec_b32 s16, s4
	s_delay_alu instid0(SALU_CYCLE_1)
	s_xor_b32 s16, exec_lo, s16
	s_cbranch_execz .LBB2_6376
; %bb.6359:                             ;   in Loop: Header=BB2_6303 Depth=2
	s_and_saveexec_b32 s17, s1
	s_cbranch_execz .LBB2_6375
; %bb.6360:                             ;   in Loop: Header=BB2_6303 Depth=2
	s_mov_b32 s38, exec_lo
	s_mov_b32 s37, exec_lo
	v_mbcnt_lo_u32_b32 v2, s38, 0
	;;#ASMSTART
	s_waitcnt lgkmcnt(0) vmcnt(0)
	;;#ASMEND
	s_delay_alu instid0(VALU_DEP_1)
	v_cmpx_eq_u32_e32 0, v2
	s_cbranch_execz .LBB2_6362
; %bb.6361:                             ;   in Loop: Header=BB2_6303 Depth=2
	s_bcnt1_i32_b32 vcc_lo, s38
	s_delay_alu instid0(SALU_CYCLE_1)
	v_mov_b32_e32 v2, vcc_lo
	ds_add_u64 v0, v[2:3]
	s_cbranch_execnz .LBB2_7172
.LBB2_6362:                             ;   in Loop: Header=BB2_6303 Depth=2
	s_or_b32 exec_lo, exec_lo, s37
	s_cbranch_execnz .LBB2_7160
; %bb.6363:                             ;   in Loop: Header=BB2_6303 Depth=2
	ds_load_b64 v[8:9], v0
	v_add_co_u32 v32, vcc_lo, v32, v83
	v_add_co_ci_u32_e32 v33, vcc_lo, 0, v33, vcc_lo
	s_mov_b32 s37, exec_lo
	s_waitcnt lgkmcnt(0)
	s_delay_alu instid0(VALU_DEP_1)
	v_cmpx_lt_u64_e64 v[8:9], v[32:33]
	s_cbranch_execz .LBB2_6374
; %bb.6364:                             ;   in Loop: Header=BB2_6303 Depth=2
	s_mov_b32 s38, 0
	s_mov_b32 s41, 0
                                        ; implicit-def: $sgpr39
                                        ; implicit-def: $sgpr40
	s_branch .LBB2_6366
.LBB2_6365:                             ;   in Loop: Header=BB2_6366 Depth=3
	s_or_b32 exec_lo, exec_lo, s43
	s_delay_alu instid0(SALU_CYCLE_1) | instskip(NEXT) | instid1(SALU_CYCLE_1)
	s_and_b32 vcc_lo, exec_lo, vcc_lo
	s_or_b32 s38, vcc_lo, s38
	s_and_not1_b32 vcc_lo, s39, exec_lo
	s_and_b32 s39, s40, exec_lo
	s_delay_alu instid0(SALU_CYCLE_1)
	s_or_b32 s39, vcc_lo, s39
	s_and_not1_b32 exec_lo, exec_lo, s38
	s_cbranch_execz .LBB2_6372
.LBB2_6366:                             ;   Parent Loop BB2_51 Depth=1
                                        ;     Parent Loop BB2_6303 Depth=2
                                        ; =>    This Inner Loop Header: Depth=3
	s_add_i32 s41, s41, 1
                                        ; implicit-def: $sgpr43
	s_delay_alu instid0(SALU_CYCLE_1) | instskip(SKIP_1) | instid1(SALU_CYCLE_1)
	s_cmpk_lg_i32 s41, 0x2710
	s_cselect_b32 s42, -1, 0
	s_and_b32 vcc_lo, exec_lo, s42
	s_cbranch_vccz .LBB2_6370
.LBB2_6367:                             ;   in Loop: Header=BB2_6366 Depth=3
	s_and_not1_b32 s40, s40, exec_lo
	s_and_b32 s43, s43, exec_lo
	s_mov_b32 vcc_lo, -1
	s_or_b32 s40, s40, s43
	s_and_saveexec_b32 s43, s42
	s_cbranch_execz .LBB2_6365
; %bb.6368:                             ;   in Loop: Header=BB2_6366 Depth=3
	s_sleep 1
	s_cbranch_execnz .LBB2_7228
; %bb.6369:                             ;   in Loop: Header=BB2_6366 Depth=3
	ds_load_b64 v[8:9], v0
	s_and_not1_b32 s40, s40, exec_lo
	s_waitcnt lgkmcnt(0)
	v_cmp_ge_u64_e32 vcc_lo, v[8:9], v[32:33]
	s_or_not1_b32 vcc_lo, vcc_lo, exec_lo
	s_branch .LBB2_6365
.LBB2_6370:                             ;   in Loop: Header=BB2_6366 Depth=3
	s_cbranch_execnz .LBB2_7240
; %bb.6371:                             ;   in Loop: Header=BB2_6366 Depth=3
	ds_load_b64 v[8:9], v0
	s_and_not1_b32 s42, s42, exec_lo
	s_mov_b32 s41, 0
	s_mov_b32 s43, -1
	s_waitcnt vmcnt(0) lgkmcnt(0)
	s_waitcnt_vscnt null, 0x0
	flat_load_b32 v2, v[8:9] glc
	s_waitcnt vmcnt(0) lgkmcnt(0)
	buffer_gl1_inv
	buffer_gl0_inv
	v_cmp_eq_u32_e32 vcc_lo, 0, v2
	s_and_b32 vcc_lo, vcc_lo, exec_lo
	s_delay_alu instid0(SALU_CYCLE_1)
	s_or_b32 s42, s42, vcc_lo
	s_branch .LBB2_6367
.LBB2_6372:                             ;   in Loop: Header=BB2_6303 Depth=2
	s_or_b32 exec_lo, exec_lo, s38
	s_and_saveexec_b32 vcc_lo, s39
	s_delay_alu instid0(SALU_CYCLE_1)
	s_xor_b32 vcc_lo, exec_lo, vcc_lo
	s_cbranch_execz .LBB2_6374
; %bb.6373:                             ;   in Loop: Header=BB2_6303 Depth=2
	ds_store_b32 v0, v119
	s_cbranch_execnz .LBB2_7428
.LBB2_6374:                             ;   in Loop: Header=BB2_6303 Depth=2
	s_or_b32 exec_lo, exec_lo, s37
	;;#ASMSTART
	s_wakeup
	;;#ASMEND
.LBB2_6375:                             ;   in Loop: Header=BB2_6303 Depth=2
	s_or_b32 exec_lo, exec_lo, s17
.LBB2_6376:                             ;   in Loop: Header=BB2_6303 Depth=2
	s_and_not1_saveexec_b32 s16, s16
	s_cbranch_execz .LBB2_6378
; %bb.6377:                             ;   in Loop: Header=BB2_6303 Depth=2
	;;#ASMSTART
	s_waitcnt lgkmcnt(0) vmcnt(0)
	;;#ASMEND
	s_waitcnt vmcnt(0) lgkmcnt(0)
	s_waitcnt_vscnt null, 0x0
	s_barrier
.LBB2_6378:                             ;   in Loop: Header=BB2_6303 Depth=2
	s_or_b32 exec_lo, exec_lo, s16
	v_and_b32_e32 v2, 16, v30
.LBB2_6379:                             ;   in Loop: Header=BB2_6303 Depth=2
	s_or_b32 exec_lo, exec_lo, s13
	s_delay_alu instid0(VALU_DEP_1) | instskip(SKIP_1) | instid1(SALU_CYCLE_1)
	v_cmp_ne_u32_e32 vcc_lo, 0, v2
	s_xor_b32 s13, s10, -1
	s_and_b32 s16, vcc_lo, s13
	s_delay_alu instid0(SALU_CYCLE_1)
	s_and_saveexec_b32 s13, s16
	s_cbranch_execz .LBB2_6381
; %bb.6380:                             ;   in Loop: Header=BB2_6303 Depth=2
	s_waitcnt vmcnt(0) lgkmcnt(0)
	s_waitcnt_vscnt null, 0x0
	flat_store_b32 v[28:29], v119
.LBB2_6381:                             ;   in Loop: Header=BB2_6303 Depth=2
	s_or_b32 exec_lo, exec_lo, s13
	v_and_b32_e32 v2, 48, v30
	s_mov_b32 s13, exec_lo
	s_delay_alu instid0(VALU_DEP_1)
	v_cmpx_ne_u32_e32 0, v2
	s_cbranch_execz .LBB2_6383
; %bb.6382:                             ;   in Loop: Header=BB2_6303 Depth=2
	v_add_co_u32 v24, vcc_lo, v24, 2
	v_add_co_ci_u32_e32 v25, vcc_lo, 0, v25, vcc_lo
	s_waitcnt vmcnt(0) lgkmcnt(0)
	s_waitcnt_vscnt null, 0x0
	flat_store_b64 v[22:23], v[24:25]
.LBB2_6383:                             ;   in Loop: Header=BB2_6303 Depth=2
	s_or_b32 exec_lo, exec_lo, s13
	v_add_nc_u32_e32 v131, v54, v131
	s_mov_b32 s13, 0
	s_and_not1_b32 exec_lo, exec_lo, s15
	s_cbranch_execnz .LBB2_6303
; %bb.6384:                             ;   in Loop: Header=BB2_51 Depth=1
	s_or_b32 exec_lo, exec_lo, s15
.LBB2_6385:                             ;   in Loop: Header=BB2_51 Depth=1
	s_delay_alu instid0(SALU_CYCLE_1) | instskip(NEXT) | instid1(SALU_CYCLE_1)
	s_or_b32 exec_lo, exec_lo, s14
	s_and_not1_b32 vcc_lo, exec_lo, s29
	s_cbranch_vccnz .LBB2_6684
; %bb.6386:                             ;   in Loop: Header=BB2_51 Depth=1
	s_mov_b32 s37, 1
.LBB2_6387:                             ;   Parent Loop BB2_51 Depth=1
                                        ; =>  This Loop Header: Depth=2
                                        ;       Child Loop BB2_6389 Depth 3
                                        ;         Child Loop BB2_6398 Depth 4
                                        ;         Child Loop BB2_6428 Depth 4
	;; [unrolled: 1-line block ×4, first 2 shown]
                                        ;           Child Loop BB2_6477 Depth 5
                                        ;         Child Loop BB2_6484 Depth 4
                                        ;           Child Loop BB2_6485 Depth 5
                                        ;         Child Loop BB2_6496 Depth 4
                                        ;         Child Loop BB2_6502 Depth 4
                                        ;           Child Loop BB2_6503 Depth 5
                                        ;         Child Loop BB2_6517 Depth 4
                                        ;         Child Loop BB2_6523 Depth 4
	;; [unrolled: 1-line block ×6, first 2 shown]
                                        ;       Child Loop BB2_6598 Depth 3
                                        ;         Child Loop BB2_6604 Depth 4
                                        ;         Child Loop BB2_6636 Depth 4
	;; [unrolled: 1-line block ×3, first 2 shown]
	s_delay_alu instid0(SALU_CYCLE_1) | instskip(SKIP_4) | instid1(SALU_CYCLE_1)
	s_sub_i32 s13, s25, s37
	v_mov_b32_e32 v54, 0
	s_cmp_le_i32 s19, s13
	s_mov_b32 s39, 0
	s_cselect_b32 s14, s19, 0
	s_sub_i32 s13, s13, s14
	s_delay_alu instid0(SALU_CYCLE_1) | instskip(SKIP_3) | instid1(VALU_DEP_1)
	s_ashr_i32 s14, s13, 31
	v_mul_lo_u32 v2, v51, s13
	v_mad_u64_u32 v[8:9], null, v50, s13, 0
	v_mul_lo_u32 v10, v50, s14
	v_add3_u32 v9, v9, v10, v2
	s_delay_alu instid0(VALU_DEP_3) | instskip(NEXT) | instid1(VALU_DEP_2)
	v_sub_co_u32 v10, vcc_lo, v52, v8
	v_sub_co_ci_u32_e32 v11, vcc_lo, v53, v9, vcc_lo
	s_delay_alu instid0(VALU_DEP_1) | instskip(SKIP_1) | instid1(VALU_DEP_1)
	v_cmp_lt_i64_e32 vcc_lo, v[50:51], v[10:11]
	v_cndmask_b32_e32 v10, v10, v50, vcc_lo
	v_max_i32_e32 v15, 0, v10
	v_cmp_lt_i32_e32 vcc_lo, 0, v10
	s_delay_alu instid0(VALU_DEP_2) | instskip(SKIP_1) | instid1(VALU_DEP_1)
	v_add_nc_u32_e32 v2, 31, v15
	s_and_b32 s13, s30, vcc_lo
	v_lshrrev_b32_e32 v2, 1, v2
	s_delay_alu instid0(VALU_DEP_1) | instskip(NEXT) | instid1(VALU_DEP_1)
	v_dual_mov_b32 v2, 0 :: v_dual_and_b32 v11, 0x3ffffff0, v2
	v_max_i32_e32 v12, s28, v11
	s_and_saveexec_b32 s38, s13
	s_cbranch_execz .LBB2_6596
; %bb.6388:                             ;   in Loop: Header=BB2_6387 Depth=2
	v_add_co_u32 v55, vcc_lo, v8, v128
	v_add_co_ci_u32_e32 v64, vcc_lo, v9, v129, vcc_lo
	v_mov_b32_e32 v54, 0
	s_mov_b32 s41, 1
	s_mov_b32 s40, -1
.LBB2_6389:                             ;   Parent Loop BB2_51 Depth=1
                                        ;     Parent Loop BB2_6387 Depth=2
                                        ; =>    This Loop Header: Depth=3
                                        ;         Child Loop BB2_6398 Depth 4
                                        ;         Child Loop BB2_6428 Depth 4
	;; [unrolled: 1-line block ×4, first 2 shown]
                                        ;           Child Loop BB2_6477 Depth 5
                                        ;         Child Loop BB2_6484 Depth 4
                                        ;           Child Loop BB2_6485 Depth 5
                                        ;         Child Loop BB2_6496 Depth 4
                                        ;         Child Loop BB2_6502 Depth 4
                                        ;           Child Loop BB2_6503 Depth 5
                                        ;         Child Loop BB2_6517 Depth 4
                                        ;         Child Loop BB2_6523 Depth 4
	;; [unrolled: 1-line block ×6, first 2 shown]
	s_and_saveexec_b32 s14, s0
	s_cbranch_execz .LBB2_6392
; %bb.6390:                             ;   in Loop: Header=BB2_6389 Depth=3
	s_cbranch_execnz .LBB2_7084
; %bb.6391:                             ;   in Loop: Header=BB2_6389 Depth=3
	ds_load_b128 v[8:11], v0
	v_ashrrev_i32_e32 v2, 31, v54
	s_waitcnt lgkmcnt(0)
	v_add_co_u32 v13, vcc_lo, v10, v55
	v_add_co_ci_u32_e32 v14, vcc_lo, v11, v64, vcc_lo
	v_add_co_u32 v8, vcc_lo, v8, v55
	v_add_co_ci_u32_e32 v9, vcc_lo, v9, v64, vcc_lo
	s_delay_alu instid0(VALU_DEP_4) | instskip(NEXT) | instid1(VALU_DEP_4)
	v_add_co_u32 v13, vcc_lo, v13, v54
	v_add_co_ci_u32_e32 v14, vcc_lo, v14, v2, vcc_lo
	v_cmp_ne_u64_e32 vcc_lo, 0, v[10:11]
	v_add_co_u32 v8, s13, v8, v54
	s_delay_alu instid0(VALU_DEP_1) | instskip(NEXT) | instid1(VALU_DEP_4)
	v_add_co_ci_u32_e64 v9, s13, v9, v2, s13
	v_dual_cndmask_b32 v11, 0, v14 :: v_dual_cndmask_b32 v10, 0, v13
	ds_store_b64 v0, v[8:9]
	ds_store_b64 v0, v[10:11]
.LBB2_6392:                             ;   in Loop: Header=BB2_6389 Depth=3
	s_or_b32 exec_lo, exec_lo, s14
	v_and_b32_e32 v2, 12, v30
	s_mov_b32 s14, -1
	s_mov_b32 s13, exec_lo
	s_delay_alu instid0(VALU_DEP_1)
	v_cmpx_ne_u32_e32 0, v2
	s_cbranch_execz .LBB2_6406
; %bb.6393:                             ;   in Loop: Header=BB2_6389 Depth=3
	v_and_b32_e32 v2, 8, v30
	s_delay_alu instid0(VALU_DEP_1) | instskip(SKIP_3) | instid1(VALU_DEP_1)
	v_add_co_u32 v10, vcc_lo, v34, v2
	v_add_co_ci_u32_e32 v11, vcc_lo, 0, v35, vcc_lo
	v_add_co_u32 v8, vcc_lo, v24, 2
	v_add_co_ci_u32_e32 v9, vcc_lo, 0, v25, vcc_lo
	v_cmp_lt_u64_e32 vcc_lo, v[10:11], v[8:9]
	v_mov_b32_e32 v10, 1
	s_and_saveexec_b32 s14, vcc_lo
	s_cbranch_execz .LBB2_6405
; %bb.6394:                             ;   in Loop: Header=BB2_6389 Depth=3
	v_mov_b32_e32 v10, 0
	s_mov_b32 s15, 0
                                        ; implicit-def: $sgpr16
	s_branch .LBB2_6398
.LBB2_6395:                             ;   in Loop: Header=BB2_6398 Depth=4
	s_or_b32 exec_lo, exec_lo, s44
	v_mov_b32_e32 v11, 0
	s_or_not1_b32 s43, s43, exec_lo
.LBB2_6396:                             ;   in Loop: Header=BB2_6398 Depth=4
	s_or_b32 exec_lo, exec_lo, s42
	s_delay_alu instid0(VALU_DEP_1) | instskip(SKIP_2) | instid1(SALU_CYCLE_1)
	v_mov_b32_e32 v10, v11
	s_and_not1_b32 s16, s16, exec_lo
	s_and_b32 vcc_lo, s43, exec_lo
	s_or_b32 s16, s16, vcc_lo
.LBB2_6397:                             ;   in Loop: Header=BB2_6398 Depth=4
	s_or_b32 exec_lo, exec_lo, s17
	s_waitcnt vmcnt(0) lgkmcnt(0)
	v_add_co_u32 v13, vcc_lo, v34, v2
	v_add_co_ci_u32_e32 v14, vcc_lo, 0, v35, vcc_lo
	s_xor_b32 s17, s16, -1
	s_delay_alu instid0(VALU_DEP_1) | instskip(SKIP_1) | instid1(SALU_CYCLE_1)
	v_cmp_ge_u64_e32 vcc_lo, v[13:14], v[8:9]
	s_or_b32 s17, s17, vcc_lo
	s_and_b32 s17, exec_lo, s17
	s_delay_alu instid0(SALU_CYCLE_1) | instskip(NEXT) | instid1(SALU_CYCLE_1)
	s_or_b32 s15, s17, s15
	s_and_not1_b32 exec_lo, exec_lo, s15
	s_cbranch_execz .LBB2_6404
.LBB2_6398:                             ;   Parent Loop BB2_51 Depth=1
                                        ;     Parent Loop BB2_6387 Depth=2
                                        ;       Parent Loop BB2_6389 Depth=3
                                        ; =>      This Inner Loop Header: Depth=4
	s_sleep 1
	flat_load_b64 v[34:35], v[22:23] glc
	v_and_b32_e32 v11, 64, v30
	s_and_not1_b32 s16, s16, exec_lo
	s_mov_b32 s17, exec_lo
	s_delay_alu instid0(VALU_DEP_1)
	v_cmpx_eq_u32_e32 0, v11
	s_cbranch_execz .LBB2_6397
; %bb.6399:                             ;   in Loop: Header=BB2_6398 Depth=4
	v_add_nc_u32_e32 v11, 1, v10
	s_mov_b32 s43, -1
	s_mov_b32 s42, exec_lo
	v_cmpx_lt_i32_e32 0x270e, v10
	s_cbranch_execz .LBB2_6396
; %bb.6400:                             ;   in Loop: Header=BB2_6398 Depth=4
	s_cbranch_execnz .LBB2_7126
; %bb.6401:                             ;   in Loop: Header=BB2_6398 Depth=4
	ds_load_b64 v[10:11], v0
	s_mov_b32 s44, exec_lo
	s_waitcnt vmcnt(0) lgkmcnt(0)
	s_waitcnt_vscnt null, 0x0
	flat_load_b32 v10, v[10:11] glc
	s_waitcnt vmcnt(0) lgkmcnt(0)
	buffer_gl1_inv
	buffer_gl0_inv
	v_cmpx_ne_u32_e32 0, v10
	s_cbranch_execz .LBB2_6395
; %bb.6402:                             ;   in Loop: Header=BB2_6398 Depth=4
	ds_store_b32 v0, v10
	s_cbranch_execnz .LBB2_7204
; %bb.6403:                             ;   in Loop: Header=BB2_6398 Depth=4
	v_or_b32_e32 v30, 64, v30
	s_xor_b32 s43, exec_lo, -1
	s_branch .LBB2_6395
.LBB2_6404:                             ;   in Loop: Header=BB2_6389 Depth=3
	s_or_b32 exec_lo, exec_lo, s15
	v_and_b32_e32 v10, 12, v30
.LBB2_6405:                             ;   in Loop: Header=BB2_6389 Depth=3
	s_or_b32 exec_lo, exec_lo, s14
	s_delay_alu instid0(VALU_DEP_1)
	v_cmp_eq_u32_e32 vcc_lo, 0, v10
	;;#ASMSTART
	s_wakeup
	;;#ASMEND
	s_or_not1_b32 s14, vcc_lo, exec_lo
.LBB2_6406:                             ;   in Loop: Header=BB2_6389 Depth=3
	s_or_b32 exec_lo, exec_lo, s13
	v_sub_nc_u32_e32 v2, v15, v54
	s_xor_b32 s13, s14, -1
	s_delay_alu instid0(VALU_DEP_1)
	v_min_i32_e32 v12, v12, v2
	s_and_saveexec_b32 s14, s13
	s_cbranch_execz .LBB2_6419
; %bb.6407:                             ;   in Loop: Header=BB2_6389 Depth=3
	v_and_b32_e32 v2, 0x108, v30
	s_delay_alu instid0(VALU_DEP_1) | instskip(SKIP_2) | instid1(SALU_CYCLE_1)
	v_cmp_ne_u32_e32 vcc_lo, 0x108, v2
	v_and_b32_e32 v2, 7, v24
	s_and_saveexec_b32 s13, vcc_lo
	s_xor_b32 s13, exec_lo, s13
	s_delay_alu instid0(SALU_CYCLE_1)
	s_and_not1_saveexec_b32 s13, s13
	s_cbranch_execz .LBB2_6409
; %bb.6408:                             ;   in Loop: Header=BB2_6389 Depth=3
	v_mad_u64_u32 v[8:9], null, v2, 24, v[6:7]
	v_ashrrev_i32_e32 v13, 31, v12
	flat_store_b64 v[8:9], v[12:13] offset:8
.LBB2_6409:                             ;   in Loop: Header=BB2_6389 Depth=3
	s_or_b32 exec_lo, exec_lo, s13
	v_and_b32_e32 v8, 0x100, v30
	s_mov_b32 s13, -1
	s_delay_alu instid0(VALU_DEP_1)
	v_cmp_ne_u32_e32 vcc_lo, 0, v8
                                        ; implicit-def: $vgpr8_vgpr9
	s_and_saveexec_b32 s15, vcc_lo
	s_cbranch_execnz .LBB2_6412
; %bb.6410:                             ;   in Loop: Header=BB2_6389 Depth=3
	s_or_b32 exec_lo, exec_lo, s15
	s_and_saveexec_b32 s15, s13
	s_cbranch_execnz .LBB2_6415
.LBB2_6411:                             ;   in Loop: Header=BB2_6389 Depth=3
	s_or_b32 exec_lo, exec_lo, s15
	s_cbranch_execnz .LBB2_7116
	s_branch .LBB2_6416
.LBB2_6412:                             ;   in Loop: Header=BB2_6389 Depth=3
	v_mad_u64_u32 v[10:11], null, v2, 24, v[6:7]
	s_delay_alu instid0(VALU_DEP_1) | instskip(NEXT) | instid1(VALU_DEP_1)
	v_mov_b32_e32 v8, v11
	v_mad_u64_u32 v[13:14], null, v3, 24, v[8:9]
	s_delay_alu instid0(VALU_DEP_1) | instskip(SKIP_4) | instid1(VALU_DEP_1)
	v_mov_b32_e32 v11, v13
	flat_load_b32 v8, v[10:11]
	s_waitcnt vmcnt(0) lgkmcnt(0)
	v_cmp_ne_u32_e32 vcc_lo, 1, v8
	v_cmp_eq_u32_e64 s13, 1, v8
                                        ; implicit-def: $vgpr8_vgpr9
	s_and_saveexec_b32 s16, s13
	s_cbranch_execz .LBB2_6414
; %bb.6413:                             ;   in Loop: Header=BB2_6389 Depth=3
	flat_load_b32 v8, v[10:11] offset:4 glc
	s_waitcnt vmcnt(0) lgkmcnt(0)
	v_ashrrev_i32_e32 v9, 31, v8
.LBB2_6414:                             ;   in Loop: Header=BB2_6389 Depth=3
	s_or_b32 exec_lo, exec_lo, s16
	s_delay_alu instid0(SALU_CYCLE_1)
	s_or_not1_b32 s13, vcc_lo, exec_lo
	s_or_b32 exec_lo, exec_lo, s15
	s_and_saveexec_b32 s15, s13
	s_cbranch_execz .LBB2_6411
.LBB2_6415:                             ;   in Loop: Header=BB2_6389 Depth=3
	v_mul_lo_u32 v10, v3, v80
	v_mul_lo_u32 v11, v2, v82
	v_mad_u64_u32 v[8:9], null, v2, v80, 0
	s_delay_alu instid0(VALU_DEP_1)
	v_add3_u32 v9, v9, v11, v10
	s_or_b32 exec_lo, exec_lo, s15
	s_cbranch_execnz .LBB2_7116
.LBB2_6416:                             ;   in Loop: Header=BB2_6389 Depth=3
	s_delay_alu instid0(VALU_DEP_2)
	v_add_co_u32 v8, vcc_lo, v26, v8
	v_and_b32_e32 v2, 0x2000, v30
	v_add_co_ci_u32_e32 v9, vcc_lo, v27, v9, vcc_lo
	s_mov_b32 s13, exec_lo
	ds_store_b64 v0, v[8:9]
	v_cmpx_ne_u32_e32 0, v2
	s_cbranch_execz .LBB2_6418
; %bb.6417:                             ;   in Loop: Header=BB2_6389 Depth=3
	ds_load_b64 v[8:9], v0 offset:584
	s_waitcnt lgkmcnt(0)
	v_add_co_u32 v8, vcc_lo, v8, 1
	v_add_co_ci_u32_e32 v9, vcc_lo, 0, v9, vcc_lo
	ds_store_b64 v0, v[8:9] offset:584
.LBB2_6418:                             ;   in Loop: Header=BB2_6389 Depth=3
	s_or_b32 exec_lo, exec_lo, s13
	v_add_co_u32 v24, vcc_lo, v24, 2
	v_add_co_ci_u32_e32 v25, vcc_lo, 0, v25, vcc_lo
.LBB2_6419:                             ;   in Loop: Header=BB2_6389 Depth=3
	s_or_b32 exec_lo, exec_lo, s14
	s_and_saveexec_b32 s13, s3
	s_cbranch_execz .LBB2_6441
; %bb.6420:                             ;   in Loop: Header=BB2_6389 Depth=3
	s_and_saveexec_b32 s14, s4
	s_delay_alu instid0(SALU_CYCLE_1)
	s_xor_b32 s14, exec_lo, s14
	s_cbranch_execz .LBB2_6438
; %bb.6421:                             ;   in Loop: Header=BB2_6389 Depth=3
	s_and_saveexec_b32 s15, s1
	s_cbranch_execz .LBB2_6437
; %bb.6422:                             ;   in Loop: Header=BB2_6389 Depth=3
	s_mov_b32 s17, exec_lo
	s_mov_b32 s16, exec_lo
	v_mbcnt_lo_u32_b32 v2, s17, 0
	s_waitcnt vmcnt(0) lgkmcnt(0)
	s_waitcnt_vscnt null, 0x0
	buffer_gl1_inv
	buffer_gl0_inv
	v_cmpx_eq_u32_e32 0, v2
	s_cbranch_execz .LBB2_6424
; %bb.6423:                             ;   in Loop: Header=BB2_6389 Depth=3
	s_bcnt1_i32_b32 s17, s17
	s_delay_alu instid0(SALU_CYCLE_1)
	v_mov_b32_e32 v2, s17
	ds_add_u64 v0, v[2:3]
	s_cbranch_execnz .LBB2_7260
.LBB2_6424:                             ;   in Loop: Header=BB2_6389 Depth=3
	s_or_b32 exec_lo, exec_lo, s16
	s_cbranch_execnz .LBB2_7230
; %bb.6425:                             ;   in Loop: Header=BB2_6389 Depth=3
	ds_load_b64 v[8:9], v0
	v_add_co_u32 v32, vcc_lo, v32, v83
	v_add_co_ci_u32_e32 v33, vcc_lo, 0, v33, vcc_lo
	s_mov_b32 s16, exec_lo
	s_waitcnt lgkmcnt(0)
	s_delay_alu instid0(VALU_DEP_1)
	v_cmpx_lt_u64_e64 v[8:9], v[32:33]
	s_cbranch_execz .LBB2_6436
; %bb.6426:                             ;   in Loop: Header=BB2_6389 Depth=3
	s_mov_b32 s17, 0
	s_mov_b32 s44, 0
                                        ; implicit-def: $sgpr42
                                        ; implicit-def: $sgpr43
	s_branch .LBB2_6428
.LBB2_6427:                             ;   in Loop: Header=BB2_6428 Depth=4
	s_or_b32 exec_lo, exec_lo, s46
	s_delay_alu instid0(SALU_CYCLE_1) | instskip(NEXT) | instid1(SALU_CYCLE_1)
	s_and_b32 vcc_lo, exec_lo, vcc_lo
	s_or_b32 s17, vcc_lo, s17
	s_and_not1_b32 vcc_lo, s42, exec_lo
	s_and_b32 s42, s43, exec_lo
	s_delay_alu instid0(SALU_CYCLE_1)
	s_or_b32 s42, vcc_lo, s42
	s_and_not1_b32 exec_lo, exec_lo, s17
	s_cbranch_execz .LBB2_6434
.LBB2_6428:                             ;   Parent Loop BB2_51 Depth=1
                                        ;     Parent Loop BB2_6387 Depth=2
                                        ;       Parent Loop BB2_6389 Depth=3
                                        ; =>      This Inner Loop Header: Depth=4
	s_add_i32 s44, s44, 1
                                        ; implicit-def: $sgpr46
	s_delay_alu instid0(SALU_CYCLE_1) | instskip(SKIP_1) | instid1(SALU_CYCLE_1)
	s_cmpk_lg_i32 s44, 0x2710
	s_cselect_b32 s45, -1, 0
	s_and_b32 vcc_lo, exec_lo, s45
	s_cbranch_vccz .LBB2_6432
.LBB2_6429:                             ;   in Loop: Header=BB2_6428 Depth=4
	s_and_not1_b32 s43, s43, exec_lo
	s_and_b32 s46, s46, exec_lo
	s_mov_b32 vcc_lo, -1
	s_or_b32 s43, s43, s46
	s_and_saveexec_b32 s46, s45
	s_cbranch_execz .LBB2_6427
; %bb.6430:                             ;   in Loop: Header=BB2_6428 Depth=4
	s_sleep 1
	s_cbranch_execnz .LBB2_7310
; %bb.6431:                             ;   in Loop: Header=BB2_6428 Depth=4
	ds_load_b64 v[8:9], v0
	s_and_not1_b32 s43, s43, exec_lo
	s_waitcnt lgkmcnt(0)
	v_cmp_ge_u64_e32 vcc_lo, v[8:9], v[32:33]
	s_or_not1_b32 vcc_lo, vcc_lo, exec_lo
	s_branch .LBB2_6427
.LBB2_6432:                             ;   in Loop: Header=BB2_6428 Depth=4
	s_cbranch_execnz .LBB2_7332
; %bb.6433:                             ;   in Loop: Header=BB2_6428 Depth=4
	ds_load_b64 v[8:9], v0
	s_and_not1_b32 s45, s45, exec_lo
	s_mov_b32 s44, 0
	s_mov_b32 s46, -1
	s_waitcnt lgkmcnt(0)
	flat_load_b32 v2, v[8:9] glc
	s_waitcnt vmcnt(0) lgkmcnt(0)
	buffer_gl1_inv
	buffer_gl0_inv
	v_cmp_eq_u32_e32 vcc_lo, 0, v2
	s_and_b32 vcc_lo, vcc_lo, exec_lo
	s_delay_alu instid0(SALU_CYCLE_1)
	s_or_b32 s45, s45, vcc_lo
	s_branch .LBB2_6429
.LBB2_6434:                             ;   in Loop: Header=BB2_6389 Depth=3
	s_or_b32 exec_lo, exec_lo, s17
	s_and_saveexec_b32 s17, s42
	s_delay_alu instid0(SALU_CYCLE_1)
	s_xor_b32 s17, exec_lo, s17
	s_cbranch_execz .LBB2_6436
; %bb.6435:                             ;   in Loop: Header=BB2_6389 Depth=3
	ds_store_b32 v0, v119
	s_cbranch_execnz .LBB2_7446
.LBB2_6436:                             ;   in Loop: Header=BB2_6389 Depth=3
	s_or_b32 exec_lo, exec_lo, s16
	;;#ASMSTART
	s_wakeup
	;;#ASMEND
.LBB2_6437:                             ;   in Loop: Header=BB2_6389 Depth=3
	s_or_b32 exec_lo, exec_lo, s15
.LBB2_6438:                             ;   in Loop: Header=BB2_6389 Depth=3
	s_and_not1_saveexec_b32 s14, s14
	s_cbranch_execz .LBB2_6440
; %bb.6439:                             ;   in Loop: Header=BB2_6389 Depth=3
	s_waitcnt vmcnt(0) lgkmcnt(0)
	s_waitcnt_vscnt null, 0x0
	buffer_gl1_inv
	buffer_gl0_inv
	s_barrier
.LBB2_6440:                             ;   in Loop: Header=BB2_6389 Depth=3
	s_or_b32 exec_lo, exec_lo, s14
.LBB2_6441:                             ;   in Loop: Header=BB2_6389 Depth=3
	s_delay_alu instid0(SALU_CYCLE_1)
	s_or_b32 exec_lo, exec_lo, s13
	s_cbranch_execnz .LBB2_7098
; %bb.6442:                             ;   in Loop: Header=BB2_6389 Depth=3
	ds_load_b32 v8, v0
	v_and_b32_e32 v2, 0x4000, v30
	s_xor_b32 s13, s2, -1
	s_delay_alu instid0(VALU_DEP_1) | instskip(SKIP_1) | instid1(SALU_CYCLE_1)
	v_cmp_ne_u32_e32 vcc_lo, 0, v2
	s_and_b32 s14, s13, vcc_lo
	s_and_saveexec_b32 s13, s14
	s_cbranch_execz .LBB2_6464
; %bb.6443:                             ;   in Loop: Header=BB2_6389 Depth=3
	s_and_saveexec_b32 s14, s4
	s_delay_alu instid0(SALU_CYCLE_1)
	s_xor_b32 s14, exec_lo, s14
	s_cbranch_execz .LBB2_6461
; %bb.6444:                             ;   in Loop: Header=BB2_6389 Depth=3
	s_and_saveexec_b32 s15, s1
	s_cbranch_execz .LBB2_6460
; %bb.6445:                             ;   in Loop: Header=BB2_6389 Depth=3
	s_mov_b32 s17, exec_lo
	s_mov_b32 s16, exec_lo
	v_mbcnt_lo_u32_b32 v2, s17, 0
	s_waitcnt vmcnt(0) lgkmcnt(0)
	s_waitcnt_vscnt null, 0x0
	buffer_gl1_inv
	buffer_gl0_inv
	v_cmpx_eq_u32_e32 0, v2
	s_cbranch_execz .LBB2_6447
; %bb.6446:                             ;   in Loop: Header=BB2_6389 Depth=3
	s_bcnt1_i32_b32 s17, s17
	s_delay_alu instid0(SALU_CYCLE_1)
	v_mov_b32_e32 v2, s17
	ds_add_u64 v0, v[2:3]
	s_cbranch_execnz .LBB2_7298
.LBB2_6447:                             ;   in Loop: Header=BB2_6389 Depth=3
	s_or_b32 exec_lo, exec_lo, s16
	s_cbranch_execnz .LBB2_7280
; %bb.6448:                             ;   in Loop: Header=BB2_6389 Depth=3
	ds_load_b64 v[9:10], v0
	v_add_co_u32 v32, vcc_lo, v32, v83
	v_add_co_ci_u32_e32 v33, vcc_lo, 0, v33, vcc_lo
	s_mov_b32 s16, exec_lo
	s_waitcnt lgkmcnt(0)
	s_delay_alu instid0(VALU_DEP_1)
	v_cmpx_lt_u64_e64 v[9:10], v[32:33]
	s_cbranch_execz .LBB2_6459
; %bb.6449:                             ;   in Loop: Header=BB2_6389 Depth=3
	s_mov_b32 s17, 0
	s_mov_b32 s44, 0
                                        ; implicit-def: $sgpr42
                                        ; implicit-def: $sgpr43
	s_branch .LBB2_6451
.LBB2_6450:                             ;   in Loop: Header=BB2_6451 Depth=4
	s_or_b32 exec_lo, exec_lo, s46
	s_delay_alu instid0(SALU_CYCLE_1) | instskip(NEXT) | instid1(SALU_CYCLE_1)
	s_and_b32 vcc_lo, exec_lo, vcc_lo
	s_or_b32 s17, vcc_lo, s17
	s_and_not1_b32 vcc_lo, s42, exec_lo
	s_and_b32 s42, s43, exec_lo
	s_delay_alu instid0(SALU_CYCLE_1)
	s_or_b32 s42, vcc_lo, s42
	s_and_not1_b32 exec_lo, exec_lo, s17
	s_cbranch_execz .LBB2_6457
.LBB2_6451:                             ;   Parent Loop BB2_51 Depth=1
                                        ;     Parent Loop BB2_6387 Depth=2
                                        ;       Parent Loop BB2_6389 Depth=3
                                        ; =>      This Inner Loop Header: Depth=4
	s_add_i32 s44, s44, 1
                                        ; implicit-def: $sgpr46
	s_delay_alu instid0(SALU_CYCLE_1) | instskip(SKIP_1) | instid1(SALU_CYCLE_1)
	s_cmpk_lg_i32 s44, 0x2710
	s_cselect_b32 s45, -1, 0
	s_and_b32 vcc_lo, exec_lo, s45
	s_cbranch_vccz .LBB2_6455
.LBB2_6452:                             ;   in Loop: Header=BB2_6451 Depth=4
	s_and_not1_b32 s43, s43, exec_lo
	s_and_b32 s46, s46, exec_lo
	s_mov_b32 vcc_lo, -1
	s_or_b32 s43, s43, s46
	s_and_saveexec_b32 s46, s45
	s_cbranch_execz .LBB2_6450
; %bb.6453:                             ;   in Loop: Header=BB2_6451 Depth=4
	s_sleep 1
	s_cbranch_execnz .LBB2_7368
; %bb.6454:                             ;   in Loop: Header=BB2_6451 Depth=4
	ds_load_b64 v[9:10], v0
	s_and_not1_b32 s43, s43, exec_lo
	s_waitcnt lgkmcnt(0)
	v_cmp_ge_u64_e32 vcc_lo, v[9:10], v[32:33]
	s_or_not1_b32 vcc_lo, vcc_lo, exec_lo
	s_branch .LBB2_6450
.LBB2_6455:                             ;   in Loop: Header=BB2_6451 Depth=4
	s_cbranch_execnz .LBB2_7376
; %bb.6456:                             ;   in Loop: Header=BB2_6451 Depth=4
	ds_load_b64 v[9:10], v0
	s_and_not1_b32 s45, s45, exec_lo
	s_mov_b32 s44, 0
	s_mov_b32 s46, -1
	s_waitcnt lgkmcnt(0)
	flat_load_b32 v2, v[9:10] glc
	s_waitcnt vmcnt(0) lgkmcnt(0)
	buffer_gl1_inv
	buffer_gl0_inv
	v_cmp_eq_u32_e32 vcc_lo, 0, v2
	s_and_b32 vcc_lo, vcc_lo, exec_lo
	s_delay_alu instid0(SALU_CYCLE_1)
	s_or_b32 s45, s45, vcc_lo
	s_branch .LBB2_6452
.LBB2_6457:                             ;   in Loop: Header=BB2_6389 Depth=3
	s_or_b32 exec_lo, exec_lo, s17
	s_and_saveexec_b32 s17, s42
	s_delay_alu instid0(SALU_CYCLE_1)
	s_xor_b32 s17, exec_lo, s17
	s_cbranch_execz .LBB2_6459
; %bb.6458:                             ;   in Loop: Header=BB2_6389 Depth=3
	ds_store_b32 v0, v119
	s_cbranch_execnz .LBB2_7462
.LBB2_6459:                             ;   in Loop: Header=BB2_6389 Depth=3
	s_or_b32 exec_lo, exec_lo, s16
	;;#ASMSTART
	s_wakeup
	;;#ASMEND
.LBB2_6460:                             ;   in Loop: Header=BB2_6389 Depth=3
	s_or_b32 exec_lo, exec_lo, s15
.LBB2_6461:                             ;   in Loop: Header=BB2_6389 Depth=3
	s_and_not1_saveexec_b32 s14, s14
	s_cbranch_execz .LBB2_6463
; %bb.6462:                             ;   in Loop: Header=BB2_6389 Depth=3
	s_waitcnt vmcnt(0) lgkmcnt(0)
	s_waitcnt_vscnt null, 0x0
	buffer_gl1_inv
	buffer_gl0_inv
	s_barrier
.LBB2_6463:                             ;   in Loop: Header=BB2_6389 Depth=3
	s_or_b32 exec_lo, exec_lo, s14
.LBB2_6464:                             ;   in Loop: Header=BB2_6389 Depth=3
	s_delay_alu instid0(SALU_CYCLE_1)
	s_or_b32 exec_lo, exec_lo, s13
	s_cbranch_execnz .LBB2_7156
; %bb.6465:                             ;   in Loop: Header=BB2_6389 Depth=3
	ds_load_b64 v[9:10], v0
	v_mov_b32_e32 v65, 0
	s_waitcnt lgkmcnt(0)
	v_cmp_eq_u64_e32 vcc_lo, 0, v[9:10]
	s_or_b32 s13, vcc_lo, vcc_lo
	s_delay_alu instid0(SALU_CYCLE_1)
	s_and_b32 vcc_lo, exec_lo, s13
	s_cbranch_vccnz .LBB2_6542
; %bb.6466:                             ;   in Loop: Header=BB2_6389 Depth=3
	v_cmp_eq_u32_e32 vcc_lo, 0, v8
	s_cbranch_execnz .LBB2_7222
; %bb.6467:                             ;   in Loop: Header=BB2_6389 Depth=3
	ds_load_b64 v[8:9], v0
	v_cndmask_b32_e32 v65, 0, v12, vcc_lo
	s_waitcnt lgkmcnt(0)
	v_cmp_ne_u64_e64 s13, 0, v[8:9]
	s_delay_alu instid0(VALU_DEP_1)
	s_and_b32 vcc_lo, exec_lo, s13
	s_cbranch_vccz .LBB2_6507
; %bb.6468:                             ;   in Loop: Header=BB2_6389 Depth=3
	s_mov_b32 s13, -1
	s_and_saveexec_b32 s14, s6
	s_cbranch_execz .LBB2_6470
; %bb.6469:                             ;   in Loop: Header=BB2_6389 Depth=3
	ds_load_b32 v2, v0 offset:720
	s_waitcnt lgkmcnt(0)
	v_and_b32_e32 v2, 15, v2
	s_delay_alu instid0(VALU_DEP_1)
	v_cmp_eq_u32_e32 vcc_lo, 0, v2
	s_or_not1_b32 s13, vcc_lo, exec_lo
.LBB2_6470:                             ;   in Loop: Header=BB2_6389 Depth=3
	s_or_b32 exec_lo, exec_lo, s14
	s_and_saveexec_b32 s14, s12
	s_cbranch_execz .LBB2_6472
; %bb.6471:                             ;   in Loop: Header=BB2_6389 Depth=3
	ds_load_b32 v2, v0 offset:784
	s_waitcnt lgkmcnt(0)
	v_and_b32_e32 v2, 15, v2
	s_delay_alu instid0(VALU_DEP_1) | instskip(SKIP_3) | instid1(SALU_CYCLE_1)
	v_cmp_eq_u32_e32 vcc_lo, 0, v2
	s_and_b32 s15, s13, vcc_lo
	s_and_not1_b32 s13, s13, exec_lo
	s_and_b32 s15, s15, exec_lo
	s_or_b32 s13, s13, s15
.LBB2_6472:                             ;   in Loop: Header=BB2_6389 Depth=3
	s_or_b32 exec_lo, exec_lo, s14
	s_xor_b32 s13, s13, -1
	s_waitcnt vmcnt(0)
	v_mov_b32_e32 v66, v65
	v_cndmask_b32_e64 v2, 0, 1, s13
	;;#ASMSTART
	;;#ASMEND
	s_delay_alu instid0(VALU_DEP_1)
	v_cmp_ne_u32_e32 vcc_lo, 0, v2
	v_dual_mov_b32 v2, 0 :: v_dual_mov_b32 v67, v0
	v_mov_b32_e32 v8, v84
	s_mov_b32 s14, -1
	s_cbranch_vccnz .LBB2_6492
; %bb.6473:                             ;   in Loop: Header=BB2_6389 Depth=3
	v_ashrrev_i32_e32 v2, 31, v65
	s_mov_b32 s16, exec_lo
	s_delay_alu instid0(VALU_DEP_1) | instskip(NEXT) | instid1(VALU_DEP_1)
	v_lshrrev_b32_e32 v2, 23, v2
	v_add_nc_u32_e32 v2, v65, v2
	s_delay_alu instid0(VALU_DEP_1) | instskip(SKIP_2) | instid1(VALU_DEP_3)
	v_and_b32_e32 v68, 0xfffffe00, v2
	v_ashrrev_i32_e32 v8, 9, v2
	v_sub_nc_u32_e32 v2, v65, v116
	v_sub_nc_u32_e32 v70, v65, v68
	s_delay_alu instid0(VALU_DEP_1) | instskip(NEXT) | instid1(VALU_DEP_1)
	v_cmp_lt_i32_e64 s13, 15, v70
	v_add_co_ci_u32_e64 v71, vcc_lo, v8, v117, s13
	s_delay_alu instid0(VALU_DEP_4)
	v_cmpx_lt_i32_e32 15, v2
	s_cbranch_execz .LBB2_6480
; %bb.6474:                             ;   in Loop: Header=BB2_6389 Depth=3
	s_cbranch_execnz .LBB2_7392
; %bb.6475:                             ;   in Loop: Header=BB2_6389 Depth=3
	ds_load_b64 v[13:14], v0
	ds_load_b128 v[8:11], v0
	s_mov_b32 s17, 0
	s_waitcnt lgkmcnt(1)
	v_add_co_u32 v13, vcc_lo, v13, v116
	v_add_co_ci_u32_e32 v14, vcc_lo, v14, v118, vcc_lo
	s_waitcnt lgkmcnt(0)
	v_add_co_u32 v66, vcc_lo, v8, v116
	v_add_co_ci_u32_e32 v67, vcc_lo, v9, v118, vcc_lo
	v_add_co_u32 v69, vcc_lo, v10, v116
	v_add_co_ci_u32_e32 v130, vcc_lo, v11, v118, vcc_lo
.LBB2_6476:                             ;   Parent Loop BB2_51 Depth=1
                                        ;     Parent Loop BB2_6387 Depth=2
                                        ;       Parent Loop BB2_6389 Depth=3
                                        ; =>      This Loop Header: Depth=4
                                        ;           Child Loop BB2_6477 Depth 5
	global_load_b128 v[8:11], v[13:14], off slc dlc
	s_mov_b64 s[14:15], 0
	s_mov_b32 s42, -1
.LBB2_6477:                             ;   Parent Loop BB2_51 Depth=1
                                        ;     Parent Loop BB2_6387 Depth=2
                                        ;       Parent Loop BB2_6389 Depth=3
                                        ;         Parent Loop BB2_6476 Depth=4
                                        ; =>        This Inner Loop Header: Depth=5
	s_cmp_eq_u32 s14, 0
	v_cndmask_b32_e64 v133, 0, 1, s42
	s_cselect_b32 vcc_lo, -1, 0
	s_cmp_eq_u32 s14, 1
	s_mov_b32 s42, 0
	s_cselect_b32 s14, -1, 0
	s_delay_alu instid0(SALU_CYCLE_1) | instskip(SKIP_1) | instid1(VALU_DEP_2)
	v_cndmask_b32_e64 v131, v66, v69, s14
	v_cndmask_b32_e64 v132, v67, v130, s14
	v_add_co_u32 v134, s15, 0x200, v131
	s_delay_alu instid0(VALU_DEP_1) | instskip(SKIP_1) | instid1(VALU_DEP_3)
	v_add_co_ci_u32_e64 v135, s15, 0, v132, s15
	v_cmp_ne_u32_e64 s15, 1, v133
	v_cndmask_b32_e64 v69, v69, v134, s14
	v_cndmask_b32_e32 v66, v66, v134, vcc_lo
	s_delay_alu instid0(VALU_DEP_4)
	v_cndmask_b32_e64 v130, v130, v135, s14
	v_cndmask_b32_e32 v67, v67, v135, vcc_lo
	s_and_b32 vcc_lo, exec_lo, s15
	s_mov_b64 s[14:15], 1
	s_waitcnt vmcnt(0)
	global_store_b128 v[131:132], v[8:11], off glc slc dlc
	s_cbranch_vccz .LBB2_6477
; %bb.6478:                             ;   in Loop: Header=BB2_6476 Depth=4
	v_add_co_u32 v66, vcc_lo, v66, v87
	v_sub_nc_u32_e32 v2, v2, v86
	v_add_co_ci_u32_e32 v67, vcc_lo, v67, v98, vcc_lo
	v_add_co_u32 v69, vcc_lo, v69, v87
	v_add_co_ci_u32_e32 v130, vcc_lo, v130, v98, vcc_lo
	s_delay_alu instid0(VALU_DEP_4) | instskip(SKIP_1) | instid1(VALU_DEP_1)
	v_cmp_gt_i32_e32 vcc_lo, 16, v2
	v_add_co_u32 v13, s14, v100, v13
	v_add_co_ci_u32_e64 v14, s14, v101, v14, s14
	v_sub_nc_u32_e32 v71, v71, v83
	s_or_b32 s17, vcc_lo, s17
	s_delay_alu instid0(SALU_CYCLE_1)
	s_and_not1_b32 exec_lo, exec_lo, s17
	s_cbranch_execnz .LBB2_6476
; %bb.6479:                             ;   in Loop: Header=BB2_6389 Depth=3
	s_or_b32 exec_lo, exec_lo, s17
.LBB2_6480:                             ;   in Loop: Header=BB2_6389 Depth=3
	s_delay_alu instid0(SALU_CYCLE_1) | instskip(SKIP_3) | instid1(VALU_DEP_1)
	s_or_b32 exec_lo, exec_lo, s16
	v_dual_mov_b32 v2, 0 :: v_dual_and_b32 v9, 15, v65
	s_mov_b32 s14, 0
	s_mov_b32 s16, exec_lo
                                        ; implicit-def: $vgpr66
                                        ; implicit-def: $vgpr67
                                        ; implicit-def: $vgpr8
	v_cndmask_b32_e64 v69, v70, v9, s13
	s_delay_alu instid0(VALU_DEP_1)
	v_cmpx_ne_u32_e32 0, v69
	s_cbranch_execz .LBB2_6491
; %bb.6481:                             ;   in Loop: Header=BB2_6389 Depth=3
	v_cmp_lt_i32_e32 vcc_lo, 0, v71
	v_ashrrev_i32_e32 v10, 31, v69
	v_sub_nc_u32_e32 v9, v70, v9
	s_mov_b32 s17, exec_lo
	v_cndmask_b32_e32 v2, 0, v83, vcc_lo
	s_delay_alu instid0(VALU_DEP_3) | instskip(NEXT) | instid1(VALU_DEP_3)
	v_lshrrev_b32_e32 v10, 23, v10
	v_cndmask_b32_e64 v9, 0, v9, s13
	s_delay_alu instid0(VALU_DEP_3) | instskip(NEXT) | instid1(VALU_DEP_3)
	v_sub_nc_u32_e32 v2, v2, v71
	v_add_nc_u32_e32 v10, v69, v10
	s_delay_alu instid0(VALU_DEP_3) | instskip(NEXT) | instid1(VALU_DEP_3)
	v_add_nc_u32_e32 v68, v9, v68
	v_lshl_add_u32 v2, v2, 5, v85
	s_delay_alu instid0(VALU_DEP_3) | instskip(SKIP_1) | instid1(VALU_DEP_3)
	v_and_b32_e32 v71, 0xfffffe00, v10
	v_ashrrev_i32_e32 v10, 9, v10
	v_ashrrev_i32_e32 v8, 31, v2
	s_delay_alu instid0(VALU_DEP_3) | instskip(NEXT) | instid1(VALU_DEP_2)
	v_sub_nc_u32_e32 v70, v69, v71
	v_lshrrev_b32_e32 v8, 27, v8
	s_delay_alu instid0(VALU_DEP_2) | instskip(NEXT) | instid1(VALU_DEP_2)
	v_cmp_lt_i32_e64 s13, 15, v70
	v_add_nc_u32_e32 v8, v2, v8
	s_delay_alu instid0(VALU_DEP_2) | instskip(NEXT) | instid1(VALU_DEP_2)
	v_add_co_ci_u32_e64 v10, vcc_lo, 0, v10, s13
	v_and_b32_e32 v11, 0xffffffe0, v8
	s_delay_alu instid0(VALU_DEP_1) | instskip(SKIP_1) | instid1(VALU_DEP_2)
	v_sub_nc_u32_e32 v130, v2, v11
	v_ashrrev_i32_e32 v11, 5, v8
	v_lshlrev_b32_e32 v2, 4, v130
	s_delay_alu instid0(VALU_DEP_2) | instskip(NEXT) | instid1(VALU_DEP_2)
	v_sub_nc_u32_e32 v131, v10, v11
	v_lshl_add_u32 v8, v11, 9, v2
	s_delay_alu instid0(VALU_DEP_1) | instskip(NEXT) | instid1(VALU_DEP_1)
	v_sub_nc_u32_e32 v2, v69, v8
	v_cmpx_lt_i32_e32 15, v2
	s_cbranch_execz .LBB2_6488
; %bb.6482:                             ;   in Loop: Header=BB2_6389 Depth=3
	s_cbranch_execnz .LBB2_7430
; %bb.6483:                             ;   in Loop: Header=BB2_6389 Depth=3
	ds_load_b64 v[9:10], v0
	ds_load_b128 v[132:135], v0
	v_add_nc_u32_e32 v8, v8, v68
	s_mov_b32 s42, 0
	s_delay_alu instid0(VALU_DEP_1) | instskip(SKIP_2) | instid1(VALU_DEP_2)
	v_ashrrev_i32_e32 v11, 31, v8
	s_waitcnt lgkmcnt(1)
	v_add_co_u32 v13, vcc_lo, v9, v8
	v_add_co_ci_u32_e32 v14, vcc_lo, v10, v11, vcc_lo
	s_waitcnt lgkmcnt(0)
	v_add_co_u32 v66, vcc_lo, v132, v8
	v_add_co_ci_u32_e32 v67, vcc_lo, v133, v11, vcc_lo
	v_add_co_u32 v132, vcc_lo, v134, v8
	v_add_co_ci_u32_e32 v133, vcc_lo, v135, v11, vcc_lo
.LBB2_6484:                             ;   Parent Loop BB2_51 Depth=1
                                        ;     Parent Loop BB2_6387 Depth=2
                                        ;       Parent Loop BB2_6389 Depth=3
                                        ; =>      This Loop Header: Depth=4
                                        ;           Child Loop BB2_6485 Depth 5
	global_load_b128 v[8:11], v[13:14], off slc dlc
	s_mov_b64 s[14:15], 0
	s_mov_b32 s43, -1
.LBB2_6485:                             ;   Parent Loop BB2_51 Depth=1
                                        ;     Parent Loop BB2_6387 Depth=2
                                        ;       Parent Loop BB2_6389 Depth=3
                                        ;         Parent Loop BB2_6484 Depth=4
                                        ; =>        This Inner Loop Header: Depth=5
	s_cmp_eq_u32 s14, 0
	v_cndmask_b32_e64 v144, 0, 1, s43
	s_cselect_b32 vcc_lo, -1, 0
	s_cmp_eq_u32 s14, 1
	s_mov_b32 s43, 0
	s_cselect_b32 s14, -1, 0
	s_delay_alu instid0(SALU_CYCLE_1) | instskip(SKIP_1) | instid1(VALU_DEP_2)
	v_cndmask_b32_e64 v134, v66, v132, s14
	v_cndmask_b32_e64 v135, v67, v133, s14
	v_add_co_u32 v145, s15, 0x200, v134
	s_delay_alu instid0(VALU_DEP_1) | instskip(SKIP_1) | instid1(VALU_DEP_3)
	v_add_co_ci_u32_e64 v146, s15, 0, v135, s15
	v_cmp_ne_u32_e64 s15, 1, v144
	v_cndmask_b32_e64 v132, v132, v145, s14
	v_cndmask_b32_e32 v66, v66, v145, vcc_lo
	s_delay_alu instid0(VALU_DEP_4)
	v_cndmask_b32_e64 v133, v133, v146, s14
	v_cndmask_b32_e32 v67, v67, v146, vcc_lo
	s_and_b32 vcc_lo, exec_lo, s15
	s_mov_b64 s[14:15], 1
	s_waitcnt vmcnt(0)
	global_store_b128 v[134:135], v[8:11], off glc slc dlc
	s_cbranch_vccz .LBB2_6485
; %bb.6486:                             ;   in Loop: Header=BB2_6484 Depth=4
	v_add_co_u32 v66, vcc_lo, v66, v87
	v_sub_nc_u32_e32 v2, v2, v86
	v_add_co_ci_u32_e32 v67, vcc_lo, v67, v98, vcc_lo
	v_add_co_u32 v132, vcc_lo, v132, v87
	v_add_co_ci_u32_e32 v133, vcc_lo, v133, v98, vcc_lo
	s_delay_alu instid0(VALU_DEP_4) | instskip(SKIP_1) | instid1(VALU_DEP_1)
	v_cmp_gt_i32_e32 vcc_lo, 16, v2
	v_add_co_u32 v13, s14, v100, v13
	v_add_co_ci_u32_e64 v14, s14, v101, v14, s14
	v_sub_nc_u32_e32 v131, v131, v83
	s_or_b32 s42, vcc_lo, s42
	s_delay_alu instid0(SALU_CYCLE_1)
	s_and_not1_b32 exec_lo, exec_lo, s42
	s_cbranch_execnz .LBB2_6484
; %bb.6487:                             ;   in Loop: Header=BB2_6389 Depth=3
	s_or_b32 exec_lo, exec_lo, s42
.LBB2_6488:                             ;   in Loop: Header=BB2_6389 Depth=3
	s_delay_alu instid0(SALU_CYCLE_1) | instskip(SKIP_3) | instid1(VALU_DEP_1)
	s_or_b32 exec_lo, exec_lo, s17
	v_dual_mov_b32 v2, 0 :: v_dual_and_b32 v9, 15, v69
	s_mov_b32 s14, 0
	s_mov_b32 s15, exec_lo
                                        ; implicit-def: $vgpr67
                                        ; implicit-def: $vgpr8
	v_cndmask_b32_e64 v66, v70, v9, s13
	s_delay_alu instid0(VALU_DEP_1)
	v_cmpx_ne_u32_e32 0, v66
	s_cbranch_execz .LBB2_6490
; %bb.6489:                             ;   in Loop: Header=BB2_6389 Depth=3
	v_cmp_lt_i32_e32 vcc_lo, 0, v131
	v_sub_nc_u32_e32 v8, v70, v9
	s_mov_b32 s14, exec_lo
	v_cndmask_b32_e32 v2, 0, v83, vcc_lo
	s_delay_alu instid0(VALU_DEP_2) | instskip(NEXT) | instid1(VALU_DEP_2)
	v_cndmask_b32_e64 v8, 0, v8, s13
	v_sub_nc_u32_e32 v2, v2, v131
	s_delay_alu instid0(VALU_DEP_1) | instskip(NEXT) | instid1(VALU_DEP_1)
	v_lshl_add_u32 v67, v2, 5, v130
	v_ashrrev_i32_e32 v2, 31, v67
	s_delay_alu instid0(VALU_DEP_1) | instskip(NEXT) | instid1(VALU_DEP_1)
	v_lshrrev_b32_e32 v2, 27, v2
	v_add_nc_u32_e32 v9, v67, v2
	v_add3_u32 v2, v71, v68, v8
	s_delay_alu instid0(VALU_DEP_2)
	v_ashrrev_i32_e32 v8, 5, v9
.LBB2_6490:                             ;   in Loop: Header=BB2_6389 Depth=3
	s_or_b32 exec_lo, exec_lo, s15
	s_delay_alu instid0(SALU_CYCLE_1)
	s_and_b32 s14, s14, exec_lo
.LBB2_6491:                             ;   in Loop: Header=BB2_6389 Depth=3
	s_or_b32 exec_lo, exec_lo, s16
.LBB2_6492:                             ;   in Loop: Header=BB2_6389 Depth=3
	s_and_saveexec_b32 s15, s14
	s_cbranch_execz .LBB2_6506
; %bb.6493:                             ;   in Loop: Header=BB2_6389 Depth=3
	v_ashrrev_i32_e32 v9, 31, v66
	s_mov_b32 s14, exec_lo
	s_delay_alu instid0(VALU_DEP_1) | instskip(NEXT) | instid1(VALU_DEP_1)
	v_lshrrev_b32_e32 v9, 24, v9
	v_add_nc_u32_e32 v9, v66, v9
	s_delay_alu instid0(VALU_DEP_1) | instskip(NEXT) | instid1(VALU_DEP_1)
	v_ashrrev_i32_e32 v69, 8, v9
	v_sub_nc_u32_e32 v68, v69, v8
	s_delay_alu instid0(VALU_DEP_1)
	v_cmpx_lt_i32_e32 0, v68
	s_cbranch_execz .LBB2_6498
; %bb.6494:                             ;   in Loop: Header=BB2_6389 Depth=3
	s_cbranch_execnz .LBB2_7388
; %bb.6495:                             ;   in Loop: Header=BB2_6389 Depth=3
	v_ashrrev_i32_e32 v9, 31, v67
	v_lshlrev_b32_e32 v8, 8, v8
	s_mov_b32 s16, 0
	ds_load_b128 v[130:133], v0
	v_lshrrev_b32_e32 v9, 27, v9
	s_delay_alu instid0(VALU_DEP_1) | instskip(SKIP_2) | instid1(VALU_DEP_1)
	v_add_nc_u32_e32 v11, v67, v9
	ds_load_b64 v[9:10], v0
	v_and_b32_e32 v11, 0xffffffe0, v11
	v_sub_nc_u32_e32 v11, v67, v11
	s_delay_alu instid0(VALU_DEP_1) | instskip(NEXT) | instid1(VALU_DEP_1)
	v_add3_u32 v13, v2, v11, v8
	v_ashrrev_i32_e32 v14, 31, v13
	s_waitcnt lgkmcnt(0)
	v_add_co_u32 v70, vcc_lo, 0xe0, v9
	v_add_co_ci_u32_e32 v71, vcc_lo, 0, v10, vcc_lo
	v_add_co_u32 v8, vcc_lo, v130, v13
	v_add_co_ci_u32_e32 v9, vcc_lo, v131, v14, vcc_lo
	;; [unrolled: 2-line block ×4, first 2 shown]
.LBB2_6496:                             ;   Parent Loop BB2_51 Depth=1
                                        ;     Parent Loop BB2_6387 Depth=2
                                        ;       Parent Loop BB2_6389 Depth=3
                                        ; =>      This Inner Loop Header: Depth=4
	s_delay_alu instid0(VALU_DEP_2) | instskip(NEXT) | instid1(VALU_DEP_2)
	v_add_co_u32 v70, vcc_lo, 0xffffff20, v13
	v_add_co_ci_u32_e32 v71, vcc_lo, -1, v14, vcc_lo
	v_add_co_u32 v130, vcc_lo, 0xffffff40, v13
	v_add_co_ci_u32_e32 v131, vcc_lo, -1, v14, vcc_lo
	;; [unrolled: 2-line block ×7, first 2 shown]
	flat_load_u8 v150, v[13:14] slc dlc
	flat_load_u8 v70, v[70:71] slc dlc
	;; [unrolled: 1-line block ×8, first 2 shown]
	v_sub_nc_u32_e32 v68, v68, v83
	v_add_co_u32 v13, vcc_lo, v13, v103
	v_add_co_ci_u32_e32 v14, vcc_lo, v14, v112, vcc_lo
	s_delay_alu instid0(VALU_DEP_3)
	v_cmp_gt_i32_e32 vcc_lo, 1, v68
	s_waitcnt vmcnt(6) lgkmcnt(6)
	flat_store_b8 v[8:9], v70 glc slc dlc
	s_waitcnt vmcnt(5) lgkmcnt(6)
	flat_store_b8 v[8:9], v71 offset:32 glc slc dlc
	s_waitcnt vmcnt(4) lgkmcnt(6)
	flat_store_b8 v[8:9], v130 offset:64 glc slc dlc
	;; [unrolled: 2-line block ×5, first 2 shown]
	s_waitcnt vmcnt(0) lgkmcnt(6)
	s_clause 0x1
	flat_store_b8 v[8:9], v134 offset:192 glc slc dlc
	flat_store_b8 v[8:9], v150 offset:224 glc slc dlc
	s_clause 0x7
	flat_store_b8 v[10:11], v70 glc slc dlc
	flat_store_b8 v[10:11], v71 offset:32 glc slc dlc
	flat_store_b8 v[10:11], v130 offset:64 glc slc dlc
	;; [unrolled: 1-line block ×7, first 2 shown]
	v_add_co_u32 v8, s13, v8, v103
	s_delay_alu instid0(VALU_DEP_1) | instskip(SKIP_1) | instid1(VALU_DEP_1)
	v_add_co_ci_u32_e64 v9, s13, v9, v112, s13
	v_add_co_u32 v10, s13, v10, v103
	v_add_co_ci_u32_e64 v11, s13, v11, v112, s13
	s_or_b32 s16, vcc_lo, s16
	s_delay_alu instid0(SALU_CYCLE_1)
	s_and_not1_b32 exec_lo, exec_lo, s16
	s_cbranch_execnz .LBB2_6496
; %bb.6497:                             ;   in Loop: Header=BB2_6389 Depth=3
	s_or_b32 exec_lo, exec_lo, s16
.LBB2_6498:                             ;   in Loop: Header=BB2_6389 Depth=3
	s_delay_alu instid0(SALU_CYCLE_1) | instskip(SKIP_2) | instid1(VALU_DEP_1)
	s_or_b32 exec_lo, exec_lo, s14
	v_lshlrev_b32_e32 v8, 8, v69
	s_mov_b32 s42, exec_lo
	v_cmpx_ne_u32_e64 v66, v8
	s_cbranch_execz .LBB2_6505
; %bb.6499:                             ;   in Loop: Header=BB2_6389 Depth=3
	v_ashrrev_i32_e32 v9, 31, v67
	v_lshlrev_b32_e32 v10, 5, v68
	s_delay_alu instid0(VALU_DEP_2) | instskip(NEXT) | instid1(VALU_DEP_1)
	v_lshrrev_b32_e32 v9, 27, v9
	v_add_nc_u32_e32 v9, v67, v9
	s_delay_alu instid0(VALU_DEP_1) | instskip(NEXT) | instid1(VALU_DEP_1)
	v_and_b32_e32 v9, 0xffffffe0, v9
	v_sub_nc_u32_e32 v9, v67, v9
	s_delay_alu instid0(VALU_DEP_1) | instskip(NEXT) | instid1(VALU_DEP_1)
	v_sub_nc_u32_e32 v9, v9, v10
	v_add_nc_u32_e32 v8, v8, v9
	s_delay_alu instid0(VALU_DEP_1) | instskip(NEXT) | instid1(VALU_DEP_1)
	v_sub_nc_u32_e32 v10, v66, v8
	v_cmp_lt_i32_e32 vcc_lo, 0, v10
	s_and_b32 exec_lo, exec_lo, vcc_lo
	s_cbranch_execz .LBB2_6505
; %bb.6500:                             ;   in Loop: Header=BB2_6389 Depth=3
	s_cbranch_execnz .LBB2_7424
; %bb.6501:                             ;   in Loop: Header=BB2_6389 Depth=3
	ds_load_b64 v[13:14], v0
	ds_load_b128 v[66:69], v0
	v_add_nc_u32_e32 v70, v8, v2
	s_mov_b32 s43, 0
	s_delay_alu instid0(VALU_DEP_1) | instskip(SKIP_2) | instid1(VALU_DEP_2)
	v_ashrrev_i32_e32 v71, 31, v70
	s_waitcnt lgkmcnt(1)
	v_add_co_u32 v8, vcc_lo, v13, v70
	v_add_co_ci_u32_e32 v9, vcc_lo, v14, v71, vcc_lo
	s_waitcnt lgkmcnt(0)
	v_add_co_u32 v2, vcc_lo, v66, v70
	v_add_co_ci_u32_e32 v11, vcc_lo, v67, v71, vcc_lo
	v_add_co_u32 v13, vcc_lo, v68, v70
	v_add_co_ci_u32_e32 v14, vcc_lo, v69, v71, vcc_lo
	s_set_inst_prefetch_distance 0x1
.LBB2_6502:                             ;   Parent Loop BB2_51 Depth=1
                                        ;     Parent Loop BB2_6387 Depth=2
                                        ;       Parent Loop BB2_6389 Depth=3
                                        ; =>      This Loop Header: Depth=4
                                        ;           Child Loop BB2_6503 Depth 5
	flat_load_u8 v66, v[8:9] slc dlc
	s_mov_b64 s[16:17], 0
	s_mov_b32 s44, -1
.LBB2_6503:                             ;   Parent Loop BB2_51 Depth=1
                                        ;     Parent Loop BB2_6387 Depth=2
                                        ;       Parent Loop BB2_6389 Depth=3
                                        ;         Parent Loop BB2_6502 Depth=4
                                        ; =>        This Inner Loop Header: Depth=5
	s_cmp_eq_u32 s16, 1
	s_cselect_b32 vcc_lo, -1, 0
	s_cmp_eq_u32 s16, 0
	v_dual_cndmask_b32 v68, v11, v14 :: v_dual_cndmask_b32 v67, v2, v13
	s_mov_b64 s[16:17], 1
	s_delay_alu instid0(VALU_DEP_1) | instskip(NEXT) | instid1(VALU_DEP_1)
	v_add_co_u32 v69, s13, v67, 32
	v_add_co_ci_u32_e64 v70, s13, 0, v68, s13
	s_cselect_b32 s13, -1, 0
	s_and_b32 s14, exec_lo, s44
	s_delay_alu instid0(VALU_DEP_1)
	v_dual_cndmask_b32 v13, v13, v69 :: v_dual_cndmask_b32 v14, v14, v70
	v_cndmask_b32_e64 v11, v11, v70, s13
	v_cndmask_b32_e64 v2, v2, v69, s13
	s_mov_b32 s44, 0
	s_mov_b32 vcc_lo, s14
	s_waitcnt vmcnt(0) lgkmcnt(0)
	flat_store_b8 v[67:68], v66 glc slc dlc
	s_cbranch_vccnz .LBB2_6503
; %bb.6504:                             ;   in Loop: Header=BB2_6502 Depth=4
	v_add_co_u32 v2, vcc_lo, v2, v102
	v_sub_nc_u32_e32 v10, v10, v99
	v_add_co_ci_u32_e32 v11, vcc_lo, v11, v113, vcc_lo
	v_add_co_u32 v13, vcc_lo, v13, v102
	v_add_co_ci_u32_e32 v14, vcc_lo, v14, v113, vcc_lo
	s_delay_alu instid0(VALU_DEP_4) | instskip(SKIP_1) | instid1(VALU_DEP_1)
	v_cmp_gt_i32_e32 vcc_lo, 1, v10
	v_add_co_u32 v8, s13, v114, v8
	v_add_co_ci_u32_e64 v9, s13, v115, v9, s13
	s_or_b32 s43, vcc_lo, s43
	s_delay_alu instid0(SALU_CYCLE_1)
	s_and_not1_b32 exec_lo, exec_lo, s43
	s_cbranch_execnz .LBB2_6502
.LBB2_6505:                             ;   in Loop: Header=BB2_6389 Depth=3
	s_set_inst_prefetch_distance 0x2
	s_or_b32 exec_lo, exec_lo, s42
.LBB2_6506:                             ;   in Loop: Header=BB2_6389 Depth=3
	s_delay_alu instid0(SALU_CYCLE_1)
	s_or_b32 exec_lo, exec_lo, s15
	s_mov_b32 s13, 0
	s_branch .LBB2_6508
.LBB2_6507:                             ;   in Loop: Header=BB2_6389 Depth=3
	s_mov_b32 s13, -1
.LBB2_6508:                             ;   in Loop: Header=BB2_6389 Depth=3
	s_delay_alu instid0(SALU_CYCLE_1)
	s_and_b32 vcc_lo, exec_lo, s13
	s_cbranch_vccz .LBB2_6542
; %bb.6509:                             ;   in Loop: Header=BB2_6389 Depth=3
	s_mov_b32 s13, -1
	s_and_saveexec_b32 s14, s6
	s_cbranch_execz .LBB2_6511
; %bb.6510:                             ;   in Loop: Header=BB2_6389 Depth=3
	ds_load_b32 v2, v0 offset:720
	s_waitcnt lgkmcnt(0)
	v_and_b32_e32 v2, 15, v2
	s_delay_alu instid0(VALU_DEP_1)
	v_cmp_eq_u32_e32 vcc_lo, 0, v2
	s_or_not1_b32 s13, vcc_lo, exec_lo
.LBB2_6511:                             ;   in Loop: Header=BB2_6389 Depth=3
	s_or_b32 exec_lo, exec_lo, s14
	s_and_saveexec_b32 s14, s5
	s_cbranch_execz .LBB2_6513
; %bb.6512:                             ;   in Loop: Header=BB2_6389 Depth=3
	ds_load_b32 v2, v0 offset:784
	s_waitcnt lgkmcnt(0)
	v_and_b32_e32 v2, 15, v2
	s_delay_alu instid0(VALU_DEP_1) | instskip(SKIP_3) | instid1(SALU_CYCLE_1)
	v_cmp_eq_u32_e32 vcc_lo, 0, v2
	s_and_b32 s15, s13, vcc_lo
	s_and_not1_b32 s13, s13, exec_lo
	s_and_b32 s15, s15, exec_lo
	s_or_b32 s13, s13, s15
.LBB2_6513:                             ;   in Loop: Header=BB2_6389 Depth=3
	s_or_b32 exec_lo, exec_lo, s14
	s_xor_b32 s13, s13, -1
	v_mov_b32_e32 v14, v0
	v_cndmask_b32_e64 v2, 0, 1, s13
	;;#ASMSTART
	;;#ASMEND
	s_delay_alu instid0(VALU_DEP_1)
	v_cmp_ne_u32_e32 vcc_lo, 0, v2
	v_dual_mov_b32 v2, 0 :: v_dual_mov_b32 v13, v65
	v_mov_b32_e32 v68, v84
	s_mov_b32 s13, -1
	s_cbranch_vccnz .LBB2_6529
; %bb.6514:                             ;   in Loop: Header=BB2_6389 Depth=3
	v_ashrrev_i32_e32 v2, 31, v65
	s_mov_b32 s14, exec_lo
	s_delay_alu instid0(VALU_DEP_1) | instskip(NEXT) | instid1(VALU_DEP_1)
	v_lshrrev_b32_e32 v2, 22, v2
	v_add_nc_u32_e32 v2, v65, v2
	s_delay_alu instid0(VALU_DEP_1) | instskip(SKIP_1) | instid1(VALU_DEP_1)
	v_ashrrev_i32_e32 v2, 10, v2
	s_waitcnt vmcnt(0)
	v_sub_nc_u32_e32 v66, v2, v84
	s_delay_alu instid0(VALU_DEP_1)
	v_cmpx_lt_i32_e32 0, v66
	s_cbranch_execz .LBB2_6519
; %bb.6515:                             ;   in Loop: Header=BB2_6389 Depth=3
	s_cbranch_execnz .LBB2_7408
; %bb.6516:                             ;   in Loop: Header=BB2_6389 Depth=3
	ds_load_b64 v[8:9], v0
	v_dual_mov_b32 v10, v38 :: v_dual_mov_b32 v11, v39
	s_mov_b32 s15, 0
.LBB2_6517:                             ;   Parent Loop BB2_51 Depth=1
                                        ;     Parent Loop BB2_6387 Depth=2
                                        ;       Parent Loop BB2_6389 Depth=3
                                        ; =>      This Inner Loop Header: Depth=4
	s_waitcnt lgkmcnt(0)
	s_delay_alu instid0(VALU_DEP_1) | instskip(NEXT) | instid1(VALU_DEP_2)
	v_add_co_u32 v13, vcc_lo, v8, v10
	v_add_co_ci_u32_e32 v14, vcc_lo, v9, v11, vcc_lo
	v_sub_nc_u32_e32 v66, v66, v83
	v_add_co_u32 v10, s13, v10, v96
	s_clause 0x1
	global_load_b128 v[67:70], v[13:14], off slc dlc
	global_load_b128 v[130:133], v[13:14], off offset:512 slc dlc
	v_add_co_ci_u32_e64 v11, s13, v11, v97, s13
	v_cmp_gt_i32_e32 vcc_lo, 1, v66
	s_waitcnt vmcnt(1)
	global_store_b128 v[13:14], v[67:70], off glc slc dlc
	s_waitcnt vmcnt(0)
	global_store_b128 v[13:14], v[130:133], off offset:512 glc slc dlc
	s_or_b32 s15, vcc_lo, s15
	s_delay_alu instid0(SALU_CYCLE_1)
	s_and_not1_b32 exec_lo, exec_lo, s15
	s_cbranch_execnz .LBB2_6517
; %bb.6518:                             ;   in Loop: Header=BB2_6389 Depth=3
	s_or_b32 exec_lo, exec_lo, s15
.LBB2_6519:                             ;   in Loop: Header=BB2_6389 Depth=3
	s_delay_alu instid0(SALU_CYCLE_1) | instskip(SKIP_4) | instid1(VALU_DEP_2)
	s_or_b32 exec_lo, exec_lo, s14
	v_lshlrev_b32_e32 v10, 10, v2
	v_mov_b32_e32 v2, 0
	s_mov_b32 s13, 0
	s_mov_b32 s15, exec_lo
                                        ; implicit-def: $vgpr13
                                        ; implicit-def: $vgpr14
                                        ; implicit-def: $vgpr68
	v_cmpx_ne_u32_e64 v65, v10
	s_cbranch_execz .LBB2_6528
; %bb.6520:                             ;   in Loop: Header=BB2_6389 Depth=3
	v_lshlrev_b32_e32 v2, 5, v66
	v_sub_nc_u32_e32 v9, v65, v10
	s_mov_b32 s16, exec_lo
	s_delay_alu instid0(VALU_DEP_2) | instskip(NEXT) | instid1(VALU_DEP_2)
	v_sub_nc_u32_e32 v2, v85, v2
	v_ashrrev_i32_e32 v11, 31, v9
	s_delay_alu instid0(VALU_DEP_2) | instskip(NEXT) | instid1(VALU_DEP_2)
	v_ashrrev_i32_e32 v8, 31, v2
	v_lshrrev_b32_e32 v11, 23, v11
	s_delay_alu instid0(VALU_DEP_2) | instskip(NEXT) | instid1(VALU_DEP_2)
	v_lshrrev_b32_e32 v8, 27, v8
	v_add_nc_u32_e32 v14, v9, v11
	s_delay_alu instid0(VALU_DEP_2) | instskip(NEXT) | instid1(VALU_DEP_2)
	v_add_nc_u32_e32 v8, v2, v8
	v_and_b32_e32 v11, 0xfffffe00, v14
	v_ashrrev_i32_e32 v14, 9, v14
	s_delay_alu instid0(VALU_DEP_3) | instskip(NEXT) | instid1(VALU_DEP_3)
	v_and_b32_e32 v13, 0xffffffe0, v8
	v_sub_nc_u32_e32 v67, v9, v11
	v_ashrrev_i32_e32 v8, 5, v8
	s_delay_alu instid0(VALU_DEP_3) | instskip(NEXT) | instid1(VALU_DEP_3)
	v_sub_nc_u32_e32 v66, v2, v13
	v_cmp_lt_i32_e32 vcc_lo, 15, v67
	s_delay_alu instid0(VALU_DEP_2) | instskip(SKIP_1) | instid1(VALU_DEP_2)
	v_lshlrev_b32_e32 v2, 4, v66
	v_add_co_ci_u32_e64 v14, s13, 0, v14, vcc_lo
	v_lshl_add_u32 v13, v8, 9, v2
	s_delay_alu instid0(VALU_DEP_2) | instskip(NEXT) | instid1(VALU_DEP_2)
	v_sub_nc_u32_e32 v69, v14, v8
	v_sub_nc_u32_e32 v2, v9, v13
	s_delay_alu instid0(VALU_DEP_1)
	v_cmpx_lt_i32_e32 15, v2
	s_cbranch_execz .LBB2_6525
; %bb.6521:                             ;   in Loop: Header=BB2_6389 Depth=3
	s_cbranch_execnz .LBB2_7438
; %bb.6522:                             ;   in Loop: Header=BB2_6389 Depth=3
	ds_load_b64 v[8:9], v0
	v_add_nc_u32_e32 v13, v13, v10
	s_mov_b32 s17, 0
	s_delay_alu instid0(VALU_DEP_1)
	v_ashrrev_i32_e32 v14, 31, v13
.LBB2_6523:                             ;   Parent Loop BB2_51 Depth=1
                                        ;     Parent Loop BB2_6387 Depth=2
                                        ;       Parent Loop BB2_6389 Depth=3
                                        ; =>      This Inner Loop Header: Depth=4
	s_waitcnt lgkmcnt(0)
	v_add_co_u32 v70, s13, v8, v13
	s_delay_alu instid0(VALU_DEP_1)
	v_add_co_ci_u32_e64 v71, s13, v9, v14, s13
	v_sub_nc_u32_e32 v2, v2, v86
	v_add_co_u32 v13, s14, v13, v100
	global_load_b128 v[130:133], v[70:71], off slc dlc
	v_sub_nc_u32_e32 v69, v69, v83
	v_cmp_gt_i32_e64 s13, 16, v2
	v_add_co_ci_u32_e64 v14, s14, v14, v101, s14
	s_delay_alu instid0(VALU_DEP_2)
	s_or_b32 s17, s13, s17
	s_waitcnt vmcnt(0)
	global_store_b128 v[70:71], v[130:133], off glc slc dlc
	s_and_not1_b32 exec_lo, exec_lo, s17
	s_cbranch_execnz .LBB2_6523
; %bb.6524:                             ;   in Loop: Header=BB2_6389 Depth=3
	s_or_b32 exec_lo, exec_lo, s17
.LBB2_6525:                             ;   in Loop: Header=BB2_6389 Depth=3
	s_delay_alu instid0(SALU_CYCLE_1) | instskip(SKIP_3) | instid1(VALU_DEP_1)
	s_or_b32 exec_lo, exec_lo, s16
	v_and_b32_e32 v8, 15, v65
	s_mov_b32 s14, 0
	s_mov_b32 s16, exec_lo
                                        ; implicit-def: $vgpr14
                                        ; implicit-def: $vgpr68
	v_dual_mov_b32 v2, 0 :: v_dual_cndmask_b32 v13, v67, v8
	s_delay_alu instid0(VALU_DEP_1)
	v_cmpx_ne_u32_e32 0, v13
; %bb.6526:                             ;   in Loop: Header=BB2_6389 Depth=3
	v_cmp_lt_i32_e64 s13, 0, v69
	v_sub_nc_u32_e32 v8, v67, v8
	s_mov_b32 s14, exec_lo
	s_delay_alu instid0(VALU_DEP_2) | instskip(NEXT) | instid1(VALU_DEP_1)
	v_cndmask_b32_e64 v2, 0, v83, s13
	v_sub_nc_u32_e32 v2, v2, v69
	s_delay_alu instid0(VALU_DEP_1) | instskip(NEXT) | instid1(VALU_DEP_1)
	v_lshl_add_u32 v14, v2, 5, v66
	v_ashrrev_i32_e32 v2, 31, v14
	s_delay_alu instid0(VALU_DEP_1) | instskip(NEXT) | instid1(VALU_DEP_1)
	v_lshrrev_b32_e32 v2, 27, v2
	v_dual_cndmask_b32 v8, 0, v8 :: v_dual_add_nc_u32 v9, v14, v2
	s_delay_alu instid0(VALU_DEP_1) | instskip(NEXT) | instid1(VALU_DEP_2)
	v_add3_u32 v2, v11, v10, v8
	v_ashrrev_i32_e32 v68, 5, v9
; %bb.6527:                             ;   in Loop: Header=BB2_6389 Depth=3
	s_or_b32 exec_lo, exec_lo, s16
	s_delay_alu instid0(SALU_CYCLE_1)
	s_and_b32 s13, s14, exec_lo
.LBB2_6528:                             ;   in Loop: Header=BB2_6389 Depth=3
	s_or_b32 exec_lo, exec_lo, s15
.LBB2_6529:                             ;   in Loop: Header=BB2_6389 Depth=3
	s_and_saveexec_b32 s14, s13
	s_cbranch_execz .LBB2_6541
; %bb.6530:                             ;   in Loop: Header=BB2_6389 Depth=3
	v_ashrrev_i32_e32 v8, 31, v13
	s_mov_b32 s13, exec_lo
	s_delay_alu instid0(VALU_DEP_1) | instskip(NEXT) | instid1(VALU_DEP_1)
	v_lshrrev_b32_e32 v8, 24, v8
	v_add_nc_u32_e32 v8, v13, v8
	s_delay_alu instid0(VALU_DEP_1) | instskip(SKIP_1) | instid1(VALU_DEP_1)
	v_ashrrev_i32_e32 v67, 8, v8
	s_waitcnt vmcnt(0)
	v_sub_nc_u32_e32 v66, v67, v68
	s_delay_alu instid0(VALU_DEP_1)
	v_cmpx_lt_i32_e32 0, v66
	s_cbranch_execz .LBB2_6535
; %bb.6531:                             ;   in Loop: Header=BB2_6389 Depth=3
	s_cbranch_execnz .LBB2_7396
; %bb.6532:                             ;   in Loop: Header=BB2_6389 Depth=3
	v_ashrrev_i32_e32 v8, 31, v14
	s_mov_b32 s15, 0
	s_delay_alu instid0(VALU_DEP_1) | instskip(NEXT) | instid1(VALU_DEP_1)
	v_lshrrev_b32_e32 v8, 27, v8
	v_add_nc_u32_e32 v10, v14, v8
	ds_load_b64 v[8:9], v0
	v_lshlrev_b32_e32 v11, 8, v68
	v_and_b32_e32 v10, 0xffffffe0, v10
	s_delay_alu instid0(VALU_DEP_1) | instskip(NEXT) | instid1(VALU_DEP_1)
	v_sub_nc_u32_e32 v10, v14, v10
	v_add3_u32 v68, v2, v10, v11
	s_delay_alu instid0(VALU_DEP_1)
	v_ashrrev_i32_e32 v69, 31, v68
	s_waitcnt lgkmcnt(0)
	v_dual_mov_b32 v11, v9 :: v_dual_mov_b32 v10, v8
.LBB2_6533:                             ;   Parent Loop BB2_51 Depth=1
                                        ;     Parent Loop BB2_6387 Depth=2
                                        ;       Parent Loop BB2_6389 Depth=3
                                        ; =>      This Inner Loop Header: Depth=4
	s_delay_alu instid0(VALU_DEP_1) | instskip(NEXT) | instid1(VALU_DEP_2)
	v_add_co_u32 v70, vcc_lo, v68, v10
	v_add_co_ci_u32_e32 v71, vcc_lo, v69, v11, vcc_lo
	v_sub_nc_u32_e32 v66, v66, v83
	s_clause 0x7
	flat_load_u8 v130, v[70:71] slc dlc
	flat_load_u8 v131, v[70:71] offset:32 slc dlc
	flat_load_u8 v132, v[70:71] offset:64 slc dlc
	;; [unrolled: 1-line block ×7, first 2 shown]
	v_add_co_u32 v70, vcc_lo, v68, v8
	v_add_co_ci_u32_e32 v71, vcc_lo, v69, v9, vcc_lo
	v_add_co_u32 v10, vcc_lo, v10, v103
	v_add_co_ci_u32_e32 v11, vcc_lo, v11, v112, vcc_lo
	;; [unrolled: 2-line block ×3, first 2 shown]
	v_cmp_gt_i32_e32 vcc_lo, 1, v66
	s_waitcnt vmcnt(7) lgkmcnt(7)
	flat_store_b8 v[70:71], v130 glc slc dlc
	s_waitcnt vmcnt(6) lgkmcnt(7)
	flat_store_b8 v[70:71], v131 offset:32 glc slc dlc
	s_waitcnt vmcnt(5) lgkmcnt(7)
	flat_store_b8 v[70:71], v132 offset:64 glc slc dlc
	;; [unrolled: 2-line block ×7, first 2 shown]
	s_or_b32 s15, vcc_lo, s15
	s_delay_alu instid0(SALU_CYCLE_1)
	s_and_not1_b32 exec_lo, exec_lo, s15
	s_cbranch_execnz .LBB2_6533
; %bb.6534:                             ;   in Loop: Header=BB2_6389 Depth=3
	s_or_b32 exec_lo, exec_lo, s15
.LBB2_6535:                             ;   in Loop: Header=BB2_6389 Depth=3
	s_delay_alu instid0(SALU_CYCLE_1) | instskip(SKIP_2) | instid1(VALU_DEP_1)
	s_or_b32 exec_lo, exec_lo, s13
	v_lshlrev_b32_e32 v8, 8, v67
	s_mov_b32 s15, exec_lo
	v_cmpx_ne_u32_e64 v13, v8
	s_cbranch_execz .LBB2_6540
; %bb.6536:                             ;   in Loop: Header=BB2_6389 Depth=3
	v_ashrrev_i32_e32 v9, 31, v14
	v_lshlrev_b32_e32 v10, 5, v66
	s_delay_alu instid0(VALU_DEP_2) | instskip(NEXT) | instid1(VALU_DEP_1)
	v_lshrrev_b32_e32 v9, 27, v9
	v_add_nc_u32_e32 v9, v14, v9
	s_delay_alu instid0(VALU_DEP_1) | instskip(NEXT) | instid1(VALU_DEP_1)
	v_and_b32_e32 v9, 0xffffffe0, v9
	v_sub_nc_u32_e32 v9, v14, v9
	s_delay_alu instid0(VALU_DEP_1) | instskip(NEXT) | instid1(VALU_DEP_1)
	v_sub_nc_u32_e32 v9, v9, v10
	v_add_nc_u32_e32 v11, v8, v9
	s_delay_alu instid0(VALU_DEP_1) | instskip(NEXT) | instid1(VALU_DEP_1)
	v_sub_nc_u32_e32 v10, v13, v11
	v_cmp_lt_i32_e32 vcc_lo, 0, v10
	s_and_b32 exec_lo, exec_lo, vcc_lo
	s_cbranch_execz .LBB2_6540
; %bb.6537:                             ;   in Loop: Header=BB2_6389 Depth=3
	s_cbranch_execnz .LBB2_7434
; %bb.6538:                             ;   in Loop: Header=BB2_6389 Depth=3
	ds_load_b64 v[8:9], v0
	v_add_nc_u32_e32 v2, v11, v2
	s_mov_b32 s16, 0
	s_delay_alu instid0(VALU_DEP_1)
	v_ashrrev_i32_e32 v11, 31, v2
.LBB2_6539:                             ;   Parent Loop BB2_51 Depth=1
                                        ;     Parent Loop BB2_6387 Depth=2
                                        ;       Parent Loop BB2_6389 Depth=3
                                        ; =>      This Inner Loop Header: Depth=4
	s_waitcnt lgkmcnt(0)
	v_add_co_u32 v13, vcc_lo, v8, v2
	s_delay_alu instid0(VALU_DEP_2)
	v_add_co_ci_u32_e32 v14, vcc_lo, v9, v11, vcc_lo
	v_sub_nc_u32_e32 v10, v10, v99
	v_add_co_u32 v2, s13, v2, v114
	flat_load_u8 v66, v[13:14] slc dlc
	v_add_co_ci_u32_e64 v11, s13, v11, v115, s13
	v_cmp_gt_i32_e32 vcc_lo, 1, v10
	s_or_b32 s16, vcc_lo, s16
	s_waitcnt vmcnt(0) lgkmcnt(0)
	flat_store_b8 v[13:14], v66 glc slc dlc
	s_and_not1_b32 exec_lo, exec_lo, s16
	s_cbranch_execnz .LBB2_6539
.LBB2_6540:                             ;   in Loop: Header=BB2_6389 Depth=3
	s_or_b32 exec_lo, exec_lo, s15
.LBB2_6541:                             ;   in Loop: Header=BB2_6389 Depth=3
	s_delay_alu instid0(SALU_CYCLE_1)
	s_or_b32 exec_lo, exec_lo, s14
.LBB2_6542:                             ;   in Loop: Header=BB2_6389 Depth=3
	s_and_saveexec_b32 s13, s3
	s_cbranch_execz .LBB2_6564
; %bb.6543:                             ;   in Loop: Header=BB2_6389 Depth=3
	s_and_saveexec_b32 s14, s4
	s_delay_alu instid0(SALU_CYCLE_1)
	s_xor_b32 s14, exec_lo, s14
	s_cbranch_execz .LBB2_6561
; %bb.6544:                             ;   in Loop: Header=BB2_6389 Depth=3
	s_and_saveexec_b32 s15, s1
	s_cbranch_execz .LBB2_6560
; %bb.6545:                             ;   in Loop: Header=BB2_6389 Depth=3
	s_mov_b32 s17, exec_lo
	s_mov_b32 s16, exec_lo
	v_mbcnt_lo_u32_b32 v2, s17, 0
	s_waitcnt vmcnt(0) lgkmcnt(0)
	s_waitcnt_vscnt null, 0x0
	buffer_gl1_inv
	buffer_gl0_inv
	v_cmpx_eq_u32_e32 0, v2
	s_cbranch_execz .LBB2_6547
; %bb.6546:                             ;   in Loop: Header=BB2_6389 Depth=3
	s_bcnt1_i32_b32 s17, s17
	s_delay_alu instid0(SALU_CYCLE_1)
	v_mov_b32_e32 v2, s17
	ds_add_u64 v0, v[2:3]
	s_cbranch_execnz .LBB2_7382
.LBB2_6547:                             ;   in Loop: Header=BB2_6389 Depth=3
	s_or_b32 exec_lo, exec_lo, s16
	s_cbranch_execnz .LBB2_7360
; %bb.6548:                             ;   in Loop: Header=BB2_6389 Depth=3
	ds_load_b64 v[8:9], v0
	v_add_co_u32 v32, vcc_lo, v32, v83
	v_add_co_ci_u32_e32 v33, vcc_lo, 0, v33, vcc_lo
	s_mov_b32 s16, exec_lo
	s_waitcnt lgkmcnt(0)
	s_delay_alu instid0(VALU_DEP_1)
	v_cmpx_lt_u64_e64 v[8:9], v[32:33]
	s_cbranch_execz .LBB2_6559
; %bb.6549:                             ;   in Loop: Header=BB2_6389 Depth=3
	s_mov_b32 s17, 0
	s_mov_b32 s44, 0
                                        ; implicit-def: $sgpr42
                                        ; implicit-def: $sgpr43
	s_branch .LBB2_6551
.LBB2_6550:                             ;   in Loop: Header=BB2_6551 Depth=4
	s_or_b32 exec_lo, exec_lo, s46
	s_delay_alu instid0(SALU_CYCLE_1) | instskip(NEXT) | instid1(SALU_CYCLE_1)
	s_and_b32 vcc_lo, exec_lo, vcc_lo
	s_or_b32 s17, vcc_lo, s17
	s_and_not1_b32 vcc_lo, s42, exec_lo
	s_and_b32 s42, s43, exec_lo
	s_delay_alu instid0(SALU_CYCLE_1)
	s_or_b32 s42, vcc_lo, s42
	s_and_not1_b32 exec_lo, exec_lo, s17
	s_cbranch_execz .LBB2_6557
.LBB2_6551:                             ;   Parent Loop BB2_51 Depth=1
                                        ;     Parent Loop BB2_6387 Depth=2
                                        ;       Parent Loop BB2_6389 Depth=3
                                        ; =>      This Inner Loop Header: Depth=4
	s_add_i32 s44, s44, 1
                                        ; implicit-def: $sgpr46
	s_delay_alu instid0(SALU_CYCLE_1) | instskip(SKIP_1) | instid1(SALU_CYCLE_1)
	s_cmpk_lg_i32 s44, 0x2710
	s_cselect_b32 s45, -1, 0
	s_and_b32 vcc_lo, exec_lo, s45
	s_cbranch_vccnz .LBB2_6554
; %bb.6552:                             ;   in Loop: Header=BB2_6551 Depth=4
	s_cbranch_execnz .LBB2_7422
; %bb.6553:                             ;   in Loop: Header=BB2_6551 Depth=4
	ds_load_b64 v[8:9], v0
	s_and_not1_b32 s45, s45, exec_lo
	s_mov_b32 s44, 0
	s_mov_b32 s46, -1
	s_waitcnt lgkmcnt(0)
	flat_load_b32 v2, v[8:9] glc
	s_waitcnt vmcnt(0) lgkmcnt(0)
	buffer_gl1_inv
	buffer_gl0_inv
	v_cmp_eq_u32_e32 vcc_lo, 0, v2
	s_and_b32 vcc_lo, vcc_lo, exec_lo
	s_delay_alu instid0(SALU_CYCLE_1)
	s_or_b32 s45, s45, vcc_lo
.LBB2_6554:                             ;   in Loop: Header=BB2_6551 Depth=4
	s_and_not1_b32 s43, s43, exec_lo
	s_and_b32 s46, s46, exec_lo
	s_mov_b32 vcc_lo, -1
	s_or_b32 s43, s43, s46
	s_and_saveexec_b32 s46, s45
	s_cbranch_execz .LBB2_6550
; %bb.6555:                             ;   in Loop: Header=BB2_6551 Depth=4
	s_sleep 1
	s_cbranch_execnz .LBB2_7414
; %bb.6556:                             ;   in Loop: Header=BB2_6551 Depth=4
	ds_load_b64 v[8:9], v0
	s_and_not1_b32 s43, s43, exec_lo
	s_waitcnt lgkmcnt(0)
	v_cmp_ge_u64_e32 vcc_lo, v[8:9], v[32:33]
	s_or_not1_b32 vcc_lo, vcc_lo, exec_lo
	s_branch .LBB2_6550
.LBB2_6557:                             ;   in Loop: Header=BB2_6389 Depth=3
	s_or_b32 exec_lo, exec_lo, s17
	s_and_saveexec_b32 s17, s42
	s_delay_alu instid0(SALU_CYCLE_1)
	s_xor_b32 s17, exec_lo, s17
	s_cbranch_execz .LBB2_6559
; %bb.6558:                             ;   in Loop: Header=BB2_6389 Depth=3
	ds_store_b32 v0, v119
	s_cbranch_execnz .LBB2_7468
.LBB2_6559:                             ;   in Loop: Header=BB2_6389 Depth=3
	s_or_b32 exec_lo, exec_lo, s16
	;;#ASMSTART
	s_wakeup
	;;#ASMEND
.LBB2_6560:                             ;   in Loop: Header=BB2_6389 Depth=3
	s_or_b32 exec_lo, exec_lo, s15
.LBB2_6561:                             ;   in Loop: Header=BB2_6389 Depth=3
	s_and_not1_saveexec_b32 s14, s14
	s_cbranch_execz .LBB2_6563
; %bb.6562:                             ;   in Loop: Header=BB2_6389 Depth=3
	s_waitcnt vmcnt(0) lgkmcnt(0)
	s_waitcnt_vscnt null, 0x0
	buffer_gl1_inv
	buffer_gl0_inv
	s_barrier
.LBB2_6563:                             ;   in Loop: Header=BB2_6389 Depth=3
	s_or_b32 exec_lo, exec_lo, s14
.LBB2_6564:                             ;   in Loop: Header=BB2_6389 Depth=3
	s_delay_alu instid0(SALU_CYCLE_1) | instskip(SKIP_1) | instid1(SALU_CYCLE_1)
	s_or_b32 exec_lo, exec_lo, s13
                                        ; implicit-def: $vgpr2
	s_and_saveexec_b32 s13, s7
	s_xor_b32 s14, exec_lo, s13
	s_cbranch_execz .LBB2_6568
; %bb.6565:                             ;   in Loop: Header=BB2_6389 Depth=3
	v_and_b32_e32 v2, 16, v30
	v_cmp_lt_i32_e32 vcc_lo, 0, v65
	s_delay_alu instid0(VALU_DEP_2) | instskip(SKIP_1) | instid1(VALU_DEP_2)
	v_cmp_ne_u32_e64 s13, 0, v2
	v_and_b32_e32 v2, 16, v30
	s_and_b32 s15, s13, vcc_lo
	s_delay_alu instid0(SALU_CYCLE_1)
	s_and_saveexec_b32 s13, s15
	s_cbranch_execz .LBB2_6567
; %bb.6566:                             ;   in Loop: Header=BB2_6389 Depth=3
	v_mov_b32_e32 v2, 1
	s_waitcnt vmcnt(0) lgkmcnt(0)
	s_waitcnt_vscnt null, 0x0
	buffer_gl1_inv
	buffer_gl0_inv
.LBB2_6567:                             ;   in Loop: Header=BB2_6389 Depth=3
	s_or_b32 exec_lo, exec_lo, s13
.LBB2_6568:                             ;   in Loop: Header=BB2_6389 Depth=3
	s_and_not1_saveexec_b32 s13, s14
	s_cbranch_execz .LBB2_6590
; %bb.6569:                             ;   in Loop: Header=BB2_6389 Depth=3
	s_and_saveexec_b32 s14, s4
	s_delay_alu instid0(SALU_CYCLE_1)
	s_xor_b32 s14, exec_lo, s14
	s_cbranch_execz .LBB2_6587
; %bb.6570:                             ;   in Loop: Header=BB2_6389 Depth=3
	s_and_saveexec_b32 s15, s1
	s_cbranch_execz .LBB2_6586
; %bb.6571:                             ;   in Loop: Header=BB2_6389 Depth=3
	s_mov_b32 s17, exec_lo
	s_mov_b32 s16, exec_lo
	v_mbcnt_lo_u32_b32 v2, s17, 0
	;;#ASMSTART
	s_waitcnt lgkmcnt(0) vmcnt(0)
	;;#ASMEND
	s_delay_alu instid0(VALU_DEP_1)
	v_cmpx_eq_u32_e32 0, v2
	s_cbranch_execz .LBB2_6573
; %bb.6572:                             ;   in Loop: Header=BB2_6389 Depth=3
	s_bcnt1_i32_b32 s17, s17
	s_delay_alu instid0(SALU_CYCLE_1)
	v_mov_b32_e32 v2, s17
	ds_add_u64 v0, v[2:3]
	s_cbranch_execnz .LBB2_7384
.LBB2_6573:                             ;   in Loop: Header=BB2_6389 Depth=3
	s_or_b32 exec_lo, exec_lo, s16
	s_cbranch_execnz .LBB2_7364
; %bb.6574:                             ;   in Loop: Header=BB2_6389 Depth=3
	ds_load_b64 v[8:9], v0
	v_add_co_u32 v32, vcc_lo, v32, v83
	v_add_co_ci_u32_e32 v33, vcc_lo, 0, v33, vcc_lo
	s_mov_b32 s16, exec_lo
	s_waitcnt lgkmcnt(0)
	s_delay_alu instid0(VALU_DEP_1)
	v_cmpx_lt_u64_e64 v[8:9], v[32:33]
	s_cbranch_execz .LBB2_6585
; %bb.6575:                             ;   in Loop: Header=BB2_6389 Depth=3
	s_mov_b32 s17, 0
	s_mov_b32 s44, 0
                                        ; implicit-def: $sgpr42
                                        ; implicit-def: $sgpr43
	s_branch .LBB2_6577
.LBB2_6576:                             ;   in Loop: Header=BB2_6577 Depth=4
	s_or_b32 exec_lo, exec_lo, s46
	s_delay_alu instid0(SALU_CYCLE_1) | instskip(NEXT) | instid1(SALU_CYCLE_1)
	s_and_b32 vcc_lo, exec_lo, vcc_lo
	s_or_b32 s17, vcc_lo, s17
	s_and_not1_b32 vcc_lo, s42, exec_lo
	s_and_b32 s42, s43, exec_lo
	s_delay_alu instid0(SALU_CYCLE_1)
	s_or_b32 s42, vcc_lo, s42
	s_and_not1_b32 exec_lo, exec_lo, s17
	s_cbranch_execz .LBB2_6583
.LBB2_6577:                             ;   Parent Loop BB2_51 Depth=1
                                        ;     Parent Loop BB2_6387 Depth=2
                                        ;       Parent Loop BB2_6389 Depth=3
                                        ; =>      This Inner Loop Header: Depth=4
	s_add_i32 s44, s44, 1
                                        ; implicit-def: $sgpr46
	s_delay_alu instid0(SALU_CYCLE_1) | instskip(SKIP_1) | instid1(SALU_CYCLE_1)
	s_cmpk_lg_i32 s44, 0x2710
	s_cselect_b32 s45, -1, 0
	s_and_b32 vcc_lo, exec_lo, s45
	s_cbranch_vccz .LBB2_6581
.LBB2_6578:                             ;   in Loop: Header=BB2_6577 Depth=4
	s_and_not1_b32 s43, s43, exec_lo
	s_and_b32 s46, s46, exec_lo
	s_mov_b32 vcc_lo, -1
	s_or_b32 s43, s43, s46
	s_and_saveexec_b32 s46, s45
	s_cbranch_execz .LBB2_6576
; %bb.6579:                             ;   in Loop: Header=BB2_6577 Depth=4
	s_sleep 1
	s_cbranch_execnz .LBB2_7420
; %bb.6580:                             ;   in Loop: Header=BB2_6577 Depth=4
	ds_load_b64 v[8:9], v0
	s_and_not1_b32 s43, s43, exec_lo
	s_waitcnt lgkmcnt(0)
	v_cmp_ge_u64_e32 vcc_lo, v[8:9], v[32:33]
	s_or_not1_b32 vcc_lo, vcc_lo, exec_lo
	s_branch .LBB2_6576
.LBB2_6581:                             ;   in Loop: Header=BB2_6577 Depth=4
	s_cbranch_execnz .LBB2_7426
; %bb.6582:                             ;   in Loop: Header=BB2_6577 Depth=4
	ds_load_b64 v[8:9], v0
	s_and_not1_b32 s45, s45, exec_lo
	s_mov_b32 s44, 0
	s_mov_b32 s46, -1
	s_waitcnt vmcnt(0) lgkmcnt(0)
	s_waitcnt_vscnt null, 0x0
	flat_load_b32 v2, v[8:9] glc
	s_waitcnt vmcnt(0) lgkmcnt(0)
	buffer_gl1_inv
	buffer_gl0_inv
	v_cmp_eq_u32_e32 vcc_lo, 0, v2
	s_and_b32 vcc_lo, vcc_lo, exec_lo
	s_delay_alu instid0(SALU_CYCLE_1)
	s_or_b32 s45, s45, vcc_lo
	s_branch .LBB2_6578
.LBB2_6583:                             ;   in Loop: Header=BB2_6389 Depth=3
	s_or_b32 exec_lo, exec_lo, s17
	s_and_saveexec_b32 s17, s42
	s_delay_alu instid0(SALU_CYCLE_1)
	s_xor_b32 s17, exec_lo, s17
	s_cbranch_execz .LBB2_6585
; %bb.6584:                             ;   in Loop: Header=BB2_6389 Depth=3
	ds_store_b32 v0, v119
	s_cbranch_execnz .LBB2_7470
.LBB2_6585:                             ;   in Loop: Header=BB2_6389 Depth=3
	s_or_b32 exec_lo, exec_lo, s16
	;;#ASMSTART
	s_wakeup
	;;#ASMEND
.LBB2_6586:                             ;   in Loop: Header=BB2_6389 Depth=3
	s_or_b32 exec_lo, exec_lo, s15
.LBB2_6587:                             ;   in Loop: Header=BB2_6389 Depth=3
	s_and_not1_saveexec_b32 s14, s14
	s_cbranch_execz .LBB2_6589
; %bb.6588:                             ;   in Loop: Header=BB2_6389 Depth=3
	;;#ASMSTART
	s_waitcnt lgkmcnt(0) vmcnt(0)
	;;#ASMEND
	s_waitcnt vmcnt(0) lgkmcnt(0)
	s_waitcnt_vscnt null, 0x0
	s_barrier
.LBB2_6589:                             ;   in Loop: Header=BB2_6389 Depth=3
	s_or_b32 exec_lo, exec_lo, s14
	v_and_b32_e32 v2, 16, v30
.LBB2_6590:                             ;   in Loop: Header=BB2_6389 Depth=3
	s_or_b32 exec_lo, exec_lo, s13
	s_delay_alu instid0(VALU_DEP_1) | instskip(SKIP_1) | instid1(SALU_CYCLE_1)
	v_cmp_ne_u32_e32 vcc_lo, 0, v2
	s_xor_b32 s13, s10, -1
	s_and_b32 s14, vcc_lo, s13
	s_delay_alu instid0(SALU_CYCLE_1)
	s_and_saveexec_b32 s13, s14
	s_cbranch_execz .LBB2_6592
; %bb.6591:                             ;   in Loop: Header=BB2_6389 Depth=3
	s_waitcnt vmcnt(0) lgkmcnt(0)
	s_waitcnt_vscnt null, 0x0
	flat_store_b32 v[28:29], v119
.LBB2_6592:                             ;   in Loop: Header=BB2_6389 Depth=3
	s_or_b32 exec_lo, exec_lo, s13
	v_and_b32_e32 v2, 48, v30
	s_mov_b32 s13, exec_lo
	s_delay_alu instid0(VALU_DEP_1)
	v_cmpx_ne_u32_e32 0, v2
	s_cbranch_execz .LBB2_6594
; %bb.6593:                             ;   in Loop: Header=BB2_6389 Depth=3
	v_add_co_u32 v24, vcc_lo, v24, 2
	v_add_co_ci_u32_e32 v25, vcc_lo, 0, v25, vcc_lo
	s_waitcnt vmcnt(0) lgkmcnt(0)
	s_waitcnt_vscnt null, 0x0
	flat_store_b64 v[22:23], v[24:25]
.LBB2_6594:                             ;   in Loop: Header=BB2_6389 Depth=3
	s_or_b32 exec_lo, exec_lo, s13
	v_add_nc_u32_e32 v54, v12, v54
	s_xor_b32 s13, s40, -1
	v_mov_b32_e32 v2, s41
	s_mov_b32 s40, 0
	s_mov_b32 s41, 2
	v_cmp_ge_i32_e32 vcc_lo, v54, v15
	s_or_b32 s13, s13, vcc_lo
	s_delay_alu instid0(SALU_CYCLE_1) | instskip(NEXT) | instid1(SALU_CYCLE_1)
	s_and_b32 s13, exec_lo, s13
	s_or_b32 s39, s13, s39
	s_delay_alu instid0(SALU_CYCLE_1)
	s_and_not1_b32 exec_lo, exec_lo, s39
	s_cbranch_execnz .LBB2_6389
; %bb.6595:                             ;   in Loop: Header=BB2_6387 Depth=2
	s_or_b32 exec_lo, exec_lo, s39
.LBB2_6596:                             ;   in Loop: Header=BB2_6387 Depth=2
	s_delay_alu instid0(SALU_CYCLE_1) | instskip(NEXT) | instid1(SALU_CYCLE_1)
	s_or_b32 exec_lo, exec_lo, s38
	s_mov_b32 s14, exec_lo
	v_cmpx_gt_i32_e32 2, v2
	s_cbranch_execz .LBB2_6682
; %bb.6597:                             ;   in Loop: Header=BB2_6387 Depth=2
	v_cmp_eq_u32_e64 s13, 0, v2
	s_mov_b32 s15, 0
.LBB2_6598:                             ;   Parent Loop BB2_51 Depth=1
                                        ;     Parent Loop BB2_6387 Depth=2
                                        ; =>    This Loop Header: Depth=3
                                        ;         Child Loop BB2_6604 Depth 4
                                        ;         Child Loop BB2_6636 Depth 4
	;; [unrolled: 1-line block ×3, first 2 shown]
	v_and_b32_e32 v2, 12, v30
	s_mov_b32 s17, -1
	s_mov_b32 s16, exec_lo
	s_delay_alu instid0(VALU_DEP_1)
	v_cmpx_ne_u32_e32 0, v2
	s_cbranch_execz .LBB2_6612
; %bb.6599:                             ;   in Loop: Header=BB2_6598 Depth=3
	v_and_b32_e32 v2, 8, v30
	s_delay_alu instid0(VALU_DEP_1) | instskip(SKIP_3) | instid1(VALU_DEP_1)
	v_add_co_u32 v10, vcc_lo, v34, v2
	v_add_co_ci_u32_e32 v11, vcc_lo, 0, v35, vcc_lo
	v_add_co_u32 v8, vcc_lo, v24, 2
	v_add_co_ci_u32_e32 v9, vcc_lo, 0, v25, vcc_lo
	v_cmp_lt_u64_e32 vcc_lo, v[10:11], v[8:9]
	v_mov_b32_e32 v10, 1
	s_and_saveexec_b32 s17, vcc_lo
	s_cbranch_execz .LBB2_6611
; %bb.6600:                             ;   in Loop: Header=BB2_6598 Depth=3
	v_mov_b32_e32 v10, 0
	s_mov_b32 s38, 0
                                        ; implicit-def: $sgpr39
	s_branch .LBB2_6604
.LBB2_6601:                             ;   in Loop: Header=BB2_6604 Depth=4
	s_or_b32 exec_lo, exec_lo, s43
	v_mov_b32_e32 v11, 0
	s_or_not1_b32 s42, s42, exec_lo
.LBB2_6602:                             ;   in Loop: Header=BB2_6604 Depth=4
	s_or_b32 exec_lo, exec_lo, s41
	s_delay_alu instid0(VALU_DEP_1) | instskip(SKIP_2) | instid1(SALU_CYCLE_1)
	v_mov_b32_e32 v10, v11
	s_and_not1_b32 vcc_lo, s39, exec_lo
	s_and_b32 s39, s42, exec_lo
	s_or_b32 s39, vcc_lo, s39
.LBB2_6603:                             ;   in Loop: Header=BB2_6604 Depth=4
	s_or_b32 exec_lo, exec_lo, s40
	s_waitcnt vmcnt(0) lgkmcnt(0)
	v_add_co_u32 v13, vcc_lo, v34, v2
	v_add_co_ci_u32_e32 v14, vcc_lo, 0, v35, vcc_lo
	s_xor_b32 s40, s39, -1
	s_delay_alu instid0(VALU_DEP_1) | instskip(SKIP_1) | instid1(SALU_CYCLE_1)
	v_cmp_ge_u64_e32 vcc_lo, v[13:14], v[8:9]
	s_or_b32 vcc_lo, s40, vcc_lo
	s_and_b32 vcc_lo, exec_lo, vcc_lo
	s_delay_alu instid0(SALU_CYCLE_1) | instskip(NEXT) | instid1(SALU_CYCLE_1)
	s_or_b32 s38, vcc_lo, s38
	s_and_not1_b32 exec_lo, exec_lo, s38
	s_cbranch_execz .LBB2_6610
.LBB2_6604:                             ;   Parent Loop BB2_51 Depth=1
                                        ;     Parent Loop BB2_6387 Depth=2
                                        ;       Parent Loop BB2_6598 Depth=3
                                        ; =>      This Inner Loop Header: Depth=4
	s_sleep 1
	flat_load_b64 v[34:35], v[22:23] glc
	v_and_b32_e32 v11, 64, v30
	s_and_not1_b32 s39, s39, exec_lo
	s_mov_b32 s40, exec_lo
	s_delay_alu instid0(VALU_DEP_1)
	v_cmpx_eq_u32_e32 0, v11
	s_cbranch_execz .LBB2_6603
; %bb.6605:                             ;   in Loop: Header=BB2_6604 Depth=4
	v_add_nc_u32_e32 v11, 1, v10
	s_mov_b32 s42, -1
	s_mov_b32 s41, exec_lo
	v_cmpx_lt_i32_e32 0x270e, v10
	s_cbranch_execz .LBB2_6602
; %bb.6606:                             ;   in Loop: Header=BB2_6604 Depth=4
	s_cbranch_execnz .LBB2_7128
; %bb.6607:                             ;   in Loop: Header=BB2_6604 Depth=4
	ds_load_b64 v[10:11], v0
	s_mov_b32 s43, exec_lo
	s_waitcnt vmcnt(0) lgkmcnt(0)
	s_waitcnt_vscnt null, 0x0
	flat_load_b32 v10, v[10:11] glc
	s_waitcnt vmcnt(0) lgkmcnt(0)
	buffer_gl1_inv
	buffer_gl0_inv
	v_cmpx_ne_u32_e32 0, v10
	s_cbranch_execz .LBB2_6601
; %bb.6608:                             ;   in Loop: Header=BB2_6604 Depth=4
	ds_store_b32 v0, v10
	s_cbranch_execnz .LBB2_7208
; %bb.6609:                             ;   in Loop: Header=BB2_6604 Depth=4
	v_or_b32_e32 v30, 64, v30
	s_xor_b32 s42, exec_lo, -1
	s_branch .LBB2_6601
.LBB2_6610:                             ;   in Loop: Header=BB2_6598 Depth=3
	s_or_b32 exec_lo, exec_lo, s38
	v_and_b32_e32 v10, 12, v30
.LBB2_6611:                             ;   in Loop: Header=BB2_6598 Depth=3
	s_or_b32 exec_lo, exec_lo, s17
	s_delay_alu instid0(VALU_DEP_1)
	v_cmp_eq_u32_e32 vcc_lo, 0, v10
	;;#ASMSTART
	s_wakeup
	;;#ASMEND
	s_or_not1_b32 s17, vcc_lo, exec_lo
.LBB2_6612:                             ;   in Loop: Header=BB2_6598 Depth=3
	s_or_b32 exec_lo, exec_lo, s16
	v_sub_nc_u32_e32 v2, v15, v54
	s_xor_b32 s13, s13, -1
	s_delay_alu instid0(SALU_CYCLE_1) | instskip(NEXT) | instid1(SALU_CYCLE_1)
	s_and_b32 s13, exec_lo, s13
	s_or_b32 s15, s13, s15
	s_delay_alu instid0(VALU_DEP_1) | instskip(SKIP_1) | instid1(SALU_CYCLE_1)
	v_min_i32_e32 v12, v12, v2
	s_xor_b32 s13, s17, -1
	s_and_saveexec_b32 s16, s13
	s_cbranch_execz .LBB2_6627
; %bb.6613:                             ;   in Loop: Header=BB2_6598 Depth=3
	v_and_b32_e32 v2, 0x108, v30
	s_mov_b32 s13, exec_lo
	s_delay_alu instid0(VALU_DEP_1)
	v_cmpx_ne_u32_e32 0x108, v2
	s_xor_b32 s13, exec_lo, s13
                                        ; implicit-def: $vgpr8_vgpr9
; %bb.6614:                             ;   in Loop: Header=BB2_6598 Depth=3
	v_and_b32_e32 v8, 7, v24
; %bb.6615:                             ;   in Loop: Header=BB2_6598 Depth=3
	s_and_not1_saveexec_b32 s13, s13
	s_cbranch_execz .LBB2_6617
; %bb.6616:                             ;   in Loop: Header=BB2_6598 Depth=3
	v_and_b32_e32 v8, 7, v24
	v_ashrrev_i32_e32 v13, 31, v12
	s_delay_alu instid0(VALU_DEP_2)
	v_mad_u64_u32 v[9:10], null, v8, 24, v[6:7]
	flat_store_b64 v[9:10], v[12:13] offset:8
.LBB2_6617:                             ;   in Loop: Header=BB2_6598 Depth=3
	s_or_b32 exec_lo, exec_lo, s13
	v_and_b32_e32 v2, 0x100, v30
	s_mov_b32 s13, -1
	s_mov_b32 s17, exec_lo
                                        ; implicit-def: $vgpr9_vgpr10
	s_delay_alu instid0(VALU_DEP_1)
	v_cmpx_ne_u32_e32 0, v2
	s_cbranch_execnz .LBB2_6620
; %bb.6618:                             ;   in Loop: Header=BB2_6598 Depth=3
	s_or_b32 exec_lo, exec_lo, s17
	s_and_saveexec_b32 s17, s13
	s_cbranch_execnz .LBB2_6623
.LBB2_6619:                             ;   in Loop: Header=BB2_6598 Depth=3
	s_or_b32 exec_lo, exec_lo, s17
	s_cbranch_execnz .LBB2_7118
	s_branch .LBB2_6624
.LBB2_6620:                             ;   in Loop: Header=BB2_6598 Depth=3
	v_mad_u64_u32 v[13:14], null, v8, 24, v[6:7]
	s_mov_b32 s38, exec_lo
	s_delay_alu instid0(VALU_DEP_1) | instskip(NEXT) | instid1(VALU_DEP_1)
	v_mov_b32_e32 v2, v14
	v_mad_u64_u32 v[9:10], null, v3, 24, v[2:3]
	s_delay_alu instid0(VALU_DEP_1)
	v_mov_b32_e32 v14, v9
                                        ; implicit-def: $vgpr9_vgpr10
	flat_load_b32 v2, v[13:14]
	s_waitcnt vmcnt(0) lgkmcnt(0)
	v_cmp_ne_u32_e32 vcc_lo, 1, v2
	v_cmpx_eq_u32_e32 1, v2
	s_cbranch_execz .LBB2_6622
; %bb.6621:                             ;   in Loop: Header=BB2_6598 Depth=3
	flat_load_b32 v9, v[13:14] offset:4 glc
	s_waitcnt vmcnt(0) lgkmcnt(0)
	v_ashrrev_i32_e32 v10, 31, v9
.LBB2_6622:                             ;   in Loop: Header=BB2_6598 Depth=3
	s_or_b32 exec_lo, exec_lo, s38
	s_delay_alu instid0(SALU_CYCLE_1)
	s_or_not1_b32 s13, vcc_lo, exec_lo
	s_or_b32 exec_lo, exec_lo, s17
	s_and_saveexec_b32 s17, s13
	s_cbranch_execz .LBB2_6619
.LBB2_6623:                             ;   in Loop: Header=BB2_6598 Depth=3
	v_mul_lo_u32 v2, v3, v80
	v_mul_lo_u32 v11, v8, v82
	v_mad_u64_u32 v[9:10], null, v8, v80, 0
	s_delay_alu instid0(VALU_DEP_1)
	v_add3_u32 v10, v10, v11, v2
	s_or_b32 exec_lo, exec_lo, s17
	s_cbranch_execnz .LBB2_7118
.LBB2_6624:                             ;   in Loop: Header=BB2_6598 Depth=3
	s_delay_alu instid0(VALU_DEP_2)
	v_add_co_u32 v8, vcc_lo, v26, v9
	v_and_b32_e32 v2, 0x2000, v30
	v_add_co_ci_u32_e32 v9, vcc_lo, v27, v10, vcc_lo
	s_mov_b32 s13, exec_lo
	ds_store_b64 v0, v[8:9]
	v_cmpx_ne_u32_e32 0, v2
	s_cbranch_execz .LBB2_6626
; %bb.6625:                             ;   in Loop: Header=BB2_6598 Depth=3
	ds_load_b64 v[8:9], v0 offset:584
	s_waitcnt lgkmcnt(0)
	v_add_co_u32 v8, vcc_lo, v8, 1
	v_add_co_ci_u32_e32 v9, vcc_lo, 0, v9, vcc_lo
	ds_store_b64 v0, v[8:9] offset:584
.LBB2_6626:                             ;   in Loop: Header=BB2_6598 Depth=3
	s_or_b32 exec_lo, exec_lo, s13
	v_add_co_u32 v24, vcc_lo, v24, 2
	v_add_co_ci_u32_e32 v25, vcc_lo, 0, v25, vcc_lo
.LBB2_6627:                             ;   in Loop: Header=BB2_6598 Depth=3
	s_or_b32 exec_lo, exec_lo, s16
	s_and_saveexec_b32 s13, s3
	s_cbranch_execz .LBB2_6649
; %bb.6628:                             ;   in Loop: Header=BB2_6598 Depth=3
	s_and_saveexec_b32 s16, s4
	s_delay_alu instid0(SALU_CYCLE_1)
	s_xor_b32 s16, exec_lo, s16
	s_cbranch_execz .LBB2_6646
; %bb.6629:                             ;   in Loop: Header=BB2_6598 Depth=3
	s_and_saveexec_b32 s17, s1
	s_cbranch_execz .LBB2_6645
; %bb.6630:                             ;   in Loop: Header=BB2_6598 Depth=3
	s_mov_b32 s39, exec_lo
	s_mov_b32 s38, exec_lo
	v_mbcnt_lo_u32_b32 v2, s39, 0
	s_waitcnt vmcnt(0) lgkmcnt(0)
	s_waitcnt_vscnt null, 0x0
	buffer_gl1_inv
	buffer_gl0_inv
	v_cmpx_eq_u32_e32 0, v2
	s_cbranch_execz .LBB2_6632
; %bb.6631:                             ;   in Loop: Header=BB2_6598 Depth=3
	s_bcnt1_i32_b32 vcc_lo, s39
	s_delay_alu instid0(SALU_CYCLE_1)
	v_mov_b32_e32 v2, vcc_lo
	ds_add_u64 v0, v[2:3]
	s_cbranch_execnz .LBB2_7264
.LBB2_6632:                             ;   in Loop: Header=BB2_6598 Depth=3
	s_or_b32 exec_lo, exec_lo, s38
	s_cbranch_execnz .LBB2_7232
; %bb.6633:                             ;   in Loop: Header=BB2_6598 Depth=3
	ds_load_b64 v[8:9], v0
	v_add_co_u32 v32, vcc_lo, v32, v83
	v_add_co_ci_u32_e32 v33, vcc_lo, 0, v33, vcc_lo
	s_mov_b32 s38, exec_lo
	s_waitcnt lgkmcnt(0)
	s_delay_alu instid0(VALU_DEP_1)
	v_cmpx_lt_u64_e64 v[8:9], v[32:33]
	s_cbranch_execz .LBB2_6644
; %bb.6634:                             ;   in Loop: Header=BB2_6598 Depth=3
	s_mov_b32 s39, 0
	s_mov_b32 s42, 0
                                        ; implicit-def: $sgpr40
                                        ; implicit-def: $sgpr41
	s_branch .LBB2_6636
.LBB2_6635:                             ;   in Loop: Header=BB2_6636 Depth=4
	s_or_b32 exec_lo, exec_lo, s44
	s_delay_alu instid0(SALU_CYCLE_1) | instskip(NEXT) | instid1(SALU_CYCLE_1)
	s_and_b32 vcc_lo, exec_lo, vcc_lo
	s_or_b32 s39, vcc_lo, s39
	s_and_not1_b32 vcc_lo, s40, exec_lo
	s_and_b32 s40, s41, exec_lo
	s_delay_alu instid0(SALU_CYCLE_1)
	s_or_b32 s40, vcc_lo, s40
	s_and_not1_b32 exec_lo, exec_lo, s39
	s_cbranch_execz .LBB2_6642
.LBB2_6636:                             ;   Parent Loop BB2_51 Depth=1
                                        ;     Parent Loop BB2_6387 Depth=2
                                        ;       Parent Loop BB2_6598 Depth=3
                                        ; =>      This Inner Loop Header: Depth=4
	s_add_i32 s42, s42, 1
                                        ; implicit-def: $sgpr44
	s_delay_alu instid0(SALU_CYCLE_1) | instskip(SKIP_1) | instid1(SALU_CYCLE_1)
	s_cmpk_lg_i32 s42, 0x2710
	s_cselect_b32 s43, -1, 0
	s_and_b32 vcc_lo, exec_lo, s43
	s_cbranch_vccz .LBB2_6640
.LBB2_6637:                             ;   in Loop: Header=BB2_6636 Depth=4
	s_and_not1_b32 s41, s41, exec_lo
	s_and_b32 s44, s44, exec_lo
	s_mov_b32 vcc_lo, -1
	s_or_b32 s41, s41, s44
	s_and_saveexec_b32 s44, s43
	s_cbranch_execz .LBB2_6635
; %bb.6638:                             ;   in Loop: Header=BB2_6636 Depth=4
	s_sleep 1
	s_cbranch_execnz .LBB2_7312
; %bb.6639:                             ;   in Loop: Header=BB2_6636 Depth=4
	ds_load_b64 v[8:9], v0
	s_and_not1_b32 s41, s41, exec_lo
	s_waitcnt lgkmcnt(0)
	v_cmp_ge_u64_e32 vcc_lo, v[8:9], v[32:33]
	s_or_not1_b32 vcc_lo, vcc_lo, exec_lo
	s_branch .LBB2_6635
.LBB2_6640:                             ;   in Loop: Header=BB2_6636 Depth=4
	s_cbranch_execnz .LBB2_7334
; %bb.6641:                             ;   in Loop: Header=BB2_6636 Depth=4
	ds_load_b64 v[8:9], v0
	s_and_not1_b32 s43, s43, exec_lo
	s_mov_b32 s42, 0
	s_mov_b32 s44, -1
	s_waitcnt lgkmcnt(0)
	flat_load_b32 v2, v[8:9] glc
	s_waitcnt vmcnt(0) lgkmcnt(0)
	buffer_gl1_inv
	buffer_gl0_inv
	v_cmp_eq_u32_e32 vcc_lo, 0, v2
	s_and_b32 vcc_lo, vcc_lo, exec_lo
	s_delay_alu instid0(SALU_CYCLE_1)
	s_or_b32 s43, s43, vcc_lo
	s_branch .LBB2_6637
.LBB2_6642:                             ;   in Loop: Header=BB2_6598 Depth=3
	s_or_b32 exec_lo, exec_lo, s39
	s_and_saveexec_b32 vcc_lo, s40
	s_delay_alu instid0(SALU_CYCLE_1)
	s_xor_b32 vcc_lo, exec_lo, vcc_lo
	s_cbranch_execz .LBB2_6644
; %bb.6643:                             ;   in Loop: Header=BB2_6598 Depth=3
	ds_store_b32 v0, v119
	s_cbranch_execnz .LBB2_7448
.LBB2_6644:                             ;   in Loop: Header=BB2_6598 Depth=3
	s_or_b32 exec_lo, exec_lo, s38
	;;#ASMSTART
	s_wakeup
	;;#ASMEND
.LBB2_6645:                             ;   in Loop: Header=BB2_6598 Depth=3
	s_or_b32 exec_lo, exec_lo, s17
.LBB2_6646:                             ;   in Loop: Header=BB2_6598 Depth=3
	s_and_not1_saveexec_b32 s16, s16
	s_cbranch_execz .LBB2_6648
; %bb.6647:                             ;   in Loop: Header=BB2_6598 Depth=3
	s_waitcnt vmcnt(0) lgkmcnt(0)
	s_waitcnt_vscnt null, 0x0
	buffer_gl1_inv
	buffer_gl0_inv
	s_barrier
.LBB2_6648:                             ;   in Loop: Header=BB2_6598 Depth=3
	s_or_b32 exec_lo, exec_lo, s16
.LBB2_6649:                             ;   in Loop: Header=BB2_6598 Depth=3
	s_delay_alu instid0(SALU_CYCLE_1) | instskip(SKIP_1) | instid1(SALU_CYCLE_1)
	s_or_b32 exec_lo, exec_lo, s13
                                        ; implicit-def: $vgpr2
	s_and_saveexec_b32 s13, s7
	s_xor_b32 s16, exec_lo, s13
	s_cbranch_execz .LBB2_6654
; %bb.6650:                             ;   in Loop: Header=BB2_6598 Depth=3
	s_cbranch_execnz .LBB2_7150
; %bb.6651:                             ;   in Loop: Header=BB2_6598 Depth=3
	ds_load_b32 v2, v0
	v_cmp_lt_i32_e32 vcc_lo, 0, v12
	s_waitcnt lgkmcnt(0)
	v_readfirstlane_b32 s13, v2
	v_and_b32_e32 v2, 16, v30
	s_delay_alu instid0(VALU_DEP_2) | instskip(NEXT) | instid1(VALU_DEP_1)
	s_cmp_eq_u32 s13, 0
	v_cmp_ne_u32_e64 s13, 0, v2
	s_cselect_b32 s17, -1, 0
	v_and_b32_e32 v2, 16, v30
	s_and_b32 s17, vcc_lo, s17
	s_delay_alu instid0(VALU_DEP_2) | instid1(SALU_CYCLE_1)
	s_and_b32 s17, s13, s17
	s_delay_alu instid0(SALU_CYCLE_1)
	s_and_saveexec_b32 s13, s17
	s_cbranch_execz .LBB2_6653
; %bb.6652:                             ;   in Loop: Header=BB2_6598 Depth=3
	v_mov_b32_e32 v2, 1
	s_waitcnt vmcnt(0)
	s_waitcnt_vscnt null, 0x0
	buffer_gl1_inv
	buffer_gl0_inv
.LBB2_6653:                             ;   in Loop: Header=BB2_6598 Depth=3
	s_or_b32 exec_lo, exec_lo, s13
.LBB2_6654:                             ;   in Loop: Header=BB2_6598 Depth=3
	s_and_not1_saveexec_b32 s13, s16
	s_cbranch_execz .LBB2_6676
; %bb.6655:                             ;   in Loop: Header=BB2_6598 Depth=3
	s_and_saveexec_b32 s16, s4
	s_delay_alu instid0(SALU_CYCLE_1)
	s_xor_b32 s16, exec_lo, s16
	s_cbranch_execz .LBB2_6673
; %bb.6656:                             ;   in Loop: Header=BB2_6598 Depth=3
	s_and_saveexec_b32 s17, s1
	s_cbranch_execz .LBB2_6672
; %bb.6657:                             ;   in Loop: Header=BB2_6598 Depth=3
	s_mov_b32 s39, exec_lo
	s_mov_b32 s38, exec_lo
	v_mbcnt_lo_u32_b32 v2, s39, 0
	;;#ASMSTART
	s_waitcnt lgkmcnt(0) vmcnt(0)
	;;#ASMEND
	s_delay_alu instid0(VALU_DEP_1)
	v_cmpx_eq_u32_e32 0, v2
	s_cbranch_execz .LBB2_6659
; %bb.6658:                             ;   in Loop: Header=BB2_6598 Depth=3
	s_bcnt1_i32_b32 vcc_lo, s39
	s_delay_alu instid0(SALU_CYCLE_1)
	v_mov_b32_e32 v2, vcc_lo
	ds_add_u64 v0, v[2:3]
	s_cbranch_execnz .LBB2_7284
.LBB2_6659:                             ;   in Loop: Header=BB2_6598 Depth=3
	s_or_b32 exec_lo, exec_lo, s38
	s_cbranch_execnz .LBB2_7262
; %bb.6660:                             ;   in Loop: Header=BB2_6598 Depth=3
	ds_load_b64 v[8:9], v0
	v_add_co_u32 v32, vcc_lo, v32, v83
	v_add_co_ci_u32_e32 v33, vcc_lo, 0, v33, vcc_lo
	s_mov_b32 s38, exec_lo
	s_waitcnt lgkmcnt(0)
	s_delay_alu instid0(VALU_DEP_1)
	v_cmpx_lt_u64_e64 v[8:9], v[32:33]
	s_cbranch_execz .LBB2_6671
; %bb.6661:                             ;   in Loop: Header=BB2_6598 Depth=3
	s_mov_b32 s39, 0
	s_mov_b32 s42, 0
                                        ; implicit-def: $sgpr40
                                        ; implicit-def: $sgpr41
	s_branch .LBB2_6663
.LBB2_6662:                             ;   in Loop: Header=BB2_6663 Depth=4
	s_or_b32 exec_lo, exec_lo, s44
	s_delay_alu instid0(SALU_CYCLE_1) | instskip(NEXT) | instid1(SALU_CYCLE_1)
	s_and_b32 vcc_lo, exec_lo, vcc_lo
	s_or_b32 s39, vcc_lo, s39
	s_and_not1_b32 vcc_lo, s40, exec_lo
	s_and_b32 s40, s41, exec_lo
	s_delay_alu instid0(SALU_CYCLE_1)
	s_or_b32 s40, vcc_lo, s40
	s_and_not1_b32 exec_lo, exec_lo, s39
	s_cbranch_execz .LBB2_6669
.LBB2_6663:                             ;   Parent Loop BB2_51 Depth=1
                                        ;     Parent Loop BB2_6387 Depth=2
                                        ;       Parent Loop BB2_6598 Depth=3
                                        ; =>      This Inner Loop Header: Depth=4
	s_add_i32 s42, s42, 1
                                        ; implicit-def: $sgpr44
	s_delay_alu instid0(SALU_CYCLE_1) | instskip(SKIP_1) | instid1(SALU_CYCLE_1)
	s_cmpk_lg_i32 s42, 0x2710
	s_cselect_b32 s43, -1, 0
	s_and_b32 vcc_lo, exec_lo, s43
	s_cbranch_vccz .LBB2_6667
.LBB2_6664:                             ;   in Loop: Header=BB2_6663 Depth=4
	s_and_not1_b32 s41, s41, exec_lo
	s_and_b32 s44, s44, exec_lo
	s_mov_b32 vcc_lo, -1
	s_or_b32 s41, s41, s44
	s_and_saveexec_b32 s44, s43
	s_cbranch_execz .LBB2_6662
; %bb.6665:                             ;   in Loop: Header=BB2_6663 Depth=4
	s_sleep 1
	s_cbranch_execnz .LBB2_7344
; %bb.6666:                             ;   in Loop: Header=BB2_6663 Depth=4
	ds_load_b64 v[8:9], v0
	s_and_not1_b32 s41, s41, exec_lo
	s_waitcnt lgkmcnt(0)
	v_cmp_ge_u64_e32 vcc_lo, v[8:9], v[32:33]
	s_or_not1_b32 vcc_lo, vcc_lo, exec_lo
	s_branch .LBB2_6662
.LBB2_6667:                             ;   in Loop: Header=BB2_6663 Depth=4
	s_cbranch_execnz .LBB2_7358
; %bb.6668:                             ;   in Loop: Header=BB2_6663 Depth=4
	ds_load_b64 v[8:9], v0
	s_and_not1_b32 s43, s43, exec_lo
	s_mov_b32 s42, 0
	s_mov_b32 s44, -1
	s_waitcnt vmcnt(0) lgkmcnt(0)
	s_waitcnt_vscnt null, 0x0
	flat_load_b32 v2, v[8:9] glc
	s_waitcnt vmcnt(0) lgkmcnt(0)
	buffer_gl1_inv
	buffer_gl0_inv
	v_cmp_eq_u32_e32 vcc_lo, 0, v2
	s_and_b32 vcc_lo, vcc_lo, exec_lo
	s_delay_alu instid0(SALU_CYCLE_1)
	s_or_b32 s43, s43, vcc_lo
	s_branch .LBB2_6664
.LBB2_6669:                             ;   in Loop: Header=BB2_6598 Depth=3
	s_or_b32 exec_lo, exec_lo, s39
	s_and_saveexec_b32 vcc_lo, s40
	s_delay_alu instid0(SALU_CYCLE_1)
	s_xor_b32 vcc_lo, exec_lo, vcc_lo
	s_cbranch_execz .LBB2_6671
; %bb.6670:                             ;   in Loop: Header=BB2_6598 Depth=3
	ds_store_b32 v0, v119
	s_cbranch_execnz .LBB2_7458
.LBB2_6671:                             ;   in Loop: Header=BB2_6598 Depth=3
	s_or_b32 exec_lo, exec_lo, s38
	;;#ASMSTART
	s_wakeup
	;;#ASMEND
.LBB2_6672:                             ;   in Loop: Header=BB2_6598 Depth=3
	s_or_b32 exec_lo, exec_lo, s17
.LBB2_6673:                             ;   in Loop: Header=BB2_6598 Depth=3
	s_and_not1_saveexec_b32 s16, s16
	s_cbranch_execz .LBB2_6675
; %bb.6674:                             ;   in Loop: Header=BB2_6598 Depth=3
	;;#ASMSTART
	s_waitcnt lgkmcnt(0) vmcnt(0)
	;;#ASMEND
	s_waitcnt vmcnt(0) lgkmcnt(0)
	s_waitcnt_vscnt null, 0x0
	s_barrier
.LBB2_6675:                             ;   in Loop: Header=BB2_6598 Depth=3
	s_or_b32 exec_lo, exec_lo, s16
	v_and_b32_e32 v2, 16, v30
.LBB2_6676:                             ;   in Loop: Header=BB2_6598 Depth=3
	s_or_b32 exec_lo, exec_lo, s13
	s_delay_alu instid0(VALU_DEP_1) | instskip(SKIP_1) | instid1(SALU_CYCLE_1)
	v_cmp_ne_u32_e32 vcc_lo, 0, v2
	s_xor_b32 s13, s10, -1
	s_and_b32 s16, vcc_lo, s13
	s_delay_alu instid0(SALU_CYCLE_1)
	s_and_saveexec_b32 s13, s16
	s_cbranch_execz .LBB2_6678
; %bb.6677:                             ;   in Loop: Header=BB2_6598 Depth=3
	s_waitcnt vmcnt(0) lgkmcnt(0)
	s_waitcnt_vscnt null, 0x0
	flat_store_b32 v[28:29], v119
.LBB2_6678:                             ;   in Loop: Header=BB2_6598 Depth=3
	s_or_b32 exec_lo, exec_lo, s13
	v_and_b32_e32 v2, 48, v30
	s_mov_b32 s13, exec_lo
	s_delay_alu instid0(VALU_DEP_1)
	v_cmpx_ne_u32_e32 0, v2
	s_cbranch_execz .LBB2_6680
; %bb.6679:                             ;   in Loop: Header=BB2_6598 Depth=3
	v_add_co_u32 v24, vcc_lo, v24, 2
	v_add_co_ci_u32_e32 v25, vcc_lo, 0, v25, vcc_lo
	s_waitcnt vmcnt(0) lgkmcnt(0)
	s_waitcnt_vscnt null, 0x0
	flat_store_b64 v[22:23], v[24:25]
.LBB2_6680:                             ;   in Loop: Header=BB2_6598 Depth=3
	s_or_b32 exec_lo, exec_lo, s13
	v_add_nc_u32_e32 v54, v12, v54
	s_mov_b32 s13, 0
	s_and_not1_b32 exec_lo, exec_lo, s15
	s_cbranch_execnz .LBB2_6598
; %bb.6681:                             ;   in Loop: Header=BB2_6387 Depth=2
	s_or_b32 exec_lo, exec_lo, s15
.LBB2_6682:                             ;   in Loop: Header=BB2_6387 Depth=2
	s_delay_alu instid0(SALU_CYCLE_1)
	s_or_b32 exec_lo, exec_lo, s14
	s_add_i32 s13, s37, 1
	s_cmp_eq_u32 s37, s31
	s_cbranch_scc1 .LBB2_6684
; %bb.6683:                             ;   in Loop: Header=BB2_6387 Depth=2
	s_mov_b32 s37, s13
	s_branch .LBB2_6387
.LBB2_6684:                             ;   in Loop: Header=BB2_51 Depth=1
	s_mov_b32 s13, s36
	v_mul_lo_u32 v10, v50, s34
	v_mul_lo_u32 v2, v51, s13
	v_mad_u64_u32 v[8:9], null, v50, s13, 0
	v_mov_b32_e32 v14, 0
	s_mov_b32 s16, 0
	s_delay_alu instid0(VALU_DEP_2) | instskip(NEXT) | instid1(VALU_DEP_3)
	v_add3_u32 v9, v9, v10, v2
	v_sub_co_u32 v10, vcc_lo, v52, v8
	s_delay_alu instid0(VALU_DEP_2) | instskip(NEXT) | instid1(VALU_DEP_1)
	v_sub_co_ci_u32_e32 v11, vcc_lo, v53, v9, vcc_lo
	v_cmp_lt_i64_e32 vcc_lo, v[50:51], v[10:11]
	v_cndmask_b32_e32 v10, v10, v50, vcc_lo
	s_delay_alu instid0(VALU_DEP_1) | instskip(SKIP_1) | instid1(VALU_DEP_2)
	v_max_i32_e32 v12, 0, v10
	v_cmp_lt_i32_e32 vcc_lo, 0, v10
	v_add_nc_u32_e32 v2, 31, v12
	s_and_b32 s13, s30, vcc_lo
	s_delay_alu instid0(VALU_DEP_1) | instskip(NEXT) | instid1(VALU_DEP_1)
	v_lshrrev_b32_e32 v2, 1, v2
	v_dual_mov_b32 v2, 0 :: v_dual_and_b32 v11, 0x3ffffff0, v2
	s_delay_alu instid0(VALU_DEP_1)
	v_max_i32_e32 v13, s28, v11
	s_and_saveexec_b32 s15, s13
	s_cbranch_execz .LBB2_6845
; %bb.6685:                             ;   in Loop: Header=BB2_51 Depth=1
	v_add_co_u32 v15, vcc_lo, v8, v128
	v_add_co_ci_u32_e32 v52, vcc_lo, v9, v129, vcc_lo
	v_mov_b32_e32 v14, 0
	s_mov_b32 s37, 1
	s_mov_b32 s17, -1
.LBB2_6686:                             ;   Parent Loop BB2_51 Depth=1
                                        ; =>  This Loop Header: Depth=2
                                        ;       Child Loop BB2_6695 Depth 3
                                        ;       Child Loop BB2_6722 Depth 3
	;; [unrolled: 1-line block ×9, first 2 shown]
	s_and_saveexec_b32 s14, s0
	s_cbranch_execz .LBB2_6689
; %bb.6687:                             ;   in Loop: Header=BB2_6686 Depth=2
	s_cbranch_execnz .LBB2_7100
; %bb.6688:                             ;   in Loop: Header=BB2_6686 Depth=2
	ds_load_b128 v[8:11], v0
	v_ashrrev_i32_e32 v2, 31, v14
	s_waitcnt lgkmcnt(0)
	v_add_co_u32 v53, vcc_lo, v10, v15
	v_add_co_ci_u32_e32 v54, vcc_lo, v11, v52, vcc_lo
	v_add_co_u32 v8, vcc_lo, v8, v15
	v_add_co_ci_u32_e32 v9, vcc_lo, v9, v52, vcc_lo
	s_delay_alu instid0(VALU_DEP_4) | instskip(NEXT) | instid1(VALU_DEP_4)
	v_add_co_u32 v53, vcc_lo, v53, v14
	v_add_co_ci_u32_e32 v54, vcc_lo, v54, v2, vcc_lo
	v_cmp_ne_u64_e32 vcc_lo, 0, v[10:11]
	v_add_co_u32 v8, s13, v8, v14
	s_delay_alu instid0(VALU_DEP_1) | instskip(NEXT) | instid1(VALU_DEP_4)
	v_add_co_ci_u32_e64 v9, s13, v9, v2, s13
	v_dual_cndmask_b32 v11, 0, v54 :: v_dual_cndmask_b32 v10, 0, v53
	ds_store_b64 v0, v[8:9]
	ds_store_b64 v0, v[10:11]
.LBB2_6689:                             ;   in Loop: Header=BB2_6686 Depth=2
	s_or_b32 exec_lo, exec_lo, s14
	v_and_b32_e32 v2, 4, v30
	s_mov_b32 s14, -1
	s_mov_b32 s13, exec_lo
	s_delay_alu instid0(VALU_DEP_1)
	v_cmpx_ne_u32_e32 0, v2
	s_cbranch_execz .LBB2_6703
; %bb.6690:                             ;   in Loop: Header=BB2_6686 Depth=2
	v_add_co_u32 v8, vcc_lo, v24, 2
	v_add_co_ci_u32_e32 v9, vcc_lo, 0, v25, vcc_lo
	v_mov_b32_e32 v2, 1
	s_mov_b32 s14, exec_lo
	s_delay_alu instid0(VALU_DEP_2)
	v_cmpx_lt_u64_e64 v[34:35], v[8:9]
	s_cbranch_execz .LBB2_6702
; %bb.6691:                             ;   in Loop: Header=BB2_6686 Depth=2
	v_mov_b32_e32 v2, 0
	s_mov_b32 s38, 0
                                        ; implicit-def: $sgpr39
	s_branch .LBB2_6695
.LBB2_6692:                             ;   in Loop: Header=BB2_6695 Depth=3
	s_or_b32 exec_lo, exec_lo, s43
	v_mov_b32_e32 v10, 0
	s_or_not1_b32 s42, s42, exec_lo
.LBB2_6693:                             ;   in Loop: Header=BB2_6695 Depth=3
	s_or_b32 exec_lo, exec_lo, s41
	s_delay_alu instid0(VALU_DEP_1) | instskip(SKIP_2) | instid1(SALU_CYCLE_1)
	v_mov_b32_e32 v2, v10
	s_and_not1_b32 vcc_lo, s39, exec_lo
	s_and_b32 s39, s42, exec_lo
	s_or_b32 s39, vcc_lo, s39
.LBB2_6694:                             ;   in Loop: Header=BB2_6695 Depth=3
	s_or_b32 exec_lo, exec_lo, s40
	s_waitcnt vmcnt(0) lgkmcnt(0)
	v_cmp_ge_u64_e32 vcc_lo, v[34:35], v[8:9]
	s_xor_b32 s40, s39, -1
	s_delay_alu instid0(SALU_CYCLE_1) | instskip(NEXT) | instid1(SALU_CYCLE_1)
	s_or_b32 vcc_lo, s40, vcc_lo
	s_and_b32 vcc_lo, exec_lo, vcc_lo
	s_delay_alu instid0(SALU_CYCLE_1) | instskip(NEXT) | instid1(SALU_CYCLE_1)
	s_or_b32 s38, vcc_lo, s38
	s_and_not1_b32 exec_lo, exec_lo, s38
	s_cbranch_execz .LBB2_6701
.LBB2_6695:                             ;   Parent Loop BB2_51 Depth=1
                                        ;     Parent Loop BB2_6686 Depth=2
                                        ; =>    This Inner Loop Header: Depth=3
	s_sleep 1
	flat_load_b64 v[34:35], v[22:23] glc
	v_and_b32_e32 v10, 64, v30
	s_and_not1_b32 s39, s39, exec_lo
	s_mov_b32 s40, exec_lo
	s_delay_alu instid0(VALU_DEP_1)
	v_cmpx_eq_u32_e32 0, v10
	s_cbranch_execz .LBB2_6694
; %bb.6696:                             ;   in Loop: Header=BB2_6695 Depth=3
	v_add_nc_u32_e32 v10, 1, v2
	s_mov_b32 s42, -1
	s_mov_b32 s41, exec_lo
	v_cmpx_lt_i32_e32 0x270e, v2
	s_cbranch_execz .LBB2_6693
; %bb.6697:                             ;   in Loop: Header=BB2_6695 Depth=3
	s_cbranch_execnz .LBB2_7146
; %bb.6698:                             ;   in Loop: Header=BB2_6695 Depth=3
	ds_load_b64 v[10:11], v0
	s_mov_b32 s43, exec_lo
	s_waitcnt vmcnt(0) lgkmcnt(0)
	s_waitcnt_vscnt null, 0x0
	flat_load_b32 v2, v[10:11] glc
	s_waitcnt vmcnt(0) lgkmcnt(0)
	buffer_gl1_inv
	buffer_gl0_inv
	v_cmpx_ne_u32_e32 0, v2
	s_cbranch_execz .LBB2_6692
; %bb.6699:                             ;   in Loop: Header=BB2_6695 Depth=3
	ds_store_b32 v0, v2
	s_cbranch_execnz .LBB2_7216
; %bb.6700:                             ;   in Loop: Header=BB2_6695 Depth=3
	v_or_b32_e32 v30, 64, v30
	s_xor_b32 s42, exec_lo, -1
	s_branch .LBB2_6692
.LBB2_6701:                             ;   in Loop: Header=BB2_6686 Depth=2
	s_or_b32 exec_lo, exec_lo, s38
	v_and_b32_e32 v2, 4, v30
.LBB2_6702:                             ;   in Loop: Header=BB2_6686 Depth=2
	s_or_b32 exec_lo, exec_lo, s14
	s_delay_alu instid0(VALU_DEP_1)
	v_cmp_eq_u32_e32 vcc_lo, 0, v2
	;;#ASMSTART
	s_wakeup
	;;#ASMEND
	s_or_not1_b32 s14, vcc_lo, exec_lo
.LBB2_6703:                             ;   in Loop: Header=BB2_6686 Depth=2
	s_or_b32 exec_lo, exec_lo, s13
	s_xor_b32 s13, s14, -1
	s_delay_alu instid0(SALU_CYCLE_1)
	s_and_saveexec_b32 s14, s13
	s_cbranch_execz .LBB2_6713
; %bb.6704:                             ;   in Loop: Header=BB2_6686 Depth=2
	v_and_b32_e32 v2, 0x100, v30
	s_mov_b32 s13, -1
                                        ; implicit-def: $vgpr8_vgpr9
	s_delay_alu instid0(VALU_DEP_1)
	v_cmp_ne_u32_e32 vcc_lo, 0, v2
	v_and_b32_e32 v2, 7, v24
	s_and_saveexec_b32 s38, vcc_lo
	s_cbranch_execz .LBB2_6708
; %bb.6705:                             ;   in Loop: Header=BB2_6686 Depth=2
	s_delay_alu instid0(VALU_DEP_1) | instskip(SKIP_4) | instid1(VALU_DEP_1)
	v_mad_u64_u32 v[10:11], null, v2, 24, v[6:7]
	flat_load_b32 v8, v[10:11]
	s_waitcnt vmcnt(0) lgkmcnt(0)
	v_cmp_ne_u32_e32 vcc_lo, 1, v8
	v_cmp_eq_u32_e64 s13, 1, v8
                                        ; implicit-def: $vgpr8_vgpr9
	s_and_saveexec_b32 s39, s13
	s_cbranch_execz .LBB2_6707
; %bb.6706:                             ;   in Loop: Header=BB2_6686 Depth=2
	flat_load_b32 v8, v[10:11] offset:4 glc
	s_waitcnt vmcnt(0) lgkmcnt(0)
	v_ashrrev_i32_e32 v9, 31, v8
.LBB2_6707:                             ;   in Loop: Header=BB2_6686 Depth=2
	s_or_b32 exec_lo, exec_lo, s39
	s_delay_alu instid0(SALU_CYCLE_1)
	s_or_not1_b32 s13, vcc_lo, exec_lo
.LBB2_6708:                             ;   in Loop: Header=BB2_6686 Depth=2
	s_or_b32 exec_lo, exec_lo, s38
	s_and_saveexec_b32 vcc_lo, s13
; %bb.6709:                             ;   in Loop: Header=BB2_6686 Depth=2
	v_mad_i64_i32 v[8:9], null, v2, v80, 0
; %bb.6710:                             ;   in Loop: Header=BB2_6686 Depth=2
	s_or_b32 exec_lo, exec_lo, vcc_lo
	s_delay_alu instid0(VALU_DEP_1) | instskip(SKIP_1) | instid1(VALU_DEP_3)
	v_add_co_u32 v8, vcc_lo, v26, v8
	v_and_b32_e32 v2, 0x2000, v30
	v_add_co_ci_u32_e32 v9, vcc_lo, v27, v9, vcc_lo
	s_mov_b32 s13, exec_lo
	ds_store_b64 v0, v[8:9] offset:720
	v_cmpx_ne_u32_e32 0, v2
	s_cbranch_execz .LBB2_6712
; %bb.6711:                             ;   in Loop: Header=BB2_6686 Depth=2
	ds_load_b64 v[8:9], v0 offset:584
	s_waitcnt lgkmcnt(0)
	v_add_co_u32 v8, vcc_lo, v8, 1
	v_add_co_ci_u32_e32 v9, vcc_lo, 0, v9, vcc_lo
	ds_store_b64 v0, v[8:9] offset:584
.LBB2_6712:                             ;   in Loop: Header=BB2_6686 Depth=2
	s_or_b32 exec_lo, exec_lo, s13
	v_add_co_u32 v24, vcc_lo, v24, 2
	v_add_co_ci_u32_e32 v25, vcc_lo, 0, v25, vcc_lo
.LBB2_6713:                             ;   in Loop: Header=BB2_6686 Depth=2
	s_or_b32 exec_lo, exec_lo, s14
	s_and_saveexec_b32 s13, s3
	s_cbranch_execz .LBB2_6735
; %bb.6714:                             ;   in Loop: Header=BB2_6686 Depth=2
	s_and_saveexec_b32 s14, s4
	s_delay_alu instid0(SALU_CYCLE_1)
	s_xor_b32 s14, exec_lo, s14
	s_cbranch_execz .LBB2_6732
; %bb.6715:                             ;   in Loop: Header=BB2_6686 Depth=2
	s_and_saveexec_b32 s38, s1
	s_cbranch_execz .LBB2_6731
; %bb.6716:                             ;   in Loop: Header=BB2_6686 Depth=2
	s_mov_b32 s40, exec_lo
	s_mov_b32 s39, exec_lo
	v_mbcnt_lo_u32_b32 v2, s40, 0
	s_waitcnt vmcnt(0) lgkmcnt(0)
	s_waitcnt_vscnt null, 0x0
	buffer_gl1_inv
	buffer_gl0_inv
	v_cmpx_eq_u32_e32 0, v2
	s_cbranch_execz .LBB2_6718
; %bb.6717:                             ;   in Loop: Header=BB2_6686 Depth=2
	s_bcnt1_i32_b32 vcc_lo, s40
	s_delay_alu instid0(SALU_CYCLE_1)
	v_mov_b32_e32 v2, vcc_lo
	ds_add_u64 v0, v[2:3]
	s_cbranch_execnz .LBB2_7258
.LBB2_6718:                             ;   in Loop: Header=BB2_6686 Depth=2
	s_or_b32 exec_lo, exec_lo, s39
	s_cbranch_execnz .LBB2_7226
; %bb.6719:                             ;   in Loop: Header=BB2_6686 Depth=2
	ds_load_b64 v[8:9], v0
	v_add_co_u32 v32, vcc_lo, v32, v83
	v_add_co_ci_u32_e32 v33, vcc_lo, 0, v33, vcc_lo
	s_mov_b32 s39, exec_lo
	s_waitcnt lgkmcnt(0)
	s_delay_alu instid0(VALU_DEP_1)
	v_cmpx_lt_u64_e64 v[8:9], v[32:33]
	s_cbranch_execz .LBB2_6730
; %bb.6720:                             ;   in Loop: Header=BB2_6686 Depth=2
	s_mov_b32 s40, 0
	s_mov_b32 s43, 0
                                        ; implicit-def: $sgpr41
                                        ; implicit-def: $sgpr42
	s_branch .LBB2_6722
.LBB2_6721:                             ;   in Loop: Header=BB2_6722 Depth=3
	s_or_b32 exec_lo, exec_lo, s45
	s_delay_alu instid0(SALU_CYCLE_1) | instskip(NEXT) | instid1(SALU_CYCLE_1)
	s_and_b32 vcc_lo, exec_lo, vcc_lo
	s_or_b32 s40, vcc_lo, s40
	s_and_not1_b32 vcc_lo, s41, exec_lo
	s_and_b32 s41, s42, exec_lo
	s_delay_alu instid0(SALU_CYCLE_1)
	s_or_b32 s41, vcc_lo, s41
	s_and_not1_b32 exec_lo, exec_lo, s40
	s_cbranch_execz .LBB2_6728
.LBB2_6722:                             ;   Parent Loop BB2_51 Depth=1
                                        ;     Parent Loop BB2_6686 Depth=2
                                        ; =>    This Inner Loop Header: Depth=3
	s_add_i32 s43, s43, 1
                                        ; implicit-def: $sgpr45
	s_delay_alu instid0(SALU_CYCLE_1) | instskip(SKIP_1) | instid1(SALU_CYCLE_1)
	s_cmpk_lg_i32 s43, 0x2710
	s_cselect_b32 s44, -1, 0
	s_and_b32 vcc_lo, exec_lo, s44
	s_cbranch_vccz .LBB2_6726
.LBB2_6723:                             ;   in Loop: Header=BB2_6722 Depth=3
	s_and_not1_b32 s42, s42, exec_lo
	s_and_b32 s45, s45, exec_lo
	s_mov_b32 vcc_lo, -1
	s_or_b32 s42, s42, s45
	s_and_saveexec_b32 s45, s44
	s_cbranch_execz .LBB2_6721
; %bb.6724:                             ;   in Loop: Header=BB2_6722 Depth=3
	s_sleep 1
	s_cbranch_execnz .LBB2_7308
; %bb.6725:                             ;   in Loop: Header=BB2_6722 Depth=3
	ds_load_b64 v[8:9], v0
	s_and_not1_b32 s42, s42, exec_lo
	s_waitcnt lgkmcnt(0)
	v_cmp_ge_u64_e32 vcc_lo, v[8:9], v[32:33]
	s_or_not1_b32 vcc_lo, vcc_lo, exec_lo
	s_branch .LBB2_6721
.LBB2_6726:                             ;   in Loop: Header=BB2_6722 Depth=3
	s_cbranch_execnz .LBB2_7324
; %bb.6727:                             ;   in Loop: Header=BB2_6722 Depth=3
	ds_load_b64 v[8:9], v0
	s_and_not1_b32 s44, s44, exec_lo
	s_mov_b32 s43, 0
	s_mov_b32 s45, -1
	s_waitcnt lgkmcnt(0)
	flat_load_b32 v2, v[8:9] glc
	s_waitcnt vmcnt(0) lgkmcnt(0)
	buffer_gl1_inv
	buffer_gl0_inv
	v_cmp_eq_u32_e32 vcc_lo, 0, v2
	s_and_b32 vcc_lo, vcc_lo, exec_lo
	s_delay_alu instid0(SALU_CYCLE_1)
	s_or_b32 s44, s44, vcc_lo
	s_branch .LBB2_6723
.LBB2_6728:                             ;   in Loop: Header=BB2_6686 Depth=2
	s_or_b32 exec_lo, exec_lo, s40
	s_and_saveexec_b32 vcc_lo, s41
	s_delay_alu instid0(SALU_CYCLE_1)
	s_xor_b32 vcc_lo, exec_lo, vcc_lo
	s_cbranch_execz .LBB2_6730
; %bb.6729:                             ;   in Loop: Header=BB2_6686 Depth=2
	ds_store_b32 v0, v119
	s_cbranch_execnz .LBB2_7444
.LBB2_6730:                             ;   in Loop: Header=BB2_6686 Depth=2
	s_or_b32 exec_lo, exec_lo, s39
	;;#ASMSTART
	s_wakeup
	;;#ASMEND
.LBB2_6731:                             ;   in Loop: Header=BB2_6686 Depth=2
	s_or_b32 exec_lo, exec_lo, s38
.LBB2_6732:                             ;   in Loop: Header=BB2_6686 Depth=2
	s_and_not1_saveexec_b32 s14, s14
	s_cbranch_execz .LBB2_6734
; %bb.6733:                             ;   in Loop: Header=BB2_6686 Depth=2
	s_waitcnt vmcnt(0) lgkmcnt(0)
	s_waitcnt_vscnt null, 0x0
	buffer_gl1_inv
	buffer_gl0_inv
	s_barrier
.LBB2_6734:                             ;   in Loop: Header=BB2_6686 Depth=2
	s_or_b32 exec_lo, exec_lo, s14
.LBB2_6735:                             ;   in Loop: Header=BB2_6686 Depth=2
	s_delay_alu instid0(SALU_CYCLE_1)
	s_or_b32 exec_lo, exec_lo, s13
	s_cbranch_execnz .LBB2_7094
; %bb.6736:                             ;   in Loop: Header=BB2_6686 Depth=2
	ds_load_b32 v8, v0
	v_and_b32_e32 v2, 0x4000, v30
	s_xor_b32 s13, s2, -1
	s_delay_alu instid0(VALU_DEP_1) | instskip(SKIP_1) | instid1(SALU_CYCLE_1)
	v_cmp_ne_u32_e32 vcc_lo, 0, v2
	s_and_b32 s14, s13, vcc_lo
	s_and_saveexec_b32 s13, s14
	s_cbranch_execz .LBB2_6758
; %bb.6737:                             ;   in Loop: Header=BB2_6686 Depth=2
	s_and_saveexec_b32 s14, s4
	s_delay_alu instid0(SALU_CYCLE_1)
	s_xor_b32 s14, exec_lo, s14
	s_cbranch_execz .LBB2_6755
; %bb.6738:                             ;   in Loop: Header=BB2_6686 Depth=2
	s_and_saveexec_b32 s38, s1
	s_cbranch_execz .LBB2_6754
; %bb.6739:                             ;   in Loop: Header=BB2_6686 Depth=2
	s_mov_b32 s40, exec_lo
	s_mov_b32 s39, exec_lo
	v_mbcnt_lo_u32_b32 v2, s40, 0
	s_waitcnt vmcnt(0) lgkmcnt(0)
	s_waitcnt_vscnt null, 0x0
	buffer_gl1_inv
	buffer_gl0_inv
	v_cmpx_eq_u32_e32 0, v2
	s_cbranch_execz .LBB2_6741
; %bb.6740:                             ;   in Loop: Header=BB2_6686 Depth=2
	s_bcnt1_i32_b32 vcc_lo, s40
	s_delay_alu instid0(SALU_CYCLE_1)
	v_mov_b32_e32 v2, vcc_lo
	ds_add_u64 v0, v[2:3]
	s_cbranch_execnz .LBB2_7296
.LBB2_6741:                             ;   in Loop: Header=BB2_6686 Depth=2
	s_or_b32 exec_lo, exec_lo, s39
	s_cbranch_execnz .LBB2_7278
; %bb.6742:                             ;   in Loop: Header=BB2_6686 Depth=2
	ds_load_b64 v[9:10], v0
	v_add_co_u32 v32, vcc_lo, v32, v83
	v_add_co_ci_u32_e32 v33, vcc_lo, 0, v33, vcc_lo
	s_mov_b32 s39, exec_lo
	s_waitcnt lgkmcnt(0)
	s_delay_alu instid0(VALU_DEP_1)
	v_cmpx_lt_u64_e64 v[9:10], v[32:33]
	s_cbranch_execz .LBB2_6753
; %bb.6743:                             ;   in Loop: Header=BB2_6686 Depth=2
	s_mov_b32 s40, 0
	s_mov_b32 s43, 0
                                        ; implicit-def: $sgpr41
                                        ; implicit-def: $sgpr42
	s_branch .LBB2_6745
.LBB2_6744:                             ;   in Loop: Header=BB2_6745 Depth=3
	s_or_b32 exec_lo, exec_lo, s45
	s_delay_alu instid0(SALU_CYCLE_1) | instskip(NEXT) | instid1(SALU_CYCLE_1)
	s_and_b32 vcc_lo, exec_lo, vcc_lo
	s_or_b32 s40, vcc_lo, s40
	s_and_not1_b32 vcc_lo, s41, exec_lo
	s_and_b32 s41, s42, exec_lo
	s_delay_alu instid0(SALU_CYCLE_1)
	s_or_b32 s41, vcc_lo, s41
	s_and_not1_b32 exec_lo, exec_lo, s40
	s_cbranch_execz .LBB2_6751
.LBB2_6745:                             ;   Parent Loop BB2_51 Depth=1
                                        ;     Parent Loop BB2_6686 Depth=2
                                        ; =>    This Inner Loop Header: Depth=3
	s_add_i32 s43, s43, 1
                                        ; implicit-def: $sgpr45
	s_delay_alu instid0(SALU_CYCLE_1) | instskip(SKIP_1) | instid1(SALU_CYCLE_1)
	s_cmpk_lg_i32 s43, 0x2710
	s_cselect_b32 s44, -1, 0
	s_and_b32 vcc_lo, exec_lo, s44
	s_cbranch_vccz .LBB2_6749
.LBB2_6746:                             ;   in Loop: Header=BB2_6745 Depth=3
	s_and_not1_b32 s42, s42, exec_lo
	s_and_b32 s45, s45, exec_lo
	s_mov_b32 vcc_lo, -1
	s_or_b32 s42, s42, s45
	s_and_saveexec_b32 s45, s44
	s_cbranch_execz .LBB2_6744
; %bb.6747:                             ;   in Loop: Header=BB2_6745 Depth=3
	s_sleep 1
	s_cbranch_execnz .LBB2_7362
; %bb.6748:                             ;   in Loop: Header=BB2_6745 Depth=3
	ds_load_b64 v[9:10], v0
	s_and_not1_b32 s42, s42, exec_lo
	s_waitcnt lgkmcnt(0)
	v_cmp_ge_u64_e32 vcc_lo, v[9:10], v[32:33]
	s_or_not1_b32 vcc_lo, vcc_lo, exec_lo
	s_branch .LBB2_6744
.LBB2_6749:                             ;   in Loop: Header=BB2_6745 Depth=3
	s_cbranch_execnz .LBB2_7374
; %bb.6750:                             ;   in Loop: Header=BB2_6745 Depth=3
	ds_load_b64 v[9:10], v0
	s_and_not1_b32 s44, s44, exec_lo
	s_mov_b32 s43, 0
	s_mov_b32 s45, -1
	s_waitcnt lgkmcnt(0)
	flat_load_b32 v2, v[9:10] glc
	s_waitcnt vmcnt(0) lgkmcnt(0)
	buffer_gl1_inv
	buffer_gl0_inv
	v_cmp_eq_u32_e32 vcc_lo, 0, v2
	s_and_b32 vcc_lo, vcc_lo, exec_lo
	s_delay_alu instid0(SALU_CYCLE_1)
	s_or_b32 s44, s44, vcc_lo
	s_branch .LBB2_6746
.LBB2_6751:                             ;   in Loop: Header=BB2_6686 Depth=2
	s_or_b32 exec_lo, exec_lo, s40
	s_and_saveexec_b32 vcc_lo, s41
	s_delay_alu instid0(SALU_CYCLE_1)
	s_xor_b32 vcc_lo, exec_lo, vcc_lo
	s_cbranch_execz .LBB2_6753
; %bb.6752:                             ;   in Loop: Header=BB2_6686 Depth=2
	ds_store_b32 v0, v119
	s_cbranch_execnz .LBB2_7460
.LBB2_6753:                             ;   in Loop: Header=BB2_6686 Depth=2
	s_or_b32 exec_lo, exec_lo, s39
	;;#ASMSTART
	s_wakeup
	;;#ASMEND
.LBB2_6754:                             ;   in Loop: Header=BB2_6686 Depth=2
	s_or_b32 exec_lo, exec_lo, s38
.LBB2_6755:                             ;   in Loop: Header=BB2_6686 Depth=2
	s_and_not1_saveexec_b32 s14, s14
	s_cbranch_execz .LBB2_6757
; %bb.6756:                             ;   in Loop: Header=BB2_6686 Depth=2
	s_waitcnt vmcnt(0) lgkmcnt(0)
	s_waitcnt_vscnt null, 0x0
	buffer_gl1_inv
	buffer_gl0_inv
	s_barrier
.LBB2_6757:                             ;   in Loop: Header=BB2_6686 Depth=2
	s_or_b32 exec_lo, exec_lo, s14
.LBB2_6758:                             ;   in Loop: Header=BB2_6686 Depth=2
	s_delay_alu instid0(SALU_CYCLE_1)
	s_or_b32 exec_lo, exec_lo, s13
	s_cbranch_execnz .LBB2_7152
; %bb.6759:                             ;   in Loop: Header=BB2_6686 Depth=2
	ds_load_b64 v[9:10], v0
	v_sub_nc_u32_e32 v2, v12, v14
	v_mov_b32_e32 v53, 0
	s_delay_alu instid0(VALU_DEP_2) | instskip(SKIP_3) | instid1(SALU_CYCLE_1)
	v_min_i32_e32 v13, v13, v2
	s_waitcnt lgkmcnt(0)
	v_cmp_eq_u64_e32 vcc_lo, 0, v[9:10]
	s_or_b32 s13, vcc_lo, vcc_lo
	s_and_b32 vcc_lo, exec_lo, s13
	s_cbranch_vccnz .LBB2_6793
; %bb.6760:                             ;   in Loop: Header=BB2_6686 Depth=2
	s_mov_b32 s13, -1
	s_and_saveexec_b32 s14, s6
	s_cbranch_execz .LBB2_6762
; %bb.6761:                             ;   in Loop: Header=BB2_6686 Depth=2
	ds_load_b32 v2, v0 offset:720
	s_waitcnt lgkmcnt(0)
	v_and_b32_e32 v2, 15, v2
	s_delay_alu instid0(VALU_DEP_1)
	v_cmp_eq_u32_e32 vcc_lo, 0, v2
	s_or_not1_b32 s13, vcc_lo, exec_lo
.LBB2_6762:                             ;   in Loop: Header=BB2_6686 Depth=2
	s_or_b32 exec_lo, exec_lo, s14
	s_and_saveexec_b32 s14, s5
	s_cbranch_execz .LBB2_6764
; %bb.6763:                             ;   in Loop: Header=BB2_6686 Depth=2
	ds_load_b32 v2, v0 offset:784
	s_waitcnt lgkmcnt(0)
	v_and_b32_e32 v2, 15, v2
	s_delay_alu instid0(VALU_DEP_1) | instskip(SKIP_3) | instid1(SALU_CYCLE_1)
	v_cmp_eq_u32_e32 vcc_lo, 0, v2
	s_and_b32 vcc_lo, s13, vcc_lo
	s_and_not1_b32 s13, s13, exec_lo
	s_and_b32 vcc_lo, vcc_lo, exec_lo
	s_or_b32 s13, s13, vcc_lo
.LBB2_6764:                             ;   in Loop: Header=BB2_6686 Depth=2
	s_or_b32 exec_lo, exec_lo, s14
	v_cmp_eq_u32_e32 vcc_lo, 0, v8
	s_xor_b32 s13, s13, -1
	s_waitcnt vmcnt(0)
	v_mov_b32_e32 v66, v84
	v_cndmask_b32_e64 v2, 0, 1, s13
	;;#ASMSTART
	;;#ASMEND
	v_cndmask_b32_e32 v53, 0, v13, vcc_lo
	s_delay_alu instid0(VALU_DEP_2) | instskip(SKIP_2) | instid1(VALU_DEP_3)
	v_cmp_ne_u32_e32 vcc_lo, 0, v2
	v_mov_b32_e32 v2, 0
	s_mov_b32 s13, -1
	v_dual_mov_b32 v55, v0 :: v_dual_mov_b32 v54, v53
	s_cbranch_vccnz .LBB2_6780
; %bb.6765:                             ;   in Loop: Header=BB2_6686 Depth=2
	v_ashrrev_i32_e32 v2, 31, v53
	s_mov_b32 s14, exec_lo
	s_delay_alu instid0(VALU_DEP_1) | instskip(NEXT) | instid1(VALU_DEP_1)
	v_lshrrev_b32_e32 v2, 22, v2
	v_add_nc_u32_e32 v2, v53, v2
	s_delay_alu instid0(VALU_DEP_1) | instskip(NEXT) | instid1(VALU_DEP_1)
	v_ashrrev_i32_e32 v2, 10, v2
	v_sub_nc_u32_e32 v64, v2, v84
	s_delay_alu instid0(VALU_DEP_1)
	v_cmpx_lt_i32_e32 0, v64
	s_cbranch_execz .LBB2_6770
; %bb.6766:                             ;   in Loop: Header=BB2_6686 Depth=2
	s_cbranch_execnz .LBB2_7330
; %bb.6767:                             ;   in Loop: Header=BB2_6686 Depth=2
	ds_load_b64 v[8:9], v0
	v_dual_mov_b32 v10, v38 :: v_dual_mov_b32 v11, v39
	s_mov_b32 s38, 0
.LBB2_6768:                             ;   Parent Loop BB2_51 Depth=1
                                        ;     Parent Loop BB2_6686 Depth=2
                                        ; =>    This Inner Loop Header: Depth=3
	s_waitcnt lgkmcnt(0)
	s_delay_alu instid0(VALU_DEP_1) | instskip(NEXT) | instid1(VALU_DEP_2)
	v_add_co_u32 v54, vcc_lo, v8, v10
	v_add_co_ci_u32_e32 v55, vcc_lo, v9, v11, vcc_lo
	v_sub_nc_u32_e32 v64, v64, v83
	v_add_co_u32 v10, s13, v10, v96
	s_clause 0x1
	global_load_b128 v[65:68], v[54:55], off slc dlc
	global_load_b128 v[128:131], v[54:55], off offset:512 slc dlc
	v_add_co_ci_u32_e64 v11, s13, v11, v97, s13
	v_cmp_gt_i32_e32 vcc_lo, 1, v64
	s_waitcnt vmcnt(1)
	global_store_b128 v[54:55], v[65:68], off glc slc dlc
	s_waitcnt vmcnt(0)
	global_store_b128 v[54:55], v[128:131], off offset:512 glc slc dlc
	s_or_b32 s38, vcc_lo, s38
	s_delay_alu instid0(SALU_CYCLE_1)
	s_and_not1_b32 exec_lo, exec_lo, s38
	s_cbranch_execnz .LBB2_6768
; %bb.6769:                             ;   in Loop: Header=BB2_6686 Depth=2
	s_or_b32 exec_lo, exec_lo, s38
.LBB2_6770:                             ;   in Loop: Header=BB2_6686 Depth=2
	s_delay_alu instid0(SALU_CYCLE_1) | instskip(SKIP_4) | instid1(VALU_DEP_2)
	s_or_b32 exec_lo, exec_lo, s14
	v_lshlrev_b32_e32 v10, 10, v2
	v_mov_b32_e32 v2, 0
	s_mov_b32 s13, 0
	s_mov_b32 s38, exec_lo
                                        ; implicit-def: $vgpr54
                                        ; implicit-def: $vgpr55
                                        ; implicit-def: $vgpr66
	v_cmpx_ne_u32_e64 v53, v10
	s_cbranch_execz .LBB2_6779
; %bb.6771:                             ;   in Loop: Header=BB2_6686 Depth=2
	v_lshlrev_b32_e32 v2, 5, v64
	v_sub_nc_u32_e32 v9, v53, v10
	s_mov_b32 s39, exec_lo
	s_delay_alu instid0(VALU_DEP_2) | instskip(NEXT) | instid1(VALU_DEP_2)
	v_sub_nc_u32_e32 v2, v85, v2
	v_ashrrev_i32_e32 v11, 31, v9
	s_delay_alu instid0(VALU_DEP_2) | instskip(NEXT) | instid1(VALU_DEP_2)
	v_ashrrev_i32_e32 v8, 31, v2
	v_lshrrev_b32_e32 v11, 23, v11
	s_delay_alu instid0(VALU_DEP_2) | instskip(NEXT) | instid1(VALU_DEP_2)
	v_lshrrev_b32_e32 v8, 27, v8
	v_add_nc_u32_e32 v55, v9, v11
	s_delay_alu instid0(VALU_DEP_2) | instskip(NEXT) | instid1(VALU_DEP_2)
	v_add_nc_u32_e32 v8, v2, v8
	v_and_b32_e32 v11, 0xfffffe00, v55
	v_ashrrev_i32_e32 v55, 9, v55
	s_delay_alu instid0(VALU_DEP_3) | instskip(NEXT) | instid1(VALU_DEP_3)
	v_and_b32_e32 v54, 0xffffffe0, v8
	v_sub_nc_u32_e32 v65, v9, v11
	v_ashrrev_i32_e32 v8, 5, v8
	s_delay_alu instid0(VALU_DEP_3) | instskip(NEXT) | instid1(VALU_DEP_3)
	v_sub_nc_u32_e32 v64, v2, v54
	v_cmp_lt_i32_e32 vcc_lo, 15, v65
	s_delay_alu instid0(VALU_DEP_2) | instskip(SKIP_1) | instid1(VALU_DEP_2)
	v_lshlrev_b32_e32 v2, 4, v64
	v_add_co_ci_u32_e64 v55, s13, 0, v55, vcc_lo
	v_lshl_add_u32 v54, v8, 9, v2
	s_delay_alu instid0(VALU_DEP_2) | instskip(NEXT) | instid1(VALU_DEP_2)
	v_sub_nc_u32_e32 v67, v55, v8
	v_sub_nc_u32_e32 v2, v9, v54
	s_delay_alu instid0(VALU_DEP_1)
	v_cmpx_lt_i32_e32 15, v2
	s_cbranch_execz .LBB2_6776
; %bb.6772:                             ;   in Loop: Header=BB2_6686 Depth=2
	s_cbranch_execnz .LBB2_7386
; %bb.6773:                             ;   in Loop: Header=BB2_6686 Depth=2
	ds_load_b64 v[8:9], v0
	v_add_nc_u32_e32 v54, v54, v10
	s_mov_b32 s40, 0
	s_delay_alu instid0(VALU_DEP_1)
	v_ashrrev_i32_e32 v55, 31, v54
.LBB2_6774:                             ;   Parent Loop BB2_51 Depth=1
                                        ;     Parent Loop BB2_6686 Depth=2
                                        ; =>    This Inner Loop Header: Depth=3
	s_waitcnt lgkmcnt(0)
	v_add_co_u32 v128, s13, v8, v54
	s_delay_alu instid0(VALU_DEP_1)
	v_add_co_ci_u32_e64 v129, s13, v9, v55, s13
	v_sub_nc_u32_e32 v2, v2, v86
	v_add_co_u32 v54, s14, v54, v100
	global_load_b128 v[68:71], v[128:129], off slc dlc
	v_sub_nc_u32_e32 v67, v67, v83
	v_cmp_gt_i32_e64 s13, 16, v2
	v_add_co_ci_u32_e64 v55, s14, v55, v101, s14
	s_delay_alu instid0(VALU_DEP_2)
	s_or_b32 s40, s13, s40
	s_waitcnt vmcnt(0)
	global_store_b128 v[128:129], v[68:71], off glc slc dlc
	s_and_not1_b32 exec_lo, exec_lo, s40
	s_cbranch_execnz .LBB2_6774
; %bb.6775:                             ;   in Loop: Header=BB2_6686 Depth=2
	s_or_b32 exec_lo, exec_lo, s40
.LBB2_6776:                             ;   in Loop: Header=BB2_6686 Depth=2
	s_delay_alu instid0(SALU_CYCLE_1) | instskip(SKIP_4) | instid1(VALU_DEP_2)
	s_or_b32 exec_lo, exec_lo, s39
	v_and_b32_e32 v8, 15, v53
	v_mov_b32_e32 v2, 0
	s_mov_b32 s14, 0
	s_mov_b32 s39, exec_lo
                                        ; implicit-def: $vgpr55
                                        ; implicit-def: $vgpr66
	v_cndmask_b32_e32 v54, v65, v8, vcc_lo
	s_delay_alu instid0(VALU_DEP_1)
	v_cmpx_ne_u32_e32 0, v54
; %bb.6777:                             ;   in Loop: Header=BB2_6686 Depth=2
	v_cmp_lt_i32_e64 s13, 0, v67
	v_sub_nc_u32_e32 v8, v65, v8
	s_mov_b32 s14, exec_lo
	s_delay_alu instid0(VALU_DEP_2) | instskip(NEXT) | instid1(VALU_DEP_1)
	v_cndmask_b32_e64 v2, 0, v83, s13
	v_sub_nc_u32_e32 v2, v2, v67
	s_delay_alu instid0(VALU_DEP_1) | instskip(NEXT) | instid1(VALU_DEP_1)
	v_lshl_add_u32 v55, v2, 5, v64
	v_ashrrev_i32_e32 v2, 31, v55
	s_delay_alu instid0(VALU_DEP_1) | instskip(NEXT) | instid1(VALU_DEP_1)
	v_lshrrev_b32_e32 v2, 27, v2
	v_dual_cndmask_b32 v8, 0, v8 :: v_dual_add_nc_u32 v9, v55, v2
	s_delay_alu instid0(VALU_DEP_1) | instskip(NEXT) | instid1(VALU_DEP_2)
	v_add3_u32 v2, v11, v10, v8
	v_ashrrev_i32_e32 v66, 5, v9
; %bb.6778:                             ;   in Loop: Header=BB2_6686 Depth=2
	s_or_b32 exec_lo, exec_lo, s39
	s_delay_alu instid0(SALU_CYCLE_1)
	s_and_b32 s13, s14, exec_lo
.LBB2_6779:                             ;   in Loop: Header=BB2_6686 Depth=2
	s_or_b32 exec_lo, exec_lo, s38
.LBB2_6780:                             ;   in Loop: Header=BB2_6686 Depth=2
	s_and_saveexec_b32 s14, s13
	s_cbranch_execz .LBB2_6792
; %bb.6781:                             ;   in Loop: Header=BB2_6686 Depth=2
	s_delay_alu instid0(VALU_DEP_1) | instskip(SKIP_1) | instid1(VALU_DEP_1)
	v_ashrrev_i32_e32 v8, 31, v54
	s_mov_b32 s13, exec_lo
	v_lshrrev_b32_e32 v8, 24, v8
	s_delay_alu instid0(VALU_DEP_1) | instskip(NEXT) | instid1(VALU_DEP_1)
	v_add_nc_u32_e32 v8, v54, v8
	v_ashrrev_i32_e32 v65, 8, v8
	s_delay_alu instid0(VALU_DEP_1) | instskip(NEXT) | instid1(VALU_DEP_1)
	v_sub_nc_u32_e32 v64, v65, v66
	v_cmpx_lt_i32_e32 0, v64
	s_cbranch_execz .LBB2_6786
; %bb.6782:                             ;   in Loop: Header=BB2_6686 Depth=2
	s_cbranch_execnz .LBB2_7320
; %bb.6783:                             ;   in Loop: Header=BB2_6686 Depth=2
	v_ashrrev_i32_e32 v8, 31, v55
	s_mov_b32 s38, 0
	s_delay_alu instid0(VALU_DEP_1) | instskip(NEXT) | instid1(VALU_DEP_1)
	v_lshrrev_b32_e32 v8, 27, v8
	v_add_nc_u32_e32 v10, v55, v8
	ds_load_b64 v[8:9], v0
	v_lshlrev_b32_e32 v11, 8, v66
	v_and_b32_e32 v10, 0xffffffe0, v10
	s_delay_alu instid0(VALU_DEP_1) | instskip(NEXT) | instid1(VALU_DEP_1)
	v_sub_nc_u32_e32 v10, v55, v10
	v_add3_u32 v66, v2, v10, v11
	s_delay_alu instid0(VALU_DEP_1)
	v_ashrrev_i32_e32 v67, 31, v66
	s_waitcnt lgkmcnt(0)
	v_dual_mov_b32 v11, v9 :: v_dual_mov_b32 v10, v8
.LBB2_6784:                             ;   Parent Loop BB2_51 Depth=1
                                        ;     Parent Loop BB2_6686 Depth=2
                                        ; =>    This Inner Loop Header: Depth=3
	s_delay_alu instid0(VALU_DEP_1) | instskip(NEXT) | instid1(VALU_DEP_2)
	v_add_co_u32 v68, vcc_lo, v66, v10
	v_add_co_ci_u32_e32 v69, vcc_lo, v67, v11, vcc_lo
	v_sub_nc_u32_e32 v64, v64, v83
	s_clause 0x7
	flat_load_u8 v70, v[68:69] slc dlc
	flat_load_u8 v71, v[68:69] offset:32 slc dlc
	flat_load_u8 v128, v[68:69] offset:64 slc dlc
	;; [unrolled: 1-line block ×7, first 2 shown]
	v_add_co_u32 v68, vcc_lo, v66, v8
	v_add_co_ci_u32_e32 v69, vcc_lo, v67, v9, vcc_lo
	v_add_co_u32 v10, vcc_lo, v10, v103
	v_add_co_ci_u32_e32 v11, vcc_lo, v11, v112, vcc_lo
	;; [unrolled: 2-line block ×3, first 2 shown]
	v_cmp_gt_i32_e32 vcc_lo, 1, v64
	s_waitcnt vmcnt(7) lgkmcnt(7)
	flat_store_b8 v[68:69], v70 glc slc dlc
	s_waitcnt vmcnt(6) lgkmcnt(7)
	flat_store_b8 v[68:69], v71 offset:32 glc slc dlc
	s_waitcnt vmcnt(5) lgkmcnt(7)
	flat_store_b8 v[68:69], v128 offset:64 glc slc dlc
	;; [unrolled: 2-line block ×7, first 2 shown]
	s_or_b32 s38, vcc_lo, s38
	s_delay_alu instid0(SALU_CYCLE_1)
	s_and_not1_b32 exec_lo, exec_lo, s38
	s_cbranch_execnz .LBB2_6784
; %bb.6785:                             ;   in Loop: Header=BB2_6686 Depth=2
	s_or_b32 exec_lo, exec_lo, s38
.LBB2_6786:                             ;   in Loop: Header=BB2_6686 Depth=2
	s_delay_alu instid0(SALU_CYCLE_1) | instskip(SKIP_2) | instid1(VALU_DEP_1)
	s_or_b32 exec_lo, exec_lo, s13
	v_lshlrev_b32_e32 v8, 8, v65
	s_mov_b32 s38, exec_lo
	v_cmpx_ne_u32_e64 v54, v8
	s_cbranch_execz .LBB2_6791
; %bb.6787:                             ;   in Loop: Header=BB2_6686 Depth=2
	v_ashrrev_i32_e32 v9, 31, v55
	v_lshlrev_b32_e32 v10, 5, v64
	s_delay_alu instid0(VALU_DEP_2) | instskip(NEXT) | instid1(VALU_DEP_1)
	v_lshrrev_b32_e32 v9, 27, v9
	v_add_nc_u32_e32 v9, v55, v9
	s_delay_alu instid0(VALU_DEP_1) | instskip(NEXT) | instid1(VALU_DEP_1)
	v_and_b32_e32 v9, 0xffffffe0, v9
	v_sub_nc_u32_e32 v9, v55, v9
	s_delay_alu instid0(VALU_DEP_1) | instskip(NEXT) | instid1(VALU_DEP_1)
	v_sub_nc_u32_e32 v9, v9, v10
	v_add_nc_u32_e32 v11, v8, v9
	s_delay_alu instid0(VALU_DEP_1) | instskip(NEXT) | instid1(VALU_DEP_1)
	v_sub_nc_u32_e32 v10, v54, v11
	v_cmp_lt_i32_e32 vcc_lo, 0, v10
	s_and_b32 exec_lo, exec_lo, vcc_lo
	s_cbranch_execz .LBB2_6791
; %bb.6788:                             ;   in Loop: Header=BB2_6686 Depth=2
	s_cbranch_execnz .LBB2_7380
; %bb.6789:                             ;   in Loop: Header=BB2_6686 Depth=2
	ds_load_b64 v[8:9], v0
	v_add_nc_u32_e32 v2, v11, v2
	s_mov_b32 s39, 0
	s_delay_alu instid0(VALU_DEP_1)
	v_ashrrev_i32_e32 v11, 31, v2
.LBB2_6790:                             ;   Parent Loop BB2_51 Depth=1
                                        ;     Parent Loop BB2_6686 Depth=2
                                        ; =>    This Inner Loop Header: Depth=3
	s_waitcnt lgkmcnt(0)
	v_add_co_u32 v54, vcc_lo, v8, v2
	s_delay_alu instid0(VALU_DEP_2)
	v_add_co_ci_u32_e32 v55, vcc_lo, v9, v11, vcc_lo
	v_sub_nc_u32_e32 v10, v10, v99
	v_add_co_u32 v2, s13, v2, v114
	flat_load_u8 v64, v[54:55] slc dlc
	v_add_co_ci_u32_e64 v11, s13, v11, v115, s13
	v_cmp_gt_i32_e32 vcc_lo, 1, v10
	s_or_b32 s39, vcc_lo, s39
	s_waitcnt vmcnt(0) lgkmcnt(0)
	flat_store_b8 v[54:55], v64 glc slc dlc
	s_and_not1_b32 exec_lo, exec_lo, s39
	s_cbranch_execnz .LBB2_6790
.LBB2_6791:                             ;   in Loop: Header=BB2_6686 Depth=2
	s_or_b32 exec_lo, exec_lo, s38
.LBB2_6792:                             ;   in Loop: Header=BB2_6686 Depth=2
	s_delay_alu instid0(SALU_CYCLE_1)
	s_or_b32 exec_lo, exec_lo, s14
.LBB2_6793:                             ;   in Loop: Header=BB2_6686 Depth=2
	s_and_saveexec_b32 s13, s3
	s_cbranch_execz .LBB2_6815
; %bb.6794:                             ;   in Loop: Header=BB2_6686 Depth=2
	s_and_saveexec_b32 s14, s4
	s_delay_alu instid0(SALU_CYCLE_1)
	s_xor_b32 s14, exec_lo, s14
	s_cbranch_execz .LBB2_6812
; %bb.6795:                             ;   in Loop: Header=BB2_6686 Depth=2
	s_and_saveexec_b32 s38, s1
	s_cbranch_execz .LBB2_6811
; %bb.6796:                             ;   in Loop: Header=BB2_6686 Depth=2
	s_mov_b32 s40, exec_lo
	s_mov_b32 s39, exec_lo
	v_mbcnt_lo_u32_b32 v2, s40, 0
	s_waitcnt vmcnt(0) lgkmcnt(0)
	s_waitcnt_vscnt null, 0x0
	buffer_gl1_inv
	buffer_gl0_inv
	v_cmpx_eq_u32_e32 0, v2
	s_cbranch_execz .LBB2_6798
; %bb.6797:                             ;   in Loop: Header=BB2_6686 Depth=2
	s_bcnt1_i32_b32 vcc_lo, s40
	s_delay_alu instid0(SALU_CYCLE_1)
	v_mov_b32_e32 v2, vcc_lo
	ds_add_u64 v0, v[2:3]
	s_cbranch_execnz .LBB2_7366
.LBB2_6798:                             ;   in Loop: Header=BB2_6686 Depth=2
	s_or_b32 exec_lo, exec_lo, s39
	s_cbranch_execnz .LBB2_7340
; %bb.6799:                             ;   in Loop: Header=BB2_6686 Depth=2
	ds_load_b64 v[8:9], v0
	v_add_co_u32 v32, vcc_lo, v32, v83
	v_add_co_ci_u32_e32 v33, vcc_lo, 0, v33, vcc_lo
	s_mov_b32 s39, exec_lo
	s_waitcnt lgkmcnt(0)
	s_delay_alu instid0(VALU_DEP_1)
	v_cmpx_lt_u64_e64 v[8:9], v[32:33]
	s_cbranch_execz .LBB2_6810
; %bb.6800:                             ;   in Loop: Header=BB2_6686 Depth=2
	s_mov_b32 s40, 0
	s_mov_b32 s43, 0
                                        ; implicit-def: $sgpr41
                                        ; implicit-def: $sgpr42
	s_branch .LBB2_6802
.LBB2_6801:                             ;   in Loop: Header=BB2_6802 Depth=3
	s_or_b32 exec_lo, exec_lo, s45
	s_delay_alu instid0(SALU_CYCLE_1) | instskip(NEXT) | instid1(SALU_CYCLE_1)
	s_and_b32 vcc_lo, exec_lo, vcc_lo
	s_or_b32 s40, vcc_lo, s40
	s_and_not1_b32 vcc_lo, s41, exec_lo
	s_and_b32 s41, s42, exec_lo
	s_delay_alu instid0(SALU_CYCLE_1)
	s_or_b32 s41, vcc_lo, s41
	s_and_not1_b32 exec_lo, exec_lo, s40
	s_cbranch_execz .LBB2_6808
.LBB2_6802:                             ;   Parent Loop BB2_51 Depth=1
                                        ;     Parent Loop BB2_6686 Depth=2
                                        ; =>    This Inner Loop Header: Depth=3
	s_add_i32 s43, s43, 1
                                        ; implicit-def: $sgpr45
	s_delay_alu instid0(SALU_CYCLE_1) | instskip(SKIP_1) | instid1(SALU_CYCLE_1)
	s_cmpk_lg_i32 s43, 0x2710
	s_cselect_b32 s44, -1, 0
	s_and_b32 vcc_lo, exec_lo, s44
	s_cbranch_vccnz .LBB2_6805
; %bb.6803:                             ;   in Loop: Header=BB2_6802 Depth=3
	s_cbranch_execnz .LBB2_7410
; %bb.6804:                             ;   in Loop: Header=BB2_6802 Depth=3
	ds_load_b64 v[8:9], v0
	s_and_not1_b32 s44, s44, exec_lo
	s_mov_b32 s43, 0
	s_mov_b32 s45, -1
	s_waitcnt lgkmcnt(0)
	flat_load_b32 v2, v[8:9] glc
	s_waitcnt vmcnt(0) lgkmcnt(0)
	buffer_gl1_inv
	buffer_gl0_inv
	v_cmp_eq_u32_e32 vcc_lo, 0, v2
	s_and_b32 vcc_lo, vcc_lo, exec_lo
	s_delay_alu instid0(SALU_CYCLE_1)
	s_or_b32 s44, s44, vcc_lo
.LBB2_6805:                             ;   in Loop: Header=BB2_6802 Depth=3
	s_and_not1_b32 s42, s42, exec_lo
	s_and_b32 s45, s45, exec_lo
	s_mov_b32 vcc_lo, -1
	s_or_b32 s42, s42, s45
	s_and_saveexec_b32 s45, s44
	s_cbranch_execz .LBB2_6801
; %bb.6806:                             ;   in Loop: Header=BB2_6802 Depth=3
	s_sleep 1
	s_cbranch_execnz .LBB2_7398
; %bb.6807:                             ;   in Loop: Header=BB2_6802 Depth=3
	ds_load_b64 v[8:9], v0
	s_and_not1_b32 s42, s42, exec_lo
	s_waitcnt lgkmcnt(0)
	v_cmp_ge_u64_e32 vcc_lo, v[8:9], v[32:33]
	s_or_not1_b32 vcc_lo, vcc_lo, exec_lo
	s_branch .LBB2_6801
.LBB2_6808:                             ;   in Loop: Header=BB2_6686 Depth=2
	s_or_b32 exec_lo, exec_lo, s40
	s_and_saveexec_b32 vcc_lo, s41
	s_delay_alu instid0(SALU_CYCLE_1)
	s_xor_b32 vcc_lo, exec_lo, vcc_lo
	s_cbranch_execz .LBB2_6810
; %bb.6809:                             ;   in Loop: Header=BB2_6686 Depth=2
	ds_store_b32 v0, v119
	s_cbranch_execnz .LBB2_7464
.LBB2_6810:                             ;   in Loop: Header=BB2_6686 Depth=2
	s_or_b32 exec_lo, exec_lo, s39
	;;#ASMSTART
	s_wakeup
	;;#ASMEND
.LBB2_6811:                             ;   in Loop: Header=BB2_6686 Depth=2
	s_or_b32 exec_lo, exec_lo, s38
.LBB2_6812:                             ;   in Loop: Header=BB2_6686 Depth=2
	s_and_not1_saveexec_b32 s14, s14
	s_cbranch_execz .LBB2_6814
; %bb.6813:                             ;   in Loop: Header=BB2_6686 Depth=2
	s_waitcnt vmcnt(0) lgkmcnt(0)
	s_waitcnt_vscnt null, 0x0
	buffer_gl1_inv
	buffer_gl0_inv
	s_barrier
.LBB2_6814:                             ;   in Loop: Header=BB2_6686 Depth=2
	s_or_b32 exec_lo, exec_lo, s14
.LBB2_6815:                             ;   in Loop: Header=BB2_6686 Depth=2
	s_delay_alu instid0(SALU_CYCLE_1) | instskip(SKIP_1) | instid1(SALU_CYCLE_1)
	s_or_b32 exec_lo, exec_lo, s13
	s_and_saveexec_b32 s13, s7
	s_xor_b32 s14, exec_lo, s13
	s_cbranch_execz .LBB2_6819
; %bb.6816:                             ;   in Loop: Header=BB2_6686 Depth=2
	v_and_b32_e32 v2, 16, v30
	v_cmp_lt_i32_e32 vcc_lo, 0, v53
	s_delay_alu instid0(VALU_DEP_2) | instskip(NEXT) | instid1(VALU_DEP_1)
	v_cmp_ne_u32_e64 s13, 0, v2
	s_and_b32 vcc_lo, s13, vcc_lo
	s_delay_alu instid0(SALU_CYCLE_1)
	s_and_saveexec_b32 s13, vcc_lo
	s_cbranch_execz .LBB2_6818
; %bb.6817:                             ;   in Loop: Header=BB2_6686 Depth=2
	s_waitcnt vmcnt(0) lgkmcnt(0)
	s_waitcnt_vscnt null, 0x0
	buffer_gl1_inv
	buffer_gl0_inv
.LBB2_6818:                             ;   in Loop: Header=BB2_6686 Depth=2
	s_or_b32 exec_lo, exec_lo, s13
.LBB2_6819:                             ;   in Loop: Header=BB2_6686 Depth=2
	s_and_not1_saveexec_b32 s13, s14
	s_cbranch_execz .LBB2_6841
; %bb.6820:                             ;   in Loop: Header=BB2_6686 Depth=2
	s_and_saveexec_b32 s14, s4
	s_delay_alu instid0(SALU_CYCLE_1)
	s_xor_b32 s14, exec_lo, s14
	s_cbranch_execz .LBB2_6838
; %bb.6821:                             ;   in Loop: Header=BB2_6686 Depth=2
	s_and_saveexec_b32 s38, s1
	s_cbranch_execz .LBB2_6837
; %bb.6822:                             ;   in Loop: Header=BB2_6686 Depth=2
	s_mov_b32 s40, exec_lo
	s_mov_b32 s39, exec_lo
	v_mbcnt_lo_u32_b32 v2, s40, 0
	;;#ASMSTART
	s_waitcnt lgkmcnt(0) vmcnt(0)
	;;#ASMEND
	s_delay_alu instid0(VALU_DEP_1)
	v_cmpx_eq_u32_e32 0, v2
	s_cbranch_execz .LBB2_6824
; %bb.6823:                             ;   in Loop: Header=BB2_6686 Depth=2
	s_bcnt1_i32_b32 vcc_lo, s40
	s_delay_alu instid0(SALU_CYCLE_1)
	v_mov_b32_e32 v2, vcc_lo
	ds_add_u64 v0, v[2:3]
	s_cbranch_execnz .LBB2_7370
.LBB2_6824:                             ;   in Loop: Header=BB2_6686 Depth=2
	s_or_b32 exec_lo, exec_lo, s39
	s_cbranch_execnz .LBB2_7350
; %bb.6825:                             ;   in Loop: Header=BB2_6686 Depth=2
	ds_load_b64 v[8:9], v0
	v_add_co_u32 v32, vcc_lo, v32, v83
	v_add_co_ci_u32_e32 v33, vcc_lo, 0, v33, vcc_lo
	s_mov_b32 s39, exec_lo
	s_waitcnt lgkmcnt(0)
	s_delay_alu instid0(VALU_DEP_1)
	v_cmpx_lt_u64_e64 v[8:9], v[32:33]
	s_cbranch_execz .LBB2_6836
; %bb.6826:                             ;   in Loop: Header=BB2_6686 Depth=2
	s_mov_b32 s40, 0
	s_mov_b32 s43, 0
                                        ; implicit-def: $sgpr41
                                        ; implicit-def: $sgpr42
	s_branch .LBB2_6828
.LBB2_6827:                             ;   in Loop: Header=BB2_6828 Depth=3
	s_or_b32 exec_lo, exec_lo, s45
	s_delay_alu instid0(SALU_CYCLE_1) | instskip(NEXT) | instid1(SALU_CYCLE_1)
	s_and_b32 vcc_lo, exec_lo, vcc_lo
	s_or_b32 s40, vcc_lo, s40
	s_and_not1_b32 vcc_lo, s41, exec_lo
	s_and_b32 s41, s42, exec_lo
	s_delay_alu instid0(SALU_CYCLE_1)
	s_or_b32 s41, vcc_lo, s41
	s_and_not1_b32 exec_lo, exec_lo, s40
	s_cbranch_execz .LBB2_6834
.LBB2_6828:                             ;   Parent Loop BB2_51 Depth=1
                                        ;     Parent Loop BB2_6686 Depth=2
                                        ; =>    This Inner Loop Header: Depth=3
	s_add_i32 s43, s43, 1
                                        ; implicit-def: $sgpr45
	s_delay_alu instid0(SALU_CYCLE_1) | instskip(SKIP_1) | instid1(SALU_CYCLE_1)
	s_cmpk_lg_i32 s43, 0x2710
	s_cselect_b32 s44, -1, 0
	s_and_b32 vcc_lo, exec_lo, s44
	s_cbranch_vccz .LBB2_6832
.LBB2_6829:                             ;   in Loop: Header=BB2_6828 Depth=3
	s_and_not1_b32 s42, s42, exec_lo
	s_and_b32 s45, s45, exec_lo
	s_mov_b32 vcc_lo, -1
	s_or_b32 s42, s42, s45
	s_and_saveexec_b32 s45, s44
	s_cbranch_execz .LBB2_6827
; %bb.6830:                             ;   in Loop: Header=BB2_6828 Depth=3
	s_sleep 1
	s_cbranch_execnz .LBB2_7404
; %bb.6831:                             ;   in Loop: Header=BB2_6828 Depth=3
	ds_load_b64 v[8:9], v0
	s_and_not1_b32 s42, s42, exec_lo
	s_waitcnt lgkmcnt(0)
	v_cmp_ge_u64_e32 vcc_lo, v[8:9], v[32:33]
	s_or_not1_b32 vcc_lo, vcc_lo, exec_lo
	s_branch .LBB2_6827
.LBB2_6832:                             ;   in Loop: Header=BB2_6828 Depth=3
	s_cbranch_execnz .LBB2_7418
; %bb.6833:                             ;   in Loop: Header=BB2_6828 Depth=3
	ds_load_b64 v[8:9], v0
	s_and_not1_b32 s44, s44, exec_lo
	s_mov_b32 s43, 0
	s_mov_b32 s45, -1
	s_waitcnt vmcnt(0) lgkmcnt(0)
	s_waitcnt_vscnt null, 0x0
	flat_load_b32 v2, v[8:9] glc
	s_waitcnt vmcnt(0) lgkmcnt(0)
	buffer_gl1_inv
	buffer_gl0_inv
	v_cmp_eq_u32_e32 vcc_lo, 0, v2
	s_and_b32 vcc_lo, vcc_lo, exec_lo
	s_delay_alu instid0(SALU_CYCLE_1)
	s_or_b32 s44, s44, vcc_lo
	s_branch .LBB2_6829
.LBB2_6834:                             ;   in Loop: Header=BB2_6686 Depth=2
	s_or_b32 exec_lo, exec_lo, s40
	s_and_saveexec_b32 vcc_lo, s41
	s_delay_alu instid0(SALU_CYCLE_1)
	s_xor_b32 vcc_lo, exec_lo, vcc_lo
	s_cbranch_execz .LBB2_6836
; %bb.6835:                             ;   in Loop: Header=BB2_6686 Depth=2
	ds_store_b32 v0, v119
	s_cbranch_execnz .LBB2_7466
.LBB2_6836:                             ;   in Loop: Header=BB2_6686 Depth=2
	s_or_b32 exec_lo, exec_lo, s39
	;;#ASMSTART
	s_wakeup
	;;#ASMEND
.LBB2_6837:                             ;   in Loop: Header=BB2_6686 Depth=2
	s_or_b32 exec_lo, exec_lo, s38
.LBB2_6838:                             ;   in Loop: Header=BB2_6686 Depth=2
	s_and_not1_saveexec_b32 s14, s14
	s_cbranch_execz .LBB2_6840
; %bb.6839:                             ;   in Loop: Header=BB2_6686 Depth=2
	;;#ASMSTART
	s_waitcnt lgkmcnt(0) vmcnt(0)
	;;#ASMEND
	s_waitcnt vmcnt(0) lgkmcnt(0)
	s_waitcnt_vscnt null, 0x0
	s_barrier
.LBB2_6840:                             ;   in Loop: Header=BB2_6686 Depth=2
	s_or_b32 exec_lo, exec_lo, s14
.LBB2_6841:                             ;   in Loop: Header=BB2_6686 Depth=2
	s_delay_alu instid0(SALU_CYCLE_1) | instskip(SKIP_2) | instid1(VALU_DEP_1)
	s_or_b32 exec_lo, exec_lo, s13
	v_and_b32_e32 v2, 32, v30
	s_mov_b32 s13, exec_lo
	v_cmpx_ne_u32_e32 0, v2
	s_cbranch_execz .LBB2_6843
; %bb.6842:                             ;   in Loop: Header=BB2_6686 Depth=2
	v_add_co_u32 v24, vcc_lo, v24, 2
	v_add_co_ci_u32_e32 v25, vcc_lo, 0, v25, vcc_lo
	s_waitcnt vmcnt(0) lgkmcnt(0)
	s_waitcnt_vscnt null, 0x0
	flat_store_b64 v[22:23], v[24:25]
.LBB2_6843:                             ;   in Loop: Header=BB2_6686 Depth=2
	s_or_b32 exec_lo, exec_lo, s13
	v_add_nc_u32_e32 v14, v13, v14
	s_xor_b32 s13, s17, -1
	v_mov_b32_e32 v2, s37
	s_mov_b32 s17, 0
	s_mov_b32 s37, 2
	v_cmp_ge_i32_e32 vcc_lo, v14, v12
	s_or_b32 s13, s13, vcc_lo
	s_delay_alu instid0(SALU_CYCLE_1) | instskip(NEXT) | instid1(SALU_CYCLE_1)
	s_and_b32 s13, exec_lo, s13
	s_or_b32 s16, s13, s16
	s_delay_alu instid0(SALU_CYCLE_1)
	s_and_not1_b32 exec_lo, exec_lo, s16
	s_cbranch_execnz .LBB2_6686
; %bb.6844:                             ;   in Loop: Header=BB2_51 Depth=1
	s_or_b32 exec_lo, exec_lo, s16
.LBB2_6845:                             ;   in Loop: Header=BB2_51 Depth=1
	s_delay_alu instid0(SALU_CYCLE_1) | instskip(NEXT) | instid1(SALU_CYCLE_1)
	s_or_b32 exec_lo, exec_lo, s15
	s_mov_b32 s14, exec_lo
	v_cmpx_gt_i32_e32 2, v2
	s_cbranch_execz .LBB2_6924
; %bb.6846:                             ;   in Loop: Header=BB2_51 Depth=1
	v_cmp_eq_u32_e64 s13, 0, v2
	s_mov_b32 s15, 0
.LBB2_6847:                             ;   Parent Loop BB2_51 Depth=1
                                        ; =>  This Loop Header: Depth=2
                                        ;       Child Loop BB2_6853 Depth 3
                                        ;       Child Loop BB2_6880 Depth 3
	;; [unrolled: 1-line block ×3, first 2 shown]
	v_and_b32_e32 v2, 4, v30
	s_mov_b32 s17, -1
	s_mov_b32 s16, exec_lo
	s_delay_alu instid0(VALU_DEP_1)
	v_cmpx_ne_u32_e32 0, v2
	s_cbranch_execz .LBB2_6861
; %bb.6848:                             ;   in Loop: Header=BB2_6847 Depth=2
	v_add_co_u32 v8, vcc_lo, v24, 2
	v_add_co_ci_u32_e32 v9, vcc_lo, 0, v25, vcc_lo
	v_mov_b32_e32 v2, 1
	s_mov_b32 s17, exec_lo
	s_delay_alu instid0(VALU_DEP_2)
	v_cmpx_lt_u64_e64 v[34:35], v[8:9]
	s_cbranch_execz .LBB2_6860
; %bb.6849:                             ;   in Loop: Header=BB2_6847 Depth=2
	v_mov_b32_e32 v2, 0
	s_mov_b32 s37, 0
                                        ; implicit-def: $sgpr38
	s_branch .LBB2_6853
.LBB2_6850:                             ;   in Loop: Header=BB2_6853 Depth=3
	s_or_b32 exec_lo, exec_lo, s42
	v_mov_b32_e32 v10, 0
	s_or_not1_b32 s41, s41, exec_lo
.LBB2_6851:                             ;   in Loop: Header=BB2_6853 Depth=3
	s_or_b32 exec_lo, exec_lo, s40
	s_delay_alu instid0(VALU_DEP_1) | instskip(SKIP_2) | instid1(SALU_CYCLE_1)
	v_mov_b32_e32 v2, v10
	s_and_not1_b32 vcc_lo, s38, exec_lo
	s_and_b32 s38, s41, exec_lo
	s_or_b32 s38, vcc_lo, s38
.LBB2_6852:                             ;   in Loop: Header=BB2_6853 Depth=3
	s_or_b32 exec_lo, exec_lo, s39
	s_waitcnt vmcnt(0) lgkmcnt(0)
	v_cmp_ge_u64_e32 vcc_lo, v[34:35], v[8:9]
	s_xor_b32 s39, s38, -1
	s_delay_alu instid0(SALU_CYCLE_1) | instskip(NEXT) | instid1(SALU_CYCLE_1)
	s_or_b32 vcc_lo, s39, vcc_lo
	s_and_b32 vcc_lo, exec_lo, vcc_lo
	s_delay_alu instid0(SALU_CYCLE_1) | instskip(NEXT) | instid1(SALU_CYCLE_1)
	s_or_b32 s37, vcc_lo, s37
	s_and_not1_b32 exec_lo, exec_lo, s37
	s_cbranch_execz .LBB2_6859
.LBB2_6853:                             ;   Parent Loop BB2_51 Depth=1
                                        ;     Parent Loop BB2_6847 Depth=2
                                        ; =>    This Inner Loop Header: Depth=3
	s_sleep 1
	flat_load_b64 v[34:35], v[22:23] glc
	v_and_b32_e32 v10, 64, v30
	s_and_not1_b32 s38, s38, exec_lo
	s_mov_b32 s39, exec_lo
	s_delay_alu instid0(VALU_DEP_1)
	v_cmpx_eq_u32_e32 0, v10
	s_cbranch_execz .LBB2_6852
; %bb.6854:                             ;   in Loop: Header=BB2_6853 Depth=3
	v_add_nc_u32_e32 v10, 1, v2
	s_mov_b32 s41, -1
	s_mov_b32 s40, exec_lo
	v_cmpx_lt_i32_e32 0x270e, v2
	s_cbranch_execz .LBB2_6851
; %bb.6855:                             ;   in Loop: Header=BB2_6853 Depth=3
	s_cbranch_execnz .LBB2_7138
; %bb.6856:                             ;   in Loop: Header=BB2_6853 Depth=3
	ds_load_b64 v[10:11], v0
	s_mov_b32 s42, exec_lo
	s_waitcnt vmcnt(0) lgkmcnt(0)
	s_waitcnt_vscnt null, 0x0
	flat_load_b32 v2, v[10:11] glc
	s_waitcnt vmcnt(0) lgkmcnt(0)
	buffer_gl1_inv
	buffer_gl0_inv
	v_cmpx_ne_u32_e32 0, v2
	s_cbranch_execz .LBB2_6850
; %bb.6857:                             ;   in Loop: Header=BB2_6853 Depth=3
	ds_store_b32 v0, v2
	s_cbranch_execnz .LBB2_7212
; %bb.6858:                             ;   in Loop: Header=BB2_6853 Depth=3
	v_or_b32_e32 v30, 64, v30
	s_xor_b32 s41, exec_lo, -1
	s_branch .LBB2_6850
.LBB2_6859:                             ;   in Loop: Header=BB2_6847 Depth=2
	s_or_b32 exec_lo, exec_lo, s37
	v_and_b32_e32 v2, 4, v30
.LBB2_6860:                             ;   in Loop: Header=BB2_6847 Depth=2
	s_or_b32 exec_lo, exec_lo, s17
	s_delay_alu instid0(VALU_DEP_1)
	v_cmp_eq_u32_e32 vcc_lo, 0, v2
	;;#ASMSTART
	s_wakeup
	;;#ASMEND
	s_or_not1_b32 s17, vcc_lo, exec_lo
.LBB2_6861:                             ;   in Loop: Header=BB2_6847 Depth=2
	s_or_b32 exec_lo, exec_lo, s16
	s_xor_b32 s13, s13, -1
	s_delay_alu instid0(SALU_CYCLE_1) | instskip(NEXT) | instid1(SALU_CYCLE_1)
	s_and_b32 s13, exec_lo, s13
	s_or_b32 s15, s13, s15
	s_xor_b32 s13, s17, -1
	s_delay_alu instid0(SALU_CYCLE_1)
	s_and_saveexec_b32 s16, s13
	s_cbranch_execz .LBB2_6871
; %bb.6862:                             ;   in Loop: Header=BB2_6847 Depth=2
	v_and_b32_e32 v2, 0x100, v30
	s_mov_b32 s13, -1
                                        ; implicit-def: $vgpr8_vgpr9
	s_delay_alu instid0(VALU_DEP_1)
	v_cmp_ne_u32_e32 vcc_lo, 0, v2
	v_and_b32_e32 v2, 7, v24
	s_and_saveexec_b32 s17, vcc_lo
	s_cbranch_execz .LBB2_6866
; %bb.6863:                             ;   in Loop: Header=BB2_6847 Depth=2
	s_delay_alu instid0(VALU_DEP_1) | instskip(SKIP_4) | instid1(VALU_DEP_1)
	v_mad_u64_u32 v[10:11], null, v2, 24, v[6:7]
	flat_load_b32 v8, v[10:11]
	s_waitcnt vmcnt(0) lgkmcnt(0)
	v_cmp_ne_u32_e32 vcc_lo, 1, v8
	v_cmp_eq_u32_e64 s13, 1, v8
                                        ; implicit-def: $vgpr8_vgpr9
	s_and_saveexec_b32 s37, s13
	s_cbranch_execz .LBB2_6865
; %bb.6864:                             ;   in Loop: Header=BB2_6847 Depth=2
	flat_load_b32 v8, v[10:11] offset:4 glc
	s_waitcnt vmcnt(0) lgkmcnt(0)
	v_ashrrev_i32_e32 v9, 31, v8
.LBB2_6865:                             ;   in Loop: Header=BB2_6847 Depth=2
	s_or_b32 exec_lo, exec_lo, s37
	s_delay_alu instid0(SALU_CYCLE_1)
	s_or_not1_b32 s13, vcc_lo, exec_lo
.LBB2_6866:                             ;   in Loop: Header=BB2_6847 Depth=2
	s_or_b32 exec_lo, exec_lo, s17
	s_and_saveexec_b32 s17, s13
; %bb.6867:                             ;   in Loop: Header=BB2_6847 Depth=2
	v_mad_i64_i32 v[8:9], null, v2, v80, 0
; %bb.6868:                             ;   in Loop: Header=BB2_6847 Depth=2
	s_or_b32 exec_lo, exec_lo, s17
	s_delay_alu instid0(VALU_DEP_1) | instskip(SKIP_1) | instid1(VALU_DEP_3)
	v_add_co_u32 v8, vcc_lo, v26, v8
	v_and_b32_e32 v2, 0x2000, v30
	v_add_co_ci_u32_e32 v9, vcc_lo, v27, v9, vcc_lo
	s_mov_b32 s13, exec_lo
	ds_store_b64 v0, v[8:9] offset:720
	v_cmpx_ne_u32_e32 0, v2
	s_cbranch_execz .LBB2_6870
; %bb.6869:                             ;   in Loop: Header=BB2_6847 Depth=2
	ds_load_b64 v[8:9], v0 offset:584
	s_waitcnt lgkmcnt(0)
	v_add_co_u32 v8, vcc_lo, v8, 1
	v_add_co_ci_u32_e32 v9, vcc_lo, 0, v9, vcc_lo
	ds_store_b64 v0, v[8:9] offset:584
.LBB2_6870:                             ;   in Loop: Header=BB2_6847 Depth=2
	s_or_b32 exec_lo, exec_lo, s13
	v_add_co_u32 v24, vcc_lo, v24, 2
	v_add_co_ci_u32_e32 v25, vcc_lo, 0, v25, vcc_lo
.LBB2_6871:                             ;   in Loop: Header=BB2_6847 Depth=2
	s_or_b32 exec_lo, exec_lo, s16
	s_and_saveexec_b32 s13, s3
	s_cbranch_execz .LBB2_6893
; %bb.6872:                             ;   in Loop: Header=BB2_6847 Depth=2
	s_and_saveexec_b32 s16, s4
	s_delay_alu instid0(SALU_CYCLE_1)
	s_xor_b32 s16, exec_lo, s16
	s_cbranch_execz .LBB2_6890
; %bb.6873:                             ;   in Loop: Header=BB2_6847 Depth=2
	s_and_saveexec_b32 s17, s1
	s_cbranch_execz .LBB2_6889
; %bb.6874:                             ;   in Loop: Header=BB2_6847 Depth=2
	s_mov_b32 s38, exec_lo
	s_mov_b32 s37, exec_lo
	v_mbcnt_lo_u32_b32 v2, s38, 0
	s_waitcnt vmcnt(0) lgkmcnt(0)
	s_waitcnt_vscnt null, 0x0
	buffer_gl1_inv
	buffer_gl0_inv
	v_cmpx_eq_u32_e32 0, v2
	s_cbranch_execz .LBB2_6876
; %bb.6875:                             ;   in Loop: Header=BB2_6847 Depth=2
	s_bcnt1_i32_b32 vcc_lo, s38
	s_delay_alu instid0(SALU_CYCLE_1)
	v_mov_b32_e32 v2, vcc_lo
	ds_add_u64 v0, v[2:3]
	s_cbranch_execnz .LBB2_7246
.LBB2_6876:                             ;   in Loop: Header=BB2_6847 Depth=2
	s_or_b32 exec_lo, exec_lo, s37
	s_cbranch_execnz .LBB2_7220
; %bb.6877:                             ;   in Loop: Header=BB2_6847 Depth=2
	ds_load_b64 v[8:9], v0
	v_add_co_u32 v32, vcc_lo, v32, v83
	v_add_co_ci_u32_e32 v33, vcc_lo, 0, v33, vcc_lo
	s_mov_b32 s37, exec_lo
	s_waitcnt lgkmcnt(0)
	s_delay_alu instid0(VALU_DEP_1)
	v_cmpx_lt_u64_e64 v[8:9], v[32:33]
	s_cbranch_execz .LBB2_6888
; %bb.6878:                             ;   in Loop: Header=BB2_6847 Depth=2
	s_mov_b32 s38, 0
	s_mov_b32 s41, 0
                                        ; implicit-def: $sgpr39
                                        ; implicit-def: $sgpr40
	s_branch .LBB2_6880
.LBB2_6879:                             ;   in Loop: Header=BB2_6880 Depth=3
	s_or_b32 exec_lo, exec_lo, s43
	s_delay_alu instid0(SALU_CYCLE_1) | instskip(NEXT) | instid1(SALU_CYCLE_1)
	s_and_b32 vcc_lo, exec_lo, vcc_lo
	s_or_b32 s38, vcc_lo, s38
	s_and_not1_b32 vcc_lo, s39, exec_lo
	s_and_b32 s39, s40, exec_lo
	s_delay_alu instid0(SALU_CYCLE_1)
	s_or_b32 s39, vcc_lo, s39
	s_and_not1_b32 exec_lo, exec_lo, s38
	s_cbranch_execz .LBB2_6886
.LBB2_6880:                             ;   Parent Loop BB2_51 Depth=1
                                        ;     Parent Loop BB2_6847 Depth=2
                                        ; =>    This Inner Loop Header: Depth=3
	s_add_i32 s41, s41, 1
                                        ; implicit-def: $sgpr43
	s_delay_alu instid0(SALU_CYCLE_1) | instskip(SKIP_1) | instid1(SALU_CYCLE_1)
	s_cmpk_lg_i32 s41, 0x2710
	s_cselect_b32 s42, -1, 0
	s_and_b32 vcc_lo, exec_lo, s42
	s_cbranch_vccz .LBB2_6884
.LBB2_6881:                             ;   in Loop: Header=BB2_6880 Depth=3
	s_and_not1_b32 s40, s40, exec_lo
	s_and_b32 s43, s43, exec_lo
	s_mov_b32 vcc_lo, -1
	s_or_b32 s40, s40, s43
	s_and_saveexec_b32 s43, s42
	s_cbranch_execz .LBB2_6879
; %bb.6882:                             ;   in Loop: Header=BB2_6880 Depth=3
	s_sleep 1
	s_cbranch_execnz .LBB2_7294
; %bb.6883:                             ;   in Loop: Header=BB2_6880 Depth=3
	ds_load_b64 v[8:9], v0
	s_and_not1_b32 s40, s40, exec_lo
	s_waitcnt lgkmcnt(0)
	v_cmp_ge_u64_e32 vcc_lo, v[8:9], v[32:33]
	s_or_not1_b32 vcc_lo, vcc_lo, exec_lo
	s_branch .LBB2_6879
.LBB2_6884:                             ;   in Loop: Header=BB2_6880 Depth=3
	s_cbranch_execnz .LBB2_7316
; %bb.6885:                             ;   in Loop: Header=BB2_6880 Depth=3
	ds_load_b64 v[8:9], v0
	s_and_not1_b32 s42, s42, exec_lo
	s_mov_b32 s41, 0
	s_mov_b32 s43, -1
	s_waitcnt lgkmcnt(0)
	flat_load_b32 v2, v[8:9] glc
	s_waitcnt vmcnt(0) lgkmcnt(0)
	buffer_gl1_inv
	buffer_gl0_inv
	v_cmp_eq_u32_e32 vcc_lo, 0, v2
	s_and_b32 vcc_lo, vcc_lo, exec_lo
	s_delay_alu instid0(SALU_CYCLE_1)
	s_or_b32 s42, s42, vcc_lo
	s_branch .LBB2_6881
.LBB2_6886:                             ;   in Loop: Header=BB2_6847 Depth=2
	s_or_b32 exec_lo, exec_lo, s38
	s_and_saveexec_b32 vcc_lo, s39
	s_delay_alu instid0(SALU_CYCLE_1)
	s_xor_b32 vcc_lo, exec_lo, vcc_lo
	s_cbranch_execz .LBB2_6888
; %bb.6887:                             ;   in Loop: Header=BB2_6847 Depth=2
	ds_store_b32 v0, v119
	s_cbranch_execnz .LBB2_7440
.LBB2_6888:                             ;   in Loop: Header=BB2_6847 Depth=2
	s_or_b32 exec_lo, exec_lo, s37
	;;#ASMSTART
	s_wakeup
	;;#ASMEND
.LBB2_6889:                             ;   in Loop: Header=BB2_6847 Depth=2
	s_or_b32 exec_lo, exec_lo, s17
.LBB2_6890:                             ;   in Loop: Header=BB2_6847 Depth=2
	s_and_not1_saveexec_b32 s16, s16
	s_cbranch_execz .LBB2_6892
; %bb.6891:                             ;   in Loop: Header=BB2_6847 Depth=2
	s_waitcnt vmcnt(0) lgkmcnt(0)
	s_waitcnt_vscnt null, 0x0
	buffer_gl1_inv
	buffer_gl0_inv
	s_barrier
.LBB2_6892:                             ;   in Loop: Header=BB2_6847 Depth=2
	s_or_b32 exec_lo, exec_lo, s16
.LBB2_6893:                             ;   in Loop: Header=BB2_6847 Depth=2
	s_delay_alu instid0(SALU_CYCLE_1) | instskip(SKIP_1) | instid1(VALU_DEP_1)
	s_or_b32 exec_lo, exec_lo, s13
	v_sub_nc_u32_e32 v2, v12, v14
	v_min_i32_e32 v13, v13, v2
	s_and_saveexec_b32 s13, s7
	s_delay_alu instid0(SALU_CYCLE_1)
	s_xor_b32 s16, exec_lo, s13
	s_cbranch_execz .LBB2_6898
; %bb.6894:                             ;   in Loop: Header=BB2_6847 Depth=2
	s_cbranch_execnz .LBB2_7134
; %bb.6895:                             ;   in Loop: Header=BB2_6847 Depth=2
	ds_load_b32 v2, v0
	v_cmp_lt_i32_e32 vcc_lo, 0, v13
	s_waitcnt lgkmcnt(0)
	v_readfirstlane_b32 s13, v2
	v_and_b32_e32 v2, 16, v30
	s_delay_alu instid0(VALU_DEP_2) | instskip(NEXT) | instid1(VALU_DEP_1)
	s_cmp_eq_u32 s13, 0
	v_cmp_ne_u32_e64 s13, 0, v2
	s_cselect_b32 s17, -1, 0
	s_delay_alu instid0(SALU_CYCLE_1)
	s_and_b32 s17, vcc_lo, s17
	s_delay_alu instid0(VALU_DEP_1) | instid1(SALU_CYCLE_1)
	s_and_b32 s17, s13, s17
	s_delay_alu instid0(SALU_CYCLE_1)
	s_and_saveexec_b32 s13, s17
	s_cbranch_execz .LBB2_6897
; %bb.6896:                             ;   in Loop: Header=BB2_6847 Depth=2
	s_waitcnt vmcnt(0)
	s_waitcnt_vscnt null, 0x0
	buffer_gl1_inv
	buffer_gl0_inv
.LBB2_6897:                             ;   in Loop: Header=BB2_6847 Depth=2
	s_or_b32 exec_lo, exec_lo, s13
.LBB2_6898:                             ;   in Loop: Header=BB2_6847 Depth=2
	s_and_not1_saveexec_b32 s13, s16
	s_cbranch_execz .LBB2_6920
; %bb.6899:                             ;   in Loop: Header=BB2_6847 Depth=2
	s_and_saveexec_b32 s16, s4
	s_delay_alu instid0(SALU_CYCLE_1)
	s_xor_b32 s16, exec_lo, s16
	s_cbranch_execz .LBB2_6917
; %bb.6900:                             ;   in Loop: Header=BB2_6847 Depth=2
	s_and_saveexec_b32 s17, s1
	s_cbranch_execz .LBB2_6916
; %bb.6901:                             ;   in Loop: Header=BB2_6847 Depth=2
	s_mov_b32 s38, exec_lo
	s_mov_b32 s37, exec_lo
	v_mbcnt_lo_u32_b32 v2, s38, 0
	;;#ASMSTART
	s_waitcnt lgkmcnt(0) vmcnt(0)
	;;#ASMEND
	s_delay_alu instid0(VALU_DEP_1)
	v_cmpx_eq_u32_e32 0, v2
	s_cbranch_execz .LBB2_6903
; %bb.6902:                             ;   in Loop: Header=BB2_6847 Depth=2
	s_bcnt1_i32_b32 vcc_lo, s38
	s_delay_alu instid0(SALU_CYCLE_1)
	v_mov_b32_e32 v2, vcc_lo
	ds_add_u64 v0, v[2:3]
	s_cbranch_execnz .LBB2_7274
.LBB2_6903:                             ;   in Loop: Header=BB2_6847 Depth=2
	s_or_b32 exec_lo, exec_lo, s37
	s_cbranch_execnz .LBB2_7244
; %bb.6904:                             ;   in Loop: Header=BB2_6847 Depth=2
	ds_load_b64 v[8:9], v0
	v_add_co_u32 v32, vcc_lo, v32, v83
	v_add_co_ci_u32_e32 v33, vcc_lo, 0, v33, vcc_lo
	s_mov_b32 s37, exec_lo
	s_waitcnt lgkmcnt(0)
	s_delay_alu instid0(VALU_DEP_1)
	v_cmpx_lt_u64_e64 v[8:9], v[32:33]
	s_cbranch_execz .LBB2_6915
; %bb.6905:                             ;   in Loop: Header=BB2_6847 Depth=2
	s_mov_b32 s38, 0
	s_mov_b32 s41, 0
                                        ; implicit-def: $sgpr39
                                        ; implicit-def: $sgpr40
	s_branch .LBB2_6907
.LBB2_6906:                             ;   in Loop: Header=BB2_6907 Depth=3
	s_or_b32 exec_lo, exec_lo, s43
	s_delay_alu instid0(SALU_CYCLE_1) | instskip(NEXT) | instid1(SALU_CYCLE_1)
	s_and_b32 vcc_lo, exec_lo, vcc_lo
	s_or_b32 s38, vcc_lo, s38
	s_and_not1_b32 vcc_lo, s39, exec_lo
	s_and_b32 s39, s40, exec_lo
	s_delay_alu instid0(SALU_CYCLE_1)
	s_or_b32 s39, vcc_lo, s39
	s_and_not1_b32 exec_lo, exec_lo, s38
	s_cbranch_execz .LBB2_6913
.LBB2_6907:                             ;   Parent Loop BB2_51 Depth=1
                                        ;     Parent Loop BB2_6847 Depth=2
                                        ; =>    This Inner Loop Header: Depth=3
	s_add_i32 s41, s41, 1
                                        ; implicit-def: $sgpr43
	s_delay_alu instid0(SALU_CYCLE_1) | instskip(SKIP_1) | instid1(SALU_CYCLE_1)
	s_cmpk_lg_i32 s41, 0x2710
	s_cselect_b32 s42, -1, 0
	s_and_b32 vcc_lo, exec_lo, s42
	s_cbranch_vccz .LBB2_6911
.LBB2_6908:                             ;   in Loop: Header=BB2_6907 Depth=3
	s_and_not1_b32 s40, s40, exec_lo
	s_and_b32 s43, s43, exec_lo
	s_mov_b32 vcc_lo, -1
	s_or_b32 s40, s40, s43
	s_and_saveexec_b32 s43, s42
	s_cbranch_execz .LBB2_6906
; %bb.6909:                             ;   in Loop: Header=BB2_6907 Depth=3
	s_sleep 1
	s_cbranch_execnz .LBB2_7328
; %bb.6910:                             ;   in Loop: Header=BB2_6907 Depth=3
	ds_load_b64 v[8:9], v0
	s_and_not1_b32 s40, s40, exec_lo
	s_waitcnt lgkmcnt(0)
	v_cmp_ge_u64_e32 vcc_lo, v[8:9], v[32:33]
	s_or_not1_b32 vcc_lo, vcc_lo, exec_lo
	s_branch .LBB2_6906
.LBB2_6911:                             ;   in Loop: Header=BB2_6907 Depth=3
	s_cbranch_execnz .LBB2_7348
; %bb.6912:                             ;   in Loop: Header=BB2_6907 Depth=3
	ds_load_b64 v[8:9], v0
	s_and_not1_b32 s42, s42, exec_lo
	s_mov_b32 s41, 0
	s_mov_b32 s43, -1
	s_waitcnt vmcnt(0) lgkmcnt(0)
	s_waitcnt_vscnt null, 0x0
	flat_load_b32 v2, v[8:9] glc
	s_waitcnt vmcnt(0) lgkmcnt(0)
	buffer_gl1_inv
	buffer_gl0_inv
	v_cmp_eq_u32_e32 vcc_lo, 0, v2
	s_and_b32 vcc_lo, vcc_lo, exec_lo
	s_delay_alu instid0(SALU_CYCLE_1)
	s_or_b32 s42, s42, vcc_lo
	s_branch .LBB2_6908
.LBB2_6913:                             ;   in Loop: Header=BB2_6847 Depth=2
	s_or_b32 exec_lo, exec_lo, s38
	s_and_saveexec_b32 vcc_lo, s39
	s_delay_alu instid0(SALU_CYCLE_1)
	s_xor_b32 vcc_lo, exec_lo, vcc_lo
	s_cbranch_execz .LBB2_6915
; %bb.6914:                             ;   in Loop: Header=BB2_6847 Depth=2
	ds_store_b32 v0, v119
	s_cbranch_execnz .LBB2_7454
.LBB2_6915:                             ;   in Loop: Header=BB2_6847 Depth=2
	s_or_b32 exec_lo, exec_lo, s37
	;;#ASMSTART
	s_wakeup
	;;#ASMEND
.LBB2_6916:                             ;   in Loop: Header=BB2_6847 Depth=2
	s_or_b32 exec_lo, exec_lo, s17
.LBB2_6917:                             ;   in Loop: Header=BB2_6847 Depth=2
	s_and_not1_saveexec_b32 s16, s16
	s_cbranch_execz .LBB2_6919
; %bb.6918:                             ;   in Loop: Header=BB2_6847 Depth=2
	;;#ASMSTART
	s_waitcnt lgkmcnt(0) vmcnt(0)
	;;#ASMEND
	s_waitcnt vmcnt(0) lgkmcnt(0)
	s_waitcnt_vscnt null, 0x0
	s_barrier
.LBB2_6919:                             ;   in Loop: Header=BB2_6847 Depth=2
	s_or_b32 exec_lo, exec_lo, s16
.LBB2_6920:                             ;   in Loop: Header=BB2_6847 Depth=2
	s_delay_alu instid0(SALU_CYCLE_1) | instskip(SKIP_2) | instid1(VALU_DEP_1)
	s_or_b32 exec_lo, exec_lo, s13
	v_and_b32_e32 v2, 32, v30
	s_mov_b32 s13, exec_lo
	v_cmpx_ne_u32_e32 0, v2
	s_cbranch_execz .LBB2_6922
; %bb.6921:                             ;   in Loop: Header=BB2_6847 Depth=2
	v_add_co_u32 v24, vcc_lo, v24, 2
	v_add_co_ci_u32_e32 v25, vcc_lo, 0, v25, vcc_lo
	s_waitcnt vmcnt(0) lgkmcnt(0)
	s_waitcnt_vscnt null, 0x0
	flat_store_b64 v[22:23], v[24:25]
.LBB2_6922:                             ;   in Loop: Header=BB2_6847 Depth=2
	s_or_b32 exec_lo, exec_lo, s13
	v_add_nc_u32_e32 v14, v13, v14
	s_mov_b32 s13, 0
	s_and_not1_b32 exec_lo, exec_lo, s15
	s_cbranch_execnz .LBB2_6847
; %bb.6923:                             ;   in Loop: Header=BB2_51 Depth=1
	s_or_b32 exec_lo, exec_lo, s15
.LBB2_6924:                             ;   in Loop: Header=BB2_51 Depth=1
	s_delay_alu instid0(SALU_CYCLE_1) | instskip(SKIP_2) | instid1(VALU_DEP_1)
	s_or_b32 exec_lo, exec_lo, s14
	v_add_co_u32 v48, vcc_lo, v48, v36
	v_add_co_ci_u32_e32 v49, vcc_lo, v49, v37, vcc_lo
	v_cmp_ge_i64_e32 vcc_lo, v[48:49], v[4:5]
	s_or_b32 s24, vcc_lo, s24
	s_delay_alu instid0(SALU_CYCLE_1)
	s_and_not1_b32 exec_lo, exec_lo, s24
	s_cbranch_execz .LBB2_6925
; %bb.7728:                             ;   in Loop: Header=BB2_51 Depth=1
	s_getpc_b64 s[48:49]
.Lpost_getpc128:
	s_add_u32 s48, s48, (.LBB2_51-.Lpost_getpc128)&4294967295
	s_addc_u32 s49, s49, (.LBB2_51-.Lpost_getpc128)>>32
	s_setpc_b64 s[48:49]
.LBB2_6925:
	s_or_b32 exec_lo, exec_lo, s24
.LBB2_6926:
	s_delay_alu instid0(SALU_CYCLE_1)
	s_or_b32 exec_lo, exec_lo, s20
; %bb.6927:
	v_and_b32_e32 v0, 0x800, v30
	s_mov_b32 s0, exec_lo
	s_delay_alu instid0(VALU_DEP_1)
	v_cmpx_eq_u32_e32 0, v0
	s_cbranch_execz .LBB2_7184
; %bb.6928:
	v_and_b32_e32 v0, 48, v30
	s_mov_b32 s1, exec_lo
	s_delay_alu instid0(VALU_DEP_1)
	v_cmpx_ne_u32_e32 0, v0
	s_cbranch_execz .LBB2_6930
; %bb.6929:
	flat_store_b64 v[20:21], v[24:25] offset:104
.LBB2_6930:
	s_or_b32 exec_lo, exec_lo, s1
	v_and_b32_e32 v0, 0x88, v30
	s_mov_b32 s1, exec_lo
	s_delay_alu instid0(VALU_DEP_1)
	v_cmpx_eq_u32_e32 0x88, v0
	s_cbranch_execz .LBB2_6980
; %bb.6931:
	v_add_nc_u32_e32 v0, 6, v24
	s_mov_b32 s2, 0
                                        ; implicit-def: $sgpr3
	s_delay_alu instid0(VALU_DEP_1) | instskip(NEXT) | instid1(VALU_DEP_1)
	v_and_b32_e32 v0, 7, v0
	v_mad_u64_u32 v[2:3], null, v0, 24, v[6:7]
	v_mov_b32_e32 v0, 0
	s_delay_alu instid0(VALU_DEP_2) | instskip(NEXT) | instid1(VALU_DEP_3)
	v_add_co_u32 v2, vcc_lo, v2, 8
	v_add_co_ci_u32_e32 v3, vcc_lo, 0, v3, vcc_lo
	s_branch .LBB2_6966
.LBB2_6932:
	s_trap 2
	s_sendmsg_rtn_b32 s0, sendmsg(MSG_RTN_GET_DOORBELL)
	s_mov_b32 ttmp2, m0
	s_waitcnt lgkmcnt(0)
	s_and_b32 s0, s0, 0x3ff
	s_delay_alu instid0(SALU_CYCLE_1) | instskip(NEXT) | instid1(SALU_CYCLE_1)
	s_bitset1_b32 s0, 10
	s_mov_b32 m0, s0
	s_sendmsg sendmsg(MSG_INTERRUPT)
	s_mov_b32 m0, ttmp2
.LBB2_6933:                             ; =>This Inner Loop Header: Depth=1
	s_sethalt 5
	s_branch .LBB2_6933
.LBB2_6934:
	v_bfe_u32 v9, v7, 8, 8
	v_not_b32_e32 v8, v8
	s_mov_b32 s1, exec_lo
                                        ; implicit-def: $vgpr14_vgpr15
                                        ; implicit-def: $vgpr16_vgpr17
                                        ; implicit-def: $vgpr4_vgpr5
	s_delay_alu instid0(VALU_DEP_2)
	v_cmpx_ne_u32_e64 v9, v6
	s_xor_b32 s1, exec_lo, s1
	s_cbranch_execz .LBB2_6936
; %bb.6935:
	s_clause 0x1
	flat_load_b128 v[9:12], v[2:3] offset:72
	flat_load_b64 v[4:5], v[2:3] offset:96
	v_add_nc_u32_e32 v6, v6, v8
                                        ; implicit-def: $vgpr8
	s_waitcnt vmcnt(0) lgkmcnt(0)
	v_lshrrev_b64 v[14:15], 12, v[4:5]
	v_dual_mov_b32 v4, v11 :: v_dual_mov_b32 v5, v12
	s_delay_alu instid0(VALU_DEP_3) | instskip(SKIP_2) | instid1(VALU_DEP_3)
	v_ashrrev_i32_e32 v7, 31, v6
	v_mad_u64_u32 v[16:17], null, v11, v6, v[9:10]
	v_mul_lo_u32 v6, v12, v6
                                        ; implicit-def: $vgpr9
	v_mul_lo_u32 v7, v11, v7
	s_delay_alu instid0(VALU_DEP_1)
	v_add3_u32 v17, v6, v17, v7
.LBB2_6936:
	s_and_not1_saveexec_b32 s1, s1
	s_cbranch_execz .LBB2_6938
; %bb.6937:
	s_clause 0x1
	flat_load_b128 v[10:13], v[2:3] offset:72
	flat_load_b128 v[4:7], v[2:3] offset:88
	s_waitcnt vmcnt(0) lgkmcnt(0)
	v_add_nc_u32_e32 v6, v9, v8
	s_delay_alu instid0(VALU_DEP_1) | instskip(NEXT) | instid1(VALU_DEP_1)
	v_ashrrev_i32_e32 v8, 31, v6
	v_mul_lo_u32 v8, v12, v8
	v_mad_u64_u32 v[16:17], null, v12, v6, v[10:11]
	v_mul_lo_u32 v6, v13, v6
	v_lshrrev_b32_e32 v14, 1, v7
	s_delay_alu instid0(VALU_DEP_2)
	v_add3_u32 v17, v6, v17, v8
.LBB2_6938:
	s_or_b32 exec_lo, exec_lo, s1
	s_and_not1_saveexec_b32 s0, s0
	s_cbranch_execnz .LBB2_6939
; %bb.7730:
	s_getpc_b64 s[48:49]
.Lpost_getpc129:
	s_add_u32 s48, s48, (.LBB2_3-.Lpost_getpc129)&4294967295
	s_addc_u32 s49, s49, (.LBB2_3-.Lpost_getpc129)>>32
	s_setpc_b64 s[48:49]
.LBB2_6939:
	s_clause 0x1
	flat_load_b64 v[6:7], v[2:3] offset:96
	flat_load_b64 v[4:5], v[2:3] offset:72
	v_mov_b32_e32 v16, 0
	v_mov_b32_e32 v17, 0
	s_waitcnt vmcnt(1) lgkmcnt(1)
	v_lshlrev_b64 v[14:15], 9, v[6:7]
	s_or_b32 exec_lo, exec_lo, s0
	s_cbranch_execnz .LBB2_6940
; %bb.7732:
	s_getpc_b64 s[48:49]
.Lpost_getpc130:
	s_add_u32 s48, s48, (.LBB2_4-.Lpost_getpc130)&4294967295
	s_addc_u32 s49, s49, (.LBB2_4-.Lpost_getpc130)>>32
	s_setpc_b64 s[48:49]
.LBB2_6940:
	s_trap 2
	s_sendmsg_rtn_b32 s0, sendmsg(MSG_RTN_GET_DOORBELL)
	s_mov_b32 ttmp2, m0
	s_waitcnt lgkmcnt(0)
	s_and_b32 s0, s0, 0x3ff
	s_delay_alu instid0(SALU_CYCLE_1) | instskip(NEXT) | instid1(SALU_CYCLE_1)
	s_bitset1_b32 s0, 10
	s_mov_b32 m0, s0
	s_sendmsg sendmsg(MSG_INTERRUPT)
	s_mov_b32 m0, ttmp2
.LBB2_6941:                             ; =>This Inner Loop Header: Depth=1
	s_sethalt 5
	s_branch .LBB2_6941
.LBB2_6942:
	s_trap 2
	s_sendmsg_rtn_b32 s0, sendmsg(MSG_RTN_GET_DOORBELL)
	s_mov_b32 ttmp2, m0
	s_waitcnt lgkmcnt(0)
	s_and_b32 s0, s0, 0x3ff
	s_delay_alu instid0(SALU_CYCLE_1) | instskip(NEXT) | instid1(SALU_CYCLE_1)
	s_bitset1_b32 s0, 10
	s_mov_b32 m0, s0
	s_sendmsg sendmsg(MSG_INTERRUPT)
	s_mov_b32 m0, ttmp2
.LBB2_6943:                             ; =>This Inner Loop Header: Depth=1
	s_sethalt 5
	s_branch .LBB2_6943
.LBB2_6944:
	s_trap 2
	s_sendmsg_rtn_b32 s0, sendmsg(MSG_RTN_GET_DOORBELL)
	s_mov_b32 ttmp2, m0
	s_waitcnt lgkmcnt(0)
	s_and_b32 s0, s0, 0x3ff
	s_delay_alu instid0(SALU_CYCLE_1) | instskip(NEXT) | instid1(SALU_CYCLE_1)
	s_bitset1_b32 s0, 10
	s_mov_b32 m0, s0
	s_sendmsg sendmsg(MSG_INTERRUPT)
	s_mov_b32 m0, ttmp2
.LBB2_6945:                             ; =>This Inner Loop Header: Depth=1
	s_sethalt 5
	s_branch .LBB2_6945
.LBB2_6946:
	s_trap 2
	s_sendmsg_rtn_b32 s0, sendmsg(MSG_RTN_GET_DOORBELL)
	s_mov_b32 ttmp2, m0
	s_waitcnt lgkmcnt(0)
	s_and_b32 s0, s0, 0x3ff
	s_delay_alu instid0(SALU_CYCLE_1) | instskip(NEXT) | instid1(SALU_CYCLE_1)
	s_bitset1_b32 s0, 10
	s_mov_b32 m0, s0
	s_sendmsg sendmsg(MSG_INTERRUPT)
	s_mov_b32 m0, ttmp2
.LBB2_6947:                             ; =>This Inner Loop Header: Depth=1
	s_sethalt 5
	s_branch .LBB2_6947
.LBB2_6948:
	s_trap 2
	s_sendmsg_rtn_b32 s0, sendmsg(MSG_RTN_GET_DOORBELL)
	s_mov_b32 ttmp2, m0
	s_waitcnt lgkmcnt(0)
	s_and_b32 s0, s0, 0x3ff
	s_delay_alu instid0(SALU_CYCLE_1) | instskip(NEXT) | instid1(SALU_CYCLE_1)
	s_bitset1_b32 s0, 10
	s_mov_b32 m0, s0
	s_sendmsg sendmsg(MSG_INTERRUPT)
	s_mov_b32 m0, ttmp2
.LBB2_6949:                             ; =>This Inner Loop Header: Depth=1
	s_sethalt 5
	s_branch .LBB2_6949
.LBB2_6950:
	s_trap 2
	s_sendmsg_rtn_b32 s0, sendmsg(MSG_RTN_GET_DOORBELL)
	s_mov_b32 ttmp2, m0
	s_waitcnt lgkmcnt(0)
	s_and_b32 s0, s0, 0x3ff
	s_delay_alu instid0(SALU_CYCLE_1) | instskip(NEXT) | instid1(SALU_CYCLE_1)
	s_bitset1_b32 s0, 10
	s_mov_b32 m0, s0
	s_sendmsg sendmsg(MSG_INTERRUPT)
	s_mov_b32 m0, ttmp2
.LBB2_6951:                             ; =>This Inner Loop Header: Depth=1
	s_sethalt 5
	s_branch .LBB2_6951
.LBB2_6952:
	s_trap 2
	s_sendmsg_rtn_b32 s0, sendmsg(MSG_RTN_GET_DOORBELL)
	s_mov_b32 ttmp2, m0
	s_waitcnt lgkmcnt(0)
	s_and_b32 s0, s0, 0x3ff
	s_delay_alu instid0(SALU_CYCLE_1) | instskip(NEXT) | instid1(SALU_CYCLE_1)
	s_bitset1_b32 s0, 10
	s_mov_b32 m0, s0
	s_sendmsg sendmsg(MSG_INTERRUPT)
	s_mov_b32 m0, ttmp2
.LBB2_6953:                             ; =>This Inner Loop Header: Depth=1
	s_sethalt 5
	s_branch .LBB2_6953
.LBB2_6954:
	s_trap 2
	s_sendmsg_rtn_b32 s0, sendmsg(MSG_RTN_GET_DOORBELL)
	s_mov_b32 ttmp2, m0
	s_waitcnt lgkmcnt(0)
	s_and_b32 s0, s0, 0x3ff
	s_delay_alu instid0(SALU_CYCLE_1) | instskip(NEXT) | instid1(SALU_CYCLE_1)
	s_bitset1_b32 s0, 10
	s_mov_b32 m0, s0
	s_sendmsg sendmsg(MSG_INTERRUPT)
	s_mov_b32 m0, ttmp2
.LBB2_6955:                             ; =>This Inner Loop Header: Depth=1
	s_sethalt 5
	s_branch .LBB2_6955
.LBB2_6956:
	s_trap 2
	s_sendmsg_rtn_b32 s0, sendmsg(MSG_RTN_GET_DOORBELL)
	s_mov_b32 ttmp2, m0
	s_waitcnt lgkmcnt(0)
	s_and_b32 s0, s0, 0x3ff
	s_delay_alu instid0(SALU_CYCLE_1) | instskip(NEXT) | instid1(SALU_CYCLE_1)
	s_bitset1_b32 s0, 10
	s_mov_b32 m0, s0
	s_sendmsg sendmsg(MSG_INTERRUPT)
	s_mov_b32 m0, ttmp2
.LBB2_6957:                             ; =>This Inner Loop Header: Depth=1
	s_sethalt 5
	s_branch .LBB2_6957
.LBB2_6958:
	s_trap 2
	s_sendmsg_rtn_b32 s0, sendmsg(MSG_RTN_GET_DOORBELL)
	s_mov_b32 ttmp2, m0
	s_waitcnt lgkmcnt(0)
	s_and_b32 s0, s0, 0x3ff
	s_delay_alu instid0(SALU_CYCLE_1) | instskip(NEXT) | instid1(SALU_CYCLE_1)
	s_bitset1_b32 s0, 10
	s_mov_b32 m0, s0
	s_sendmsg sendmsg(MSG_INTERRUPT)
	s_mov_b32 m0, ttmp2
.LBB2_6959:                             ; =>This Inner Loop Header: Depth=1
	s_sethalt 5
	s_branch .LBB2_6959
.LBB2_6960:
	s_trap 2
	s_sendmsg_rtn_b32 s0, sendmsg(MSG_RTN_GET_DOORBELL)
	s_mov_b32 ttmp2, m0
	s_waitcnt lgkmcnt(0)
	s_and_b32 s0, s0, 0x3ff
	s_delay_alu instid0(SALU_CYCLE_1) | instskip(NEXT) | instid1(SALU_CYCLE_1)
	s_bitset1_b32 s0, 10
	s_mov_b32 m0, s0
	s_sendmsg sendmsg(MSG_INTERRUPT)
	s_mov_b32 m0, ttmp2
.LBB2_6961:                             ; =>This Inner Loop Header: Depth=1
	s_sethalt 5
	s_branch .LBB2_6961
.LBB2_6962:                             ;   in Loop: Header=BB2_6966 Depth=1
	s_or_b32 exec_lo, exec_lo, s10
	v_mov_b32_e32 v4, 0
	s_or_not1_b32 s7, s7, exec_lo
.LBB2_6963:                             ;   in Loop: Header=BB2_6966 Depth=1
	s_or_b32 exec_lo, exec_lo, s6
	s_delay_alu instid0(VALU_DEP_1)
	v_mov_b32_e32 v0, v4
	s_and_b32 s6, s7, exec_lo
.LBB2_6964:                             ;   in Loop: Header=BB2_6966 Depth=1
	s_or_b32 exec_lo, exec_lo, s5
	s_xor_b32 s5, s6, -1
	s_and_not1_b32 s3, s3, exec_lo
	s_and_b32 s5, s5, exec_lo
	s_delay_alu instid0(SALU_CYCLE_1)
	s_or_b32 s3, s3, s5
.LBB2_6965:                             ;   in Loop: Header=BB2_6966 Depth=1
	s_or_b32 exec_lo, exec_lo, s4
	s_delay_alu instid0(SALU_CYCLE_1) | instskip(NEXT) | instid1(SALU_CYCLE_1)
	s_and_b32 s4, exec_lo, s3
	s_or_b32 s2, s4, s2
	s_delay_alu instid0(SALU_CYCLE_1)
	s_and_not1_b32 exec_lo, exec_lo, s2
	s_cbranch_execz .LBB2_6979
.LBB2_6966:                             ; =>This Inner Loop Header: Depth=1
	flat_load_b64 v[4:5], v[2:3] glc dlc
	s_waitcnt vmcnt(0)
	s_or_b32 s3, s3, exec_lo
	s_mov_b32 s4, exec_lo
	s_waitcnt lgkmcnt(0)
	v_cmpx_ne_u64_e32 -1, v[4:5]
	s_cbranch_execz .LBB2_6965
; %bb.6967:                             ;   in Loop: Header=BB2_6966 Depth=1
	v_and_b32_e32 v4, 64, v30
	s_mov_b32 s6, 0
	s_mov_b32 s5, exec_lo
	s_delay_alu instid0(VALU_DEP_1)
	v_cmpx_eq_u32_e32 0, v4
	s_cbranch_execz .LBB2_6964
; %bb.6968:                             ;   in Loop: Header=BB2_6966 Depth=1
	v_add_nc_u32_e32 v4, 1, v0
	s_mov_b32 s7, -1
	s_mov_b32 s6, exec_lo
	v_cmpx_lt_i32_e32 0x270e, v0
	s_cbranch_execz .LBB2_6963
; %bb.6969:                             ;   in Loop: Header=BB2_6966 Depth=1
	s_cbranch_execnz .LBB2_6973
; %bb.6970:                             ;   in Loop: Header=BB2_6966 Depth=1
	ds_load_b64 v[4:5], v0
	s_mov_b32 s10, exec_lo
	s_waitcnt lgkmcnt(0)
	s_waitcnt_vscnt null, 0x0
	flat_load_b32 v0, v[4:5] glc
	s_waitcnt vmcnt(0) lgkmcnt(0)
	buffer_gl1_inv
	buffer_gl0_inv
	v_cmpx_ne_u32_e32 0, v0
	s_cbranch_execz .LBB2_6962
; %bb.6971:                             ;   in Loop: Header=BB2_6966 Depth=1
	ds_store_b32 v0, v0
	s_cbranch_execnz .LBB2_6997
; %bb.6972:                             ;   in Loop: Header=BB2_6966 Depth=1
	v_or_b32_e32 v30, 64, v30
	s_xor_b32 s7, exec_lo, -1
	s_branch .LBB2_6962
.LBB2_6973:
	s_trap 2
	s_sendmsg_rtn_b32 s0, sendmsg(MSG_RTN_GET_DOORBELL)
	s_mov_b32 ttmp2, m0
	s_waitcnt lgkmcnt(0)
	s_and_b32 s0, s0, 0x3ff
	s_delay_alu instid0(SALU_CYCLE_1) | instskip(NEXT) | instid1(SALU_CYCLE_1)
	s_bitset1_b32 s0, 10
	s_mov_b32 m0, s0
	s_sendmsg sendmsg(MSG_INTERRUPT)
	s_mov_b32 m0, ttmp2
.LBB2_6974:                             ; =>This Inner Loop Header: Depth=1
	s_sethalt 5
	s_branch .LBB2_6974
.LBB2_6975:
	s_trap 2
	s_sendmsg_rtn_b32 s0, sendmsg(MSG_RTN_GET_DOORBELL)
	s_mov_b32 ttmp2, m0
	s_waitcnt lgkmcnt(0)
	s_and_b32 s0, s0, 0x3ff
	s_delay_alu instid0(SALU_CYCLE_1) | instskip(NEXT) | instid1(SALU_CYCLE_1)
	s_bitset1_b32 s0, 10
	s_mov_b32 m0, s0
	s_sendmsg sendmsg(MSG_INTERRUPT)
	s_mov_b32 m0, ttmp2
.LBB2_6976:                             ; =>This Inner Loop Header: Depth=1
	s_sethalt 5
	s_branch .LBB2_6976
.LBB2_6977:
	s_trap 2
	s_sendmsg_rtn_b32 s0, sendmsg(MSG_RTN_GET_DOORBELL)
	s_mov_b32 ttmp2, m0
	s_waitcnt lgkmcnt(0)
	s_and_b32 s0, s0, 0x3ff
	s_delay_alu instid0(SALU_CYCLE_1) | instskip(NEXT) | instid1(SALU_CYCLE_1)
	s_bitset1_b32 s0, 10
	s_mov_b32 m0, s0
	s_sendmsg sendmsg(MSG_INTERRUPT)
	s_mov_b32 m0, ttmp2
.LBB2_6978:                             ; =>This Inner Loop Header: Depth=1
	s_sethalt 5
	s_branch .LBB2_6978
.LBB2_6979:
	s_or_b32 exec_lo, exec_lo, s2
.LBB2_6980:
	s_delay_alu instid0(SALU_CYCLE_1) | instskip(SKIP_2) | instid1(VALU_DEP_1)
	s_or_b32 exec_lo, exec_lo, s1
	v_and_b32_e32 v0, 0x2000, v30
	s_mov_b32 s1, exec_lo
	v_cmpx_ne_u32_e32 0, v0
	s_cbranch_execz .LBB2_6983
; %bb.6981:
	s_cbranch_execnz .LBB2_6991
; %bb.6982:
	ds_load_b64 v[2:3], v0
	s_waitcnt lgkmcnt(0)
	flat_store_b64 v[18:19], v[2:3] offset:16
.LBB2_6983:
	s_or_b32 exec_lo, exec_lo, s1
	v_cmp_ne_u32_e32 vcc_lo, 32, v1
	s_and_b32 exec_lo, exec_lo, vcc_lo
	s_cbranch_execz .LBB2_7184
; %bb.6984:
	s_mov_b32 s1, exec_lo
	v_cmpx_ne_u32_e64 v81, v1
	s_xor_b32 s1, exec_lo, s1
	s_cbranch_execz .LBB2_7182
; %bb.6985:
	v_and_b32_e32 v0, 31, v31
	s_mov_b32 s2, exec_lo
	s_delay_alu instid0(VALU_DEP_1)
	v_cmpx_eq_u32_e32 0, v0
	s_cbranch_execz .LBB2_7181
; %bb.6986:
	s_mov_b32 s4, exec_lo
	s_mov_b32 s3, exec_lo
	v_mbcnt_lo_u32_b32 v0, s4, 0
	s_waitcnt vmcnt(0) lgkmcnt(0)
	s_waitcnt_vscnt null, 0x0
	buffer_gl1_inv
	buffer_gl0_inv
	v_cmpx_eq_u32_e32 0, v0
	s_cbranch_execz .LBB2_6988
; %bb.6987:
	s_bcnt1_i32_b32 s4, s4
	s_delay_alu instid0(SALU_CYCLE_1)
	v_dual_mov_b32 v3, 0 :: v_dual_mov_b32 v2, s4
	ds_add_u64 v0, v[2:3]
	s_cbranch_execnz .LBB2_7026
.LBB2_6988:
	s_or_b32 exec_lo, exec_lo, s3
	s_cbranch_execnz .LBB2_7005
; %bb.6989:
	v_ashrrev_i32_e32 v0, 31, v1
	s_mov_b32 s3, exec_lo
	s_delay_alu instid0(VALU_DEP_1) | instskip(NEXT) | instid1(VALU_DEP_1)
	v_lshrrev_b32_e32 v0, 27, v0
	v_add_nc_u32_e32 v0, v1, v0
	ds_load_b64 v[2:3], v0
	v_ashrrev_i32_e32 v0, 5, v0
	s_delay_alu instid0(VALU_DEP_1) | instskip(SKIP_1) | instid1(VALU_DEP_2)
	v_ashrrev_i32_e32 v1, 31, v0
	v_add_co_u32 v0, vcc_lo, v32, v0
	v_add_co_ci_u32_e32 v1, vcc_lo, v33, v1, vcc_lo
	s_waitcnt lgkmcnt(0)
	s_delay_alu instid0(VALU_DEP_1)
	v_cmpx_lt_u64_e64 v[2:3], v[0:1]
	s_cbranch_execz .LBB2_7180
; %bb.6990:
	s_mov_b32 s4, 0
	s_mov_b32 s7, 0
                                        ; implicit-def: $sgpr5
                                        ; implicit-def: $sgpr6
	s_branch .LBB2_7012
.LBB2_6991:
	s_trap 2
	s_sendmsg_rtn_b32 s0, sendmsg(MSG_RTN_GET_DOORBELL)
	s_mov_b32 ttmp2, m0
	s_waitcnt lgkmcnt(0)
	s_and_b32 s0, s0, 0x3ff
	s_delay_alu instid0(SALU_CYCLE_1) | instskip(NEXT) | instid1(SALU_CYCLE_1)
	s_bitset1_b32 s0, 10
	s_mov_b32 m0, s0
	s_sendmsg sendmsg(MSG_INTERRUPT)
	s_mov_b32 m0, ttmp2
.LBB2_6992:                             ; =>This Inner Loop Header: Depth=1
	s_sethalt 5
	s_branch .LBB2_6992
.LBB2_6993:
	s_trap 2
	s_sendmsg_rtn_b32 s0, sendmsg(MSG_RTN_GET_DOORBELL)
	s_mov_b32 ttmp2, m0
	s_waitcnt lgkmcnt(0)
	s_and_b32 s0, s0, 0x3ff
	s_delay_alu instid0(SALU_CYCLE_1) | instskip(NEXT) | instid1(SALU_CYCLE_1)
	s_bitset1_b32 s0, 10
	s_mov_b32 m0, s0
	s_sendmsg sendmsg(MSG_INTERRUPT)
	s_mov_b32 m0, ttmp2
.LBB2_6994:                             ; =>This Inner Loop Header: Depth=1
	s_sethalt 5
	s_branch .LBB2_6994
.LBB2_6995:
	s_trap 2
	s_sendmsg_rtn_b32 s0, sendmsg(MSG_RTN_GET_DOORBELL)
	s_mov_b32 ttmp2, m0
	s_waitcnt lgkmcnt(0)
	s_and_b32 s0, s0, 0x3ff
	s_delay_alu instid0(SALU_CYCLE_1) | instskip(NEXT) | instid1(SALU_CYCLE_1)
	s_bitset1_b32 s0, 10
	s_mov_b32 m0, s0
	s_sendmsg sendmsg(MSG_INTERRUPT)
	s_mov_b32 m0, ttmp2
.LBB2_6996:                             ; =>This Inner Loop Header: Depth=1
	s_sethalt 5
	s_branch .LBB2_6996
.LBB2_6997:
	s_trap 2
	s_sendmsg_rtn_b32 s0, sendmsg(MSG_RTN_GET_DOORBELL)
	s_mov_b32 ttmp2, m0
	s_waitcnt lgkmcnt(0)
	s_and_b32 s0, s0, 0x3ff
	s_delay_alu instid0(SALU_CYCLE_1) | instskip(NEXT) | instid1(SALU_CYCLE_1)
	s_bitset1_b32 s0, 10
	s_mov_b32 m0, s0
	s_sendmsg sendmsg(MSG_INTERRUPT)
	s_mov_b32 m0, ttmp2
.LBB2_6998:                             ; =>This Inner Loop Header: Depth=1
	s_sethalt 5
	s_branch .LBB2_6998
.LBB2_6999:
	s_trap 2
	s_sendmsg_rtn_b32 s0, sendmsg(MSG_RTN_GET_DOORBELL)
	s_mov_b32 ttmp2, m0
	s_waitcnt lgkmcnt(0)
	s_and_b32 s0, s0, 0x3ff
	s_delay_alu instid0(SALU_CYCLE_1) | instskip(NEXT) | instid1(SALU_CYCLE_1)
	s_bitset1_b32 s0, 10
	s_mov_b32 m0, s0
	s_sendmsg sendmsg(MSG_INTERRUPT)
	s_mov_b32 m0, ttmp2
.LBB2_7000:                             ; =>This Inner Loop Header: Depth=1
	s_sethalt 5
	s_branch .LBB2_7000
.LBB2_7001:
	s_trap 2
	s_sendmsg_rtn_b32 s0, sendmsg(MSG_RTN_GET_DOORBELL)
	s_mov_b32 ttmp2, m0
	s_waitcnt lgkmcnt(0)
	s_and_b32 s0, s0, 0x3ff
	s_delay_alu instid0(SALU_CYCLE_1) | instskip(NEXT) | instid1(SALU_CYCLE_1)
	s_bitset1_b32 s0, 10
	s_mov_b32 m0, s0
	s_sendmsg sendmsg(MSG_INTERRUPT)
	s_mov_b32 m0, ttmp2
.LBB2_7002:                             ; =>This Inner Loop Header: Depth=1
	s_sethalt 5
	s_branch .LBB2_7002
.LBB2_7003:
	s_trap 2
	s_sendmsg_rtn_b32 s0, sendmsg(MSG_RTN_GET_DOORBELL)
	s_mov_b32 ttmp2, m0
	s_waitcnt lgkmcnt(0)
	s_and_b32 s0, s0, 0x3ff
	s_delay_alu instid0(SALU_CYCLE_1) | instskip(NEXT) | instid1(SALU_CYCLE_1)
	s_bitset1_b32 s0, 10
	s_mov_b32 m0, s0
	s_sendmsg sendmsg(MSG_INTERRUPT)
	s_mov_b32 m0, ttmp2
.LBB2_7004:                             ; =>This Inner Loop Header: Depth=1
	s_sethalt 5
	s_branch .LBB2_7004
.LBB2_7005:
	s_trap 2
	s_sendmsg_rtn_b32 s0, sendmsg(MSG_RTN_GET_DOORBELL)
	s_mov_b32 ttmp2, m0
	s_waitcnt lgkmcnt(0)
	s_and_b32 s0, s0, 0x3ff
	s_delay_alu instid0(SALU_CYCLE_1) | instskip(NEXT) | instid1(SALU_CYCLE_1)
	s_bitset1_b32 s0, 10
	s_mov_b32 m0, s0
	s_sendmsg sendmsg(MSG_INTERRUPT)
	s_mov_b32 m0, ttmp2
.LBB2_7006:                             ; =>This Inner Loop Header: Depth=1
	s_sethalt 5
	s_branch .LBB2_7006
.LBB2_7007:
	s_trap 2
	s_sendmsg_rtn_b32 s0, sendmsg(MSG_RTN_GET_DOORBELL)
	s_mov_b32 ttmp2, m0
	s_waitcnt lgkmcnt(0)
	s_and_b32 s0, s0, 0x3ff
	s_delay_alu instid0(SALU_CYCLE_1) | instskip(NEXT) | instid1(SALU_CYCLE_1)
	s_bitset1_b32 s0, 10
	s_mov_b32 m0, s0
	s_sendmsg sendmsg(MSG_INTERRUPT)
	s_mov_b32 m0, ttmp2
.LBB2_7008:                             ; =>This Inner Loop Header: Depth=1
	s_sethalt 5
	s_branch .LBB2_7008
.LBB2_7009:
	s_trap 2
	s_sendmsg_rtn_b32 s0, sendmsg(MSG_RTN_GET_DOORBELL)
	s_mov_b32 ttmp2, m0
	s_waitcnt lgkmcnt(0)
	s_and_b32 s0, s0, 0x3ff
	s_delay_alu instid0(SALU_CYCLE_1) | instskip(NEXT) | instid1(SALU_CYCLE_1)
	s_bitset1_b32 s0, 10
	s_mov_b32 m0, s0
	s_sendmsg sendmsg(MSG_INTERRUPT)
	s_mov_b32 m0, ttmp2
.LBB2_7010:                             ; =>This Inner Loop Header: Depth=1
	s_sethalt 5
	s_branch .LBB2_7010
.LBB2_7011:                             ;   in Loop: Header=BB2_7012 Depth=1
	s_or_b32 exec_lo, exec_lo, s12
	s_delay_alu instid0(SALU_CYCLE_1) | instskip(NEXT) | instid1(SALU_CYCLE_1)
	s_and_b32 s10, exec_lo, s11
	s_or_b32 s4, s10, s4
	s_and_not1_b32 s5, s5, exec_lo
	s_and_b32 s10, s6, exec_lo
	s_delay_alu instid0(SALU_CYCLE_1)
	s_or_b32 s5, s5, s10
	s_and_not1_b32 exec_lo, exec_lo, s4
	s_cbranch_execz .LBB2_7178
.LBB2_7012:                             ; =>This Inner Loop Header: Depth=1
	s_add_i32 s7, s7, 1
                                        ; implicit-def: $sgpr11
	s_delay_alu instid0(SALU_CYCLE_1) | instskip(SKIP_1) | instid1(SALU_CYCLE_1)
	s_cmpk_lg_i32 s7, 0x2710
	s_cselect_b32 s10, -1, 0
	s_and_b32 vcc_lo, exec_lo, s10
	s_cbranch_vccz .LBB2_7016
.LBB2_7013:                             ;   in Loop: Header=BB2_7012 Depth=1
	s_and_not1_b32 s6, s6, exec_lo
	s_and_b32 s12, s11, exec_lo
	s_mov_b32 s11, -1
	s_or_b32 s6, s6, s12
	s_and_saveexec_b32 s12, s10
	s_cbranch_execz .LBB2_7011
; %bb.7014:                             ;   in Loop: Header=BB2_7012 Depth=1
	s_sleep 1
	s_cbranch_execnz .LBB2_7064
; %bb.7015:                             ;   in Loop: Header=BB2_7012 Depth=1
	ds_load_b64 v[2:3], v0
	s_and_not1_b32 s6, s6, exec_lo
	s_waitcnt lgkmcnt(0)
	v_cmp_ge_u64_e32 vcc_lo, v[2:3], v[0:1]
	s_or_not1_b32 s11, vcc_lo, exec_lo
	s_branch .LBB2_7011
.LBB2_7016:                             ;   in Loop: Header=BB2_7012 Depth=1
	s_cbranch_execnz .LBB2_7066
; %bb.7017:                             ;   in Loop: Header=BB2_7012 Depth=1
	ds_load_b64 v[2:3], v0
	s_and_not1_b32 s10, s10, exec_lo
	s_mov_b32 s7, 0
	s_mov_b32 s11, -1
	s_waitcnt lgkmcnt(0)
	flat_load_b32 v2, v[2:3] glc
	s_waitcnt vmcnt(0) lgkmcnt(0)
	buffer_gl1_inv
	buffer_gl0_inv
	v_cmp_eq_u32_e32 vcc_lo, 0, v2
	s_and_b32 s12, vcc_lo, exec_lo
	s_delay_alu instid0(SALU_CYCLE_1)
	s_or_b32 s10, s10, s12
	s_branch .LBB2_7013
.LBB2_7018:
	s_trap 2
	s_sendmsg_rtn_b32 s0, sendmsg(MSG_RTN_GET_DOORBELL)
	s_mov_b32 ttmp2, m0
	s_waitcnt lgkmcnt(0)
	s_and_b32 s0, s0, 0x3ff
	s_delay_alu instid0(SALU_CYCLE_1) | instskip(NEXT) | instid1(SALU_CYCLE_1)
	s_bitset1_b32 s0, 10
	s_mov_b32 m0, s0
	s_sendmsg sendmsg(MSG_INTERRUPT)
	s_mov_b32 m0, ttmp2
.LBB2_7019:                             ; =>This Inner Loop Header: Depth=1
	s_sethalt 5
	s_branch .LBB2_7019
.LBB2_7020:
	s_trap 2
	s_sendmsg_rtn_b32 s0, sendmsg(MSG_RTN_GET_DOORBELL)
	s_mov_b32 ttmp2, m0
	s_waitcnt lgkmcnt(0)
	s_and_b32 s0, s0, 0x3ff
	s_delay_alu instid0(SALU_CYCLE_1) | instskip(NEXT) | instid1(SALU_CYCLE_1)
	s_bitset1_b32 s0, 10
	s_mov_b32 m0, s0
	s_sendmsg sendmsg(MSG_INTERRUPT)
	s_mov_b32 m0, ttmp2
.LBB2_7021:                             ; =>This Inner Loop Header: Depth=1
	s_sethalt 5
	s_branch .LBB2_7021
.LBB2_7022:
	s_trap 2
	s_sendmsg_rtn_b32 s0, sendmsg(MSG_RTN_GET_DOORBELL)
	s_mov_b32 ttmp2, m0
	s_waitcnt lgkmcnt(0)
	s_and_b32 s0, s0, 0x3ff
	s_delay_alu instid0(SALU_CYCLE_1) | instskip(NEXT) | instid1(SALU_CYCLE_1)
	s_bitset1_b32 s0, 10
	s_mov_b32 m0, s0
	s_sendmsg sendmsg(MSG_INTERRUPT)
	s_mov_b32 m0, ttmp2
.LBB2_7023:                             ; =>This Inner Loop Header: Depth=1
	s_sethalt 5
	s_branch .LBB2_7023
.LBB2_7024:
	s_trap 2
	s_sendmsg_rtn_b32 s0, sendmsg(MSG_RTN_GET_DOORBELL)
	s_mov_b32 ttmp2, m0
	s_waitcnt lgkmcnt(0)
	s_and_b32 s0, s0, 0x3ff
	s_delay_alu instid0(SALU_CYCLE_1) | instskip(NEXT) | instid1(SALU_CYCLE_1)
	s_bitset1_b32 s0, 10
	s_mov_b32 m0, s0
	s_sendmsg sendmsg(MSG_INTERRUPT)
	s_mov_b32 m0, ttmp2
.LBB2_7025:                             ; =>This Inner Loop Header: Depth=1
	s_sethalt 5
	s_branch .LBB2_7025
.LBB2_7026:
	s_trap 2
	s_sendmsg_rtn_b32 s0, sendmsg(MSG_RTN_GET_DOORBELL)
	s_mov_b32 ttmp2, m0
	s_waitcnt lgkmcnt(0)
	s_and_b32 s0, s0, 0x3ff
	s_delay_alu instid0(SALU_CYCLE_1) | instskip(NEXT) | instid1(SALU_CYCLE_1)
	s_bitset1_b32 s0, 10
	s_mov_b32 m0, s0
	s_sendmsg sendmsg(MSG_INTERRUPT)
	s_mov_b32 m0, ttmp2
.LBB2_7027:                             ; =>This Inner Loop Header: Depth=1
	s_sethalt 5
	s_branch .LBB2_7027
.LBB2_7028:
	s_trap 2
	s_sendmsg_rtn_b32 s0, sendmsg(MSG_RTN_GET_DOORBELL)
	s_mov_b32 ttmp2, m0
	s_waitcnt lgkmcnt(0)
	s_and_b32 s0, s0, 0x3ff
	s_delay_alu instid0(SALU_CYCLE_1) | instskip(NEXT) | instid1(SALU_CYCLE_1)
	s_bitset1_b32 s0, 10
	s_mov_b32 m0, s0
	s_sendmsg sendmsg(MSG_INTERRUPT)
	s_mov_b32 m0, ttmp2
.LBB2_7029:                             ; =>This Inner Loop Header: Depth=1
	s_sethalt 5
	s_branch .LBB2_7029
.LBB2_7030:
	s_trap 2
	s_sendmsg_rtn_b32 s0, sendmsg(MSG_RTN_GET_DOORBELL)
	s_mov_b32 ttmp2, m0
	s_waitcnt lgkmcnt(0)
	s_and_b32 s0, s0, 0x3ff
	s_delay_alu instid0(SALU_CYCLE_1) | instskip(NEXT) | instid1(SALU_CYCLE_1)
	s_bitset1_b32 s0, 10
	s_mov_b32 m0, s0
	s_sendmsg sendmsg(MSG_INTERRUPT)
	s_mov_b32 m0, ttmp2
.LBB2_7031:                             ; =>This Inner Loop Header: Depth=1
	s_sethalt 5
	s_branch .LBB2_7031
.LBB2_7032:
	s_trap 2
	s_sendmsg_rtn_b32 s0, sendmsg(MSG_RTN_GET_DOORBELL)
	s_mov_b32 ttmp2, m0
	s_waitcnt lgkmcnt(0)
	s_and_b32 s0, s0, 0x3ff
	s_delay_alu instid0(SALU_CYCLE_1) | instskip(NEXT) | instid1(SALU_CYCLE_1)
	s_bitset1_b32 s0, 10
	s_mov_b32 m0, s0
	s_sendmsg sendmsg(MSG_INTERRUPT)
	s_mov_b32 m0, ttmp2
.LBB2_7033:                             ; =>This Inner Loop Header: Depth=1
	s_sethalt 5
	s_branch .LBB2_7033
.LBB2_7034:
	s_trap 2
	s_sendmsg_rtn_b32 s0, sendmsg(MSG_RTN_GET_DOORBELL)
	s_mov_b32 ttmp2, m0
	s_waitcnt lgkmcnt(0)
	s_and_b32 s0, s0, 0x3ff
	s_delay_alu instid0(SALU_CYCLE_1) | instskip(NEXT) | instid1(SALU_CYCLE_1)
	s_bitset1_b32 s0, 10
	s_mov_b32 m0, s0
	s_sendmsg sendmsg(MSG_INTERRUPT)
	s_mov_b32 m0, ttmp2
.LBB2_7035:                             ; =>This Inner Loop Header: Depth=1
	s_sethalt 5
	s_branch .LBB2_7035
.LBB2_7036:
	s_trap 2
	s_sendmsg_rtn_b32 s0, sendmsg(MSG_RTN_GET_DOORBELL)
	s_mov_b32 ttmp2, m0
	s_waitcnt lgkmcnt(0)
	s_and_b32 s0, s0, 0x3ff
	s_delay_alu instid0(SALU_CYCLE_1) | instskip(NEXT) | instid1(SALU_CYCLE_1)
	s_bitset1_b32 s0, 10
	s_mov_b32 m0, s0
	s_sendmsg sendmsg(MSG_INTERRUPT)
	s_mov_b32 m0, ttmp2
.LBB2_7037:                             ; =>This Inner Loop Header: Depth=1
	s_sethalt 5
	s_branch .LBB2_7037
.LBB2_7038:
	s_trap 2
	s_sendmsg_rtn_b32 s0, sendmsg(MSG_RTN_GET_DOORBELL)
	s_mov_b32 ttmp2, m0
	s_waitcnt lgkmcnt(0)
	s_and_b32 s0, s0, 0x3ff
	s_delay_alu instid0(SALU_CYCLE_1) | instskip(NEXT) | instid1(SALU_CYCLE_1)
	s_bitset1_b32 s0, 10
	s_mov_b32 m0, s0
	s_sendmsg sendmsg(MSG_INTERRUPT)
	s_mov_b32 m0, ttmp2
.LBB2_7039:                             ; =>This Inner Loop Header: Depth=1
	s_sethalt 5
	s_branch .LBB2_7039
.LBB2_7040:
	s_trap 2
	s_sendmsg_rtn_b32 s0, sendmsg(MSG_RTN_GET_DOORBELL)
	s_mov_b32 ttmp2, m0
	s_waitcnt lgkmcnt(0)
	s_and_b32 s0, s0, 0x3ff
	s_delay_alu instid0(SALU_CYCLE_1) | instskip(NEXT) | instid1(SALU_CYCLE_1)
	s_bitset1_b32 s0, 10
	s_mov_b32 m0, s0
	s_sendmsg sendmsg(MSG_INTERRUPT)
	s_mov_b32 m0, ttmp2
.LBB2_7041:                             ; =>This Inner Loop Header: Depth=1
	s_sethalt 5
	s_branch .LBB2_7041
.LBB2_7042:
	s_trap 2
	s_sendmsg_rtn_b32 s0, sendmsg(MSG_RTN_GET_DOORBELL)
	s_mov_b32 ttmp2, m0
	s_waitcnt lgkmcnt(0)
	s_and_b32 s0, s0, 0x3ff
	s_delay_alu instid0(SALU_CYCLE_1) | instskip(NEXT) | instid1(SALU_CYCLE_1)
	s_bitset1_b32 s0, 10
	s_mov_b32 m0, s0
	s_sendmsg sendmsg(MSG_INTERRUPT)
	s_mov_b32 m0, ttmp2
.LBB2_7043:                             ; =>This Inner Loop Header: Depth=1
	s_sethalt 5
	s_branch .LBB2_7043
.LBB2_7044:
	s_trap 2
	s_sendmsg_rtn_b32 s0, sendmsg(MSG_RTN_GET_DOORBELL)
	s_mov_b32 ttmp2, m0
	s_waitcnt lgkmcnt(0)
	s_and_b32 s0, s0, 0x3ff
	s_delay_alu instid0(SALU_CYCLE_1) | instskip(NEXT) | instid1(SALU_CYCLE_1)
	s_bitset1_b32 s0, 10
	s_mov_b32 m0, s0
	s_sendmsg sendmsg(MSG_INTERRUPT)
	s_mov_b32 m0, ttmp2
.LBB2_7045:                             ; =>This Inner Loop Header: Depth=1
	s_sethalt 5
	s_branch .LBB2_7045
.LBB2_7046:
	s_trap 2
	s_sendmsg_rtn_b32 s0, sendmsg(MSG_RTN_GET_DOORBELL)
	s_mov_b32 ttmp2, m0
	s_waitcnt lgkmcnt(0)
	s_and_b32 s0, s0, 0x3ff
	s_delay_alu instid0(SALU_CYCLE_1) | instskip(NEXT) | instid1(SALU_CYCLE_1)
	s_bitset1_b32 s0, 10
	s_mov_b32 m0, s0
	s_sendmsg sendmsg(MSG_INTERRUPT)
	s_mov_b32 m0, ttmp2
.LBB2_7047:                             ; =>This Inner Loop Header: Depth=1
	s_sethalt 5
	s_branch .LBB2_7047
.LBB2_7048:
	s_trap 2
	s_sendmsg_rtn_b32 s0, sendmsg(MSG_RTN_GET_DOORBELL)
	s_mov_b32 ttmp2, m0
	s_waitcnt lgkmcnt(0)
	s_and_b32 s0, s0, 0x3ff
	s_delay_alu instid0(SALU_CYCLE_1) | instskip(NEXT) | instid1(SALU_CYCLE_1)
	s_bitset1_b32 s0, 10
	s_mov_b32 m0, s0
	s_sendmsg sendmsg(MSG_INTERRUPT)
	s_mov_b32 m0, ttmp2
.LBB2_7049:                             ; =>This Inner Loop Header: Depth=1
	s_sethalt 5
	s_branch .LBB2_7049
.LBB2_7050:
	s_trap 2
	s_sendmsg_rtn_b32 s0, sendmsg(MSG_RTN_GET_DOORBELL)
	s_mov_b32 ttmp2, m0
	s_waitcnt lgkmcnt(0)
	s_and_b32 s0, s0, 0x3ff
	s_delay_alu instid0(SALU_CYCLE_1) | instskip(NEXT) | instid1(SALU_CYCLE_1)
	s_bitset1_b32 s0, 10
	s_mov_b32 m0, s0
	s_sendmsg sendmsg(MSG_INTERRUPT)
	s_mov_b32 m0, ttmp2
.LBB2_7051:                             ; =>This Inner Loop Header: Depth=1
	s_sethalt 5
	s_branch .LBB2_7051
.LBB2_7052:
	s_trap 2
	s_sendmsg_rtn_b32 s0, sendmsg(MSG_RTN_GET_DOORBELL)
	s_mov_b32 ttmp2, m0
	s_waitcnt lgkmcnt(0)
	s_and_b32 s0, s0, 0x3ff
	s_delay_alu instid0(SALU_CYCLE_1) | instskip(NEXT) | instid1(SALU_CYCLE_1)
	s_bitset1_b32 s0, 10
	s_mov_b32 m0, s0
	s_sendmsg sendmsg(MSG_INTERRUPT)
	s_mov_b32 m0, ttmp2
.LBB2_7053:                             ; =>This Inner Loop Header: Depth=1
	s_sethalt 5
	s_branch .LBB2_7053
.LBB2_7054:
	s_trap 2
	s_sendmsg_rtn_b32 s0, sendmsg(MSG_RTN_GET_DOORBELL)
	s_mov_b32 ttmp2, m0
	s_waitcnt lgkmcnt(0)
	s_and_b32 s0, s0, 0x3ff
	s_delay_alu instid0(SALU_CYCLE_1) | instskip(NEXT) | instid1(SALU_CYCLE_1)
	s_bitset1_b32 s0, 10
	s_mov_b32 m0, s0
	s_sendmsg sendmsg(MSG_INTERRUPT)
	s_mov_b32 m0, ttmp2
.LBB2_7055:                             ; =>This Inner Loop Header: Depth=1
	s_sethalt 5
	s_branch .LBB2_7055
.LBB2_7056:
	s_trap 2
	s_sendmsg_rtn_b32 s0, sendmsg(MSG_RTN_GET_DOORBELL)
	s_mov_b32 ttmp2, m0
	s_waitcnt lgkmcnt(0)
	s_and_b32 s0, s0, 0x3ff
	s_delay_alu instid0(SALU_CYCLE_1) | instskip(NEXT) | instid1(SALU_CYCLE_1)
	s_bitset1_b32 s0, 10
	s_mov_b32 m0, s0
	s_sendmsg sendmsg(MSG_INTERRUPT)
	s_mov_b32 m0, ttmp2
.LBB2_7057:                             ; =>This Inner Loop Header: Depth=1
	s_sethalt 5
	s_branch .LBB2_7057
.LBB2_7058:
	s_trap 2
	s_sendmsg_rtn_b32 s0, sendmsg(MSG_RTN_GET_DOORBELL)
	s_mov_b32 ttmp2, m0
	s_waitcnt lgkmcnt(0)
	s_and_b32 s0, s0, 0x3ff
	s_delay_alu instid0(SALU_CYCLE_1) | instskip(NEXT) | instid1(SALU_CYCLE_1)
	s_bitset1_b32 s0, 10
	s_mov_b32 m0, s0
	s_sendmsg sendmsg(MSG_INTERRUPT)
	s_mov_b32 m0, ttmp2
.LBB2_7059:                             ; =>This Inner Loop Header: Depth=1
	s_sethalt 5
	s_branch .LBB2_7059
.LBB2_7060:
	s_trap 2
	s_sendmsg_rtn_b32 s0, sendmsg(MSG_RTN_GET_DOORBELL)
	s_mov_b32 ttmp2, m0
	s_waitcnt lgkmcnt(0)
	s_and_b32 s0, s0, 0x3ff
	s_delay_alu instid0(SALU_CYCLE_1) | instskip(NEXT) | instid1(SALU_CYCLE_1)
	s_bitset1_b32 s0, 10
	s_mov_b32 m0, s0
	s_sendmsg sendmsg(MSG_INTERRUPT)
	s_mov_b32 m0, ttmp2
.LBB2_7061:                             ; =>This Inner Loop Header: Depth=1
	s_sethalt 5
	s_branch .LBB2_7061
.LBB2_7062:
	s_trap 2
	s_sendmsg_rtn_b32 s0, sendmsg(MSG_RTN_GET_DOORBELL)
	s_mov_b32 ttmp2, m0
	s_waitcnt lgkmcnt(0)
	s_and_b32 s0, s0, 0x3ff
	s_delay_alu instid0(SALU_CYCLE_1) | instskip(NEXT) | instid1(SALU_CYCLE_1)
	s_bitset1_b32 s0, 10
	s_mov_b32 m0, s0
	s_sendmsg sendmsg(MSG_INTERRUPT)
	s_mov_b32 m0, ttmp2
.LBB2_7063:                             ; =>This Inner Loop Header: Depth=1
	s_sethalt 5
	s_branch .LBB2_7063
.LBB2_7064:
	s_trap 2
	s_sendmsg_rtn_b32 s0, sendmsg(MSG_RTN_GET_DOORBELL)
	s_mov_b32 ttmp2, m0
	s_waitcnt lgkmcnt(0)
	s_and_b32 s0, s0, 0x3ff
	s_delay_alu instid0(SALU_CYCLE_1) | instskip(NEXT) | instid1(SALU_CYCLE_1)
	s_bitset1_b32 s0, 10
	s_mov_b32 m0, s0
	s_sendmsg sendmsg(MSG_INTERRUPT)
	s_mov_b32 m0, ttmp2
.LBB2_7065:                             ; =>This Inner Loop Header: Depth=1
	s_sethalt 5
	s_branch .LBB2_7065
.LBB2_7066:
	s_trap 2
	s_sendmsg_rtn_b32 s0, sendmsg(MSG_RTN_GET_DOORBELL)
	s_mov_b32 ttmp2, m0
	s_waitcnt lgkmcnt(0)
	s_and_b32 s0, s0, 0x3ff
	s_delay_alu instid0(SALU_CYCLE_1) | instskip(NEXT) | instid1(SALU_CYCLE_1)
	s_bitset1_b32 s0, 10
	s_mov_b32 m0, s0
	s_sendmsg sendmsg(MSG_INTERRUPT)
	s_mov_b32 m0, ttmp2
.LBB2_7067:                             ; =>This Inner Loop Header: Depth=1
	s_sethalt 5
	s_branch .LBB2_7067
.LBB2_7068:
	s_trap 2
	s_sendmsg_rtn_b32 s0, sendmsg(MSG_RTN_GET_DOORBELL)
	s_mov_b32 ttmp2, m0
	s_waitcnt lgkmcnt(0)
	s_and_b32 s0, s0, 0x3ff
	s_delay_alu instid0(SALU_CYCLE_1) | instskip(NEXT) | instid1(SALU_CYCLE_1)
	s_bitset1_b32 s0, 10
	s_mov_b32 m0, s0
	s_sendmsg sendmsg(MSG_INTERRUPT)
	s_mov_b32 m0, ttmp2
.LBB2_7069:                             ; =>This Inner Loop Header: Depth=1
	s_sethalt 5
	s_branch .LBB2_7069
.LBB2_7070:
	s_trap 2
	s_sendmsg_rtn_b32 s0, sendmsg(MSG_RTN_GET_DOORBELL)
	s_mov_b32 ttmp2, m0
	s_waitcnt lgkmcnt(0)
	s_and_b32 s0, s0, 0x3ff
	s_delay_alu instid0(SALU_CYCLE_1) | instskip(NEXT) | instid1(SALU_CYCLE_1)
	s_bitset1_b32 s0, 10
	s_mov_b32 m0, s0
	s_sendmsg sendmsg(MSG_INTERRUPT)
	s_mov_b32 m0, ttmp2
.LBB2_7071:                             ; =>This Inner Loop Header: Depth=1
	s_sethalt 5
	s_branch .LBB2_7071
.LBB2_7072:
	s_trap 2
	s_sendmsg_rtn_b32 s0, sendmsg(MSG_RTN_GET_DOORBELL)
	s_mov_b32 ttmp2, m0
	s_waitcnt lgkmcnt(0)
	s_and_b32 s0, s0, 0x3ff
	s_delay_alu instid0(SALU_CYCLE_1) | instskip(NEXT) | instid1(SALU_CYCLE_1)
	s_bitset1_b32 s0, 10
	s_mov_b32 m0, s0
	s_sendmsg sendmsg(MSG_INTERRUPT)
	s_mov_b32 m0, ttmp2
.LBB2_7073:                             ; =>This Inner Loop Header: Depth=1
	s_sethalt 5
	s_branch .LBB2_7073
.LBB2_7074:
	s_trap 2
	s_sendmsg_rtn_b32 s0, sendmsg(MSG_RTN_GET_DOORBELL)
	s_mov_b32 ttmp2, m0
	s_waitcnt lgkmcnt(0)
	s_and_b32 s0, s0, 0x3ff
	s_delay_alu instid0(SALU_CYCLE_1) | instskip(NEXT) | instid1(SALU_CYCLE_1)
	s_bitset1_b32 s0, 10
	s_mov_b32 m0, s0
	s_sendmsg sendmsg(MSG_INTERRUPT)
	s_mov_b32 m0, ttmp2
.LBB2_7075:                             ; =>This Inner Loop Header: Depth=1
	s_sethalt 5
	s_branch .LBB2_7075
.LBB2_7076:
	s_trap 2
	s_sendmsg_rtn_b32 s0, sendmsg(MSG_RTN_GET_DOORBELL)
	s_mov_b32 ttmp2, m0
	s_waitcnt lgkmcnt(0)
	s_and_b32 s0, s0, 0x3ff
	s_delay_alu instid0(SALU_CYCLE_1) | instskip(NEXT) | instid1(SALU_CYCLE_1)
	s_bitset1_b32 s0, 10
	s_mov_b32 m0, s0
	s_sendmsg sendmsg(MSG_INTERRUPT)
	s_mov_b32 m0, ttmp2
.LBB2_7077:                             ; =>This Inner Loop Header: Depth=1
	s_sethalt 5
	s_branch .LBB2_7077
.LBB2_7078:
	s_trap 2
	s_sendmsg_rtn_b32 s0, sendmsg(MSG_RTN_GET_DOORBELL)
	s_mov_b32 ttmp2, m0
	s_waitcnt lgkmcnt(0)
	s_and_b32 s0, s0, 0x3ff
	s_delay_alu instid0(SALU_CYCLE_1) | instskip(NEXT) | instid1(SALU_CYCLE_1)
	s_bitset1_b32 s0, 10
	s_mov_b32 m0, s0
	s_sendmsg sendmsg(MSG_INTERRUPT)
	s_mov_b32 m0, ttmp2
.LBB2_7079:                             ; =>This Inner Loop Header: Depth=1
	s_sethalt 5
	s_branch .LBB2_7079
.LBB2_7080:
	s_trap 2
	s_sendmsg_rtn_b32 s0, sendmsg(MSG_RTN_GET_DOORBELL)
	s_mov_b32 ttmp2, m0
	s_waitcnt lgkmcnt(0)
	s_and_b32 s0, s0, 0x3ff
	s_delay_alu instid0(SALU_CYCLE_1) | instskip(NEXT) | instid1(SALU_CYCLE_1)
	s_bitset1_b32 s0, 10
	s_mov_b32 m0, s0
	s_sendmsg sendmsg(MSG_INTERRUPT)
	s_mov_b32 m0, ttmp2
.LBB2_7081:                             ; =>This Inner Loop Header: Depth=1
	s_sethalt 5
	s_branch .LBB2_7081
.LBB2_7082:
	s_trap 2
	s_sendmsg_rtn_b32 s0, sendmsg(MSG_RTN_GET_DOORBELL)
	s_mov_b32 ttmp2, m0
	s_waitcnt lgkmcnt(0)
	s_and_b32 s0, s0, 0x3ff
	s_delay_alu instid0(SALU_CYCLE_1) | instskip(NEXT) | instid1(SALU_CYCLE_1)
	s_bitset1_b32 s0, 10
	s_mov_b32 m0, s0
	s_sendmsg sendmsg(MSG_INTERRUPT)
	s_mov_b32 m0, ttmp2
.LBB2_7083:                             ; =>This Inner Loop Header: Depth=1
	s_sethalt 5
	s_branch .LBB2_7083
.LBB2_7084:
	s_trap 2
	s_sendmsg_rtn_b32 s0, sendmsg(MSG_RTN_GET_DOORBELL)
	s_mov_b32 ttmp2, m0
	s_waitcnt lgkmcnt(0)
	s_and_b32 s0, s0, 0x3ff
	s_delay_alu instid0(SALU_CYCLE_1) | instskip(NEXT) | instid1(SALU_CYCLE_1)
	s_bitset1_b32 s0, 10
	s_mov_b32 m0, s0
	s_sendmsg sendmsg(MSG_INTERRUPT)
	s_mov_b32 m0, ttmp2
.LBB2_7085:                             ; =>This Inner Loop Header: Depth=1
	s_sethalt 5
	s_branch .LBB2_7085
.LBB2_7086:
	s_trap 2
	s_sendmsg_rtn_b32 s0, sendmsg(MSG_RTN_GET_DOORBELL)
	s_mov_b32 ttmp2, m0
	s_waitcnt lgkmcnt(0)
	s_and_b32 s0, s0, 0x3ff
	s_delay_alu instid0(SALU_CYCLE_1) | instskip(NEXT) | instid1(SALU_CYCLE_1)
	s_bitset1_b32 s0, 10
	s_mov_b32 m0, s0
	s_sendmsg sendmsg(MSG_INTERRUPT)
	s_mov_b32 m0, ttmp2
.LBB2_7087:                             ; =>This Inner Loop Header: Depth=1
	s_sethalt 5
	s_branch .LBB2_7087
.LBB2_7088:
	s_trap 2
	s_sendmsg_rtn_b32 s0, sendmsg(MSG_RTN_GET_DOORBELL)
	s_mov_b32 ttmp2, m0
	s_waitcnt lgkmcnt(0)
	s_and_b32 s0, s0, 0x3ff
	s_delay_alu instid0(SALU_CYCLE_1) | instskip(NEXT) | instid1(SALU_CYCLE_1)
	s_bitset1_b32 s0, 10
	s_mov_b32 m0, s0
	s_sendmsg sendmsg(MSG_INTERRUPT)
	s_mov_b32 m0, ttmp2
.LBB2_7089:                             ; =>This Inner Loop Header: Depth=1
	s_sethalt 5
	s_branch .LBB2_7089
.LBB2_7090:
	s_trap 2
	s_sendmsg_rtn_b32 s0, sendmsg(MSG_RTN_GET_DOORBELL)
	s_mov_b32 ttmp2, m0
	s_waitcnt lgkmcnt(0)
	s_and_b32 s0, s0, 0x3ff
	s_delay_alu instid0(SALU_CYCLE_1) | instskip(NEXT) | instid1(SALU_CYCLE_1)
	s_bitset1_b32 s0, 10
	s_mov_b32 m0, s0
	s_sendmsg sendmsg(MSG_INTERRUPT)
	s_mov_b32 m0, ttmp2
.LBB2_7091:                             ; =>This Inner Loop Header: Depth=1
	s_sethalt 5
	s_branch .LBB2_7091
.LBB2_7092:
	s_trap 2
	s_sendmsg_rtn_b32 s0, sendmsg(MSG_RTN_GET_DOORBELL)
	s_mov_b32 ttmp2, m0
	s_waitcnt lgkmcnt(0)
	s_and_b32 s0, s0, 0x3ff
	s_delay_alu instid0(SALU_CYCLE_1) | instskip(NEXT) | instid1(SALU_CYCLE_1)
	s_bitset1_b32 s0, 10
	s_mov_b32 m0, s0
	s_sendmsg sendmsg(MSG_INTERRUPT)
	s_mov_b32 m0, ttmp2
.LBB2_7093:                             ; =>This Inner Loop Header: Depth=1
	s_sethalt 5
	s_branch .LBB2_7093
.LBB2_7094:
	s_trap 2
	s_sendmsg_rtn_b32 s0, sendmsg(MSG_RTN_GET_DOORBELL)
	s_mov_b32 ttmp2, m0
	s_waitcnt lgkmcnt(0)
	s_and_b32 s0, s0, 0x3ff
	s_delay_alu instid0(SALU_CYCLE_1) | instskip(NEXT) | instid1(SALU_CYCLE_1)
	s_bitset1_b32 s0, 10
	s_mov_b32 m0, s0
	s_sendmsg sendmsg(MSG_INTERRUPT)
	s_mov_b32 m0, ttmp2
.LBB2_7095:                             ; =>This Inner Loop Header: Depth=1
	s_sethalt 5
	s_branch .LBB2_7095
.LBB2_7096:
	s_trap 2
	s_sendmsg_rtn_b32 s0, sendmsg(MSG_RTN_GET_DOORBELL)
	s_mov_b32 ttmp2, m0
	s_waitcnt lgkmcnt(0)
	s_and_b32 s0, s0, 0x3ff
	s_delay_alu instid0(SALU_CYCLE_1) | instskip(NEXT) | instid1(SALU_CYCLE_1)
	s_bitset1_b32 s0, 10
	s_mov_b32 m0, s0
	s_sendmsg sendmsg(MSG_INTERRUPT)
	s_mov_b32 m0, ttmp2
.LBB2_7097:                             ; =>This Inner Loop Header: Depth=1
	s_sethalt 5
	s_branch .LBB2_7097
.LBB2_7098:
	s_trap 2
	s_sendmsg_rtn_b32 s0, sendmsg(MSG_RTN_GET_DOORBELL)
	s_mov_b32 ttmp2, m0
	s_waitcnt lgkmcnt(0)
	s_and_b32 s0, s0, 0x3ff
	s_delay_alu instid0(SALU_CYCLE_1) | instskip(NEXT) | instid1(SALU_CYCLE_1)
	s_bitset1_b32 s0, 10
	s_mov_b32 m0, s0
	s_sendmsg sendmsg(MSG_INTERRUPT)
	s_mov_b32 m0, ttmp2
.LBB2_7099:                             ; =>This Inner Loop Header: Depth=1
	s_sethalt 5
	s_branch .LBB2_7099
.LBB2_7100:
	s_trap 2
	s_sendmsg_rtn_b32 s0, sendmsg(MSG_RTN_GET_DOORBELL)
	s_mov_b32 ttmp2, m0
	s_waitcnt lgkmcnt(0)
	s_and_b32 s0, s0, 0x3ff
	s_delay_alu instid0(SALU_CYCLE_1) | instskip(NEXT) | instid1(SALU_CYCLE_1)
	s_bitset1_b32 s0, 10
	s_mov_b32 m0, s0
	s_sendmsg sendmsg(MSG_INTERRUPT)
	s_mov_b32 m0, ttmp2
.LBB2_7101:                             ; =>This Inner Loop Header: Depth=1
	s_sethalt 5
	s_branch .LBB2_7101
.LBB2_7102:
	s_trap 2
	s_sendmsg_rtn_b32 s0, sendmsg(MSG_RTN_GET_DOORBELL)
	s_mov_b32 ttmp2, m0
	s_waitcnt lgkmcnt(0)
	s_and_b32 s0, s0, 0x3ff
	s_delay_alu instid0(SALU_CYCLE_1) | instskip(NEXT) | instid1(SALU_CYCLE_1)
	s_bitset1_b32 s0, 10
	s_mov_b32 m0, s0
	s_sendmsg sendmsg(MSG_INTERRUPT)
	s_mov_b32 m0, ttmp2
.LBB2_7103:                             ; =>This Inner Loop Header: Depth=1
	s_sethalt 5
	s_branch .LBB2_7103
.LBB2_7104:
	s_trap 2
	s_sendmsg_rtn_b32 s0, sendmsg(MSG_RTN_GET_DOORBELL)
	s_mov_b32 ttmp2, m0
	s_waitcnt lgkmcnt(0)
	s_and_b32 s0, s0, 0x3ff
	s_delay_alu instid0(SALU_CYCLE_1) | instskip(NEXT) | instid1(SALU_CYCLE_1)
	s_bitset1_b32 s0, 10
	s_mov_b32 m0, s0
	s_sendmsg sendmsg(MSG_INTERRUPT)
	s_mov_b32 m0, ttmp2
.LBB2_7105:                             ; =>This Inner Loop Header: Depth=1
	s_sethalt 5
	s_branch .LBB2_7105
.LBB2_7106:
	s_trap 2
	s_sendmsg_rtn_b32 s0, sendmsg(MSG_RTN_GET_DOORBELL)
	s_mov_b32 ttmp2, m0
	s_waitcnt lgkmcnt(0)
	s_and_b32 s0, s0, 0x3ff
	s_delay_alu instid0(SALU_CYCLE_1) | instskip(NEXT) | instid1(SALU_CYCLE_1)
	s_bitset1_b32 s0, 10
	s_mov_b32 m0, s0
	s_sendmsg sendmsg(MSG_INTERRUPT)
	s_mov_b32 m0, ttmp2
.LBB2_7107:                             ; =>This Inner Loop Header: Depth=1
	s_sethalt 5
	s_branch .LBB2_7107
.LBB2_7108:
	s_trap 2
	s_sendmsg_rtn_b32 s0, sendmsg(MSG_RTN_GET_DOORBELL)
	s_mov_b32 ttmp2, m0
	s_waitcnt lgkmcnt(0)
	s_and_b32 s0, s0, 0x3ff
	s_delay_alu instid0(SALU_CYCLE_1) | instskip(NEXT) | instid1(SALU_CYCLE_1)
	s_bitset1_b32 s0, 10
	s_mov_b32 m0, s0
	s_sendmsg sendmsg(MSG_INTERRUPT)
	s_mov_b32 m0, ttmp2
.LBB2_7109:                             ; =>This Inner Loop Header: Depth=1
	s_sethalt 5
	s_branch .LBB2_7109
.LBB2_7110:
	s_trap 2
	s_sendmsg_rtn_b32 s0, sendmsg(MSG_RTN_GET_DOORBELL)
	s_mov_b32 ttmp2, m0
	s_waitcnt lgkmcnt(0)
	s_and_b32 s0, s0, 0x3ff
	s_delay_alu instid0(SALU_CYCLE_1) | instskip(NEXT) | instid1(SALU_CYCLE_1)
	s_bitset1_b32 s0, 10
	s_mov_b32 m0, s0
	s_sendmsg sendmsg(MSG_INTERRUPT)
	s_mov_b32 m0, ttmp2
.LBB2_7111:                             ; =>This Inner Loop Header: Depth=1
	s_sethalt 5
	s_branch .LBB2_7111
.LBB2_7112:
	s_trap 2
	s_sendmsg_rtn_b32 s0, sendmsg(MSG_RTN_GET_DOORBELL)
	s_mov_b32 ttmp2, m0
	s_waitcnt lgkmcnt(0)
	s_and_b32 s0, s0, 0x3ff
	s_delay_alu instid0(SALU_CYCLE_1) | instskip(NEXT) | instid1(SALU_CYCLE_1)
	s_bitset1_b32 s0, 10
	s_mov_b32 m0, s0
	s_sendmsg sendmsg(MSG_INTERRUPT)
	s_mov_b32 m0, ttmp2
.LBB2_7113:                             ; =>This Inner Loop Header: Depth=1
	s_sethalt 5
	s_branch .LBB2_7113
.LBB2_7114:
	s_trap 2
	s_sendmsg_rtn_b32 s0, sendmsg(MSG_RTN_GET_DOORBELL)
	s_mov_b32 ttmp2, m0
	s_waitcnt lgkmcnt(0)
	s_and_b32 s0, s0, 0x3ff
	s_delay_alu instid0(SALU_CYCLE_1) | instskip(NEXT) | instid1(SALU_CYCLE_1)
	s_bitset1_b32 s0, 10
	s_mov_b32 m0, s0
	s_sendmsg sendmsg(MSG_INTERRUPT)
	s_mov_b32 m0, ttmp2
.LBB2_7115:                             ; =>This Inner Loop Header: Depth=1
	s_sethalt 5
	s_branch .LBB2_7115
.LBB2_7116:
	s_trap 2
	s_sendmsg_rtn_b32 s0, sendmsg(MSG_RTN_GET_DOORBELL)
	s_mov_b32 ttmp2, m0
	s_waitcnt lgkmcnt(0)
	s_and_b32 s0, s0, 0x3ff
	s_delay_alu instid0(SALU_CYCLE_1) | instskip(NEXT) | instid1(SALU_CYCLE_1)
	s_bitset1_b32 s0, 10
	s_mov_b32 m0, s0
	s_sendmsg sendmsg(MSG_INTERRUPT)
	s_mov_b32 m0, ttmp2
.LBB2_7117:                             ; =>This Inner Loop Header: Depth=1
	s_sethalt 5
	s_branch .LBB2_7117
.LBB2_7118:
	s_trap 2
	s_sendmsg_rtn_b32 s0, sendmsg(MSG_RTN_GET_DOORBELL)
	s_mov_b32 ttmp2, m0
	s_waitcnt lgkmcnt(0)
	s_and_b32 s0, s0, 0x3ff
	s_delay_alu instid0(SALU_CYCLE_1) | instskip(NEXT) | instid1(SALU_CYCLE_1)
	s_bitset1_b32 s0, 10
	s_mov_b32 m0, s0
	s_sendmsg sendmsg(MSG_INTERRUPT)
	s_mov_b32 m0, ttmp2
.LBB2_7119:                             ; =>This Inner Loop Header: Depth=1
	s_sethalt 5
	s_branch .LBB2_7119
.LBB2_7120:
	s_trap 2
	s_sendmsg_rtn_b32 s0, sendmsg(MSG_RTN_GET_DOORBELL)
	s_mov_b32 ttmp2, m0
	s_waitcnt lgkmcnt(0)
	s_and_b32 s0, s0, 0x3ff
	s_delay_alu instid0(SALU_CYCLE_1) | instskip(NEXT) | instid1(SALU_CYCLE_1)
	s_bitset1_b32 s0, 10
	s_mov_b32 m0, s0
	s_sendmsg sendmsg(MSG_INTERRUPT)
	s_mov_b32 m0, ttmp2
.LBB2_7121:                             ; =>This Inner Loop Header: Depth=1
	s_sethalt 5
	s_branch .LBB2_7121
.LBB2_7122:
	s_trap 2
	s_sendmsg_rtn_b32 s0, sendmsg(MSG_RTN_GET_DOORBELL)
	s_mov_b32 ttmp2, m0
	s_waitcnt lgkmcnt(0)
	s_and_b32 s0, s0, 0x3ff
	s_delay_alu instid0(SALU_CYCLE_1) | instskip(NEXT) | instid1(SALU_CYCLE_1)
	s_bitset1_b32 s0, 10
	s_mov_b32 m0, s0
	s_sendmsg sendmsg(MSG_INTERRUPT)
	s_mov_b32 m0, ttmp2
.LBB2_7123:                             ; =>This Inner Loop Header: Depth=1
	s_sethalt 5
	s_branch .LBB2_7123
.LBB2_7124:
	s_trap 2
	s_sendmsg_rtn_b32 s0, sendmsg(MSG_RTN_GET_DOORBELL)
	s_mov_b32 ttmp2, m0
	s_waitcnt lgkmcnt(0)
	s_and_b32 s0, s0, 0x3ff
	s_delay_alu instid0(SALU_CYCLE_1) | instskip(NEXT) | instid1(SALU_CYCLE_1)
	s_bitset1_b32 s0, 10
	s_mov_b32 m0, s0
	s_sendmsg sendmsg(MSG_INTERRUPT)
	s_mov_b32 m0, ttmp2
.LBB2_7125:                             ; =>This Inner Loop Header: Depth=1
	s_sethalt 5
	s_branch .LBB2_7125
.LBB2_7126:
	s_trap 2
	s_sendmsg_rtn_b32 s0, sendmsg(MSG_RTN_GET_DOORBELL)
	s_mov_b32 ttmp2, m0
	s_waitcnt lgkmcnt(0)
	s_and_b32 s0, s0, 0x3ff
	s_delay_alu instid0(SALU_CYCLE_1) | instskip(NEXT) | instid1(SALU_CYCLE_1)
	s_bitset1_b32 s0, 10
	s_mov_b32 m0, s0
	s_sendmsg sendmsg(MSG_INTERRUPT)
	s_mov_b32 m0, ttmp2
.LBB2_7127:                             ; =>This Inner Loop Header: Depth=1
	s_sethalt 5
	s_branch .LBB2_7127
.LBB2_7128:
	s_trap 2
	s_sendmsg_rtn_b32 s0, sendmsg(MSG_RTN_GET_DOORBELL)
	s_mov_b32 ttmp2, m0
	s_waitcnt lgkmcnt(0)
	s_and_b32 s0, s0, 0x3ff
	s_delay_alu instid0(SALU_CYCLE_1) | instskip(NEXT) | instid1(SALU_CYCLE_1)
	s_bitset1_b32 s0, 10
	s_mov_b32 m0, s0
	s_sendmsg sendmsg(MSG_INTERRUPT)
	s_mov_b32 m0, ttmp2
.LBB2_7129:                             ; =>This Inner Loop Header: Depth=1
	s_sethalt 5
	s_branch .LBB2_7129
.LBB2_7130:
	s_trap 2
	s_sendmsg_rtn_b32 s0, sendmsg(MSG_RTN_GET_DOORBELL)
	s_mov_b32 ttmp2, m0
	s_waitcnt lgkmcnt(0)
	s_and_b32 s0, s0, 0x3ff
	s_delay_alu instid0(SALU_CYCLE_1) | instskip(NEXT) | instid1(SALU_CYCLE_1)
	s_bitset1_b32 s0, 10
	s_mov_b32 m0, s0
	s_sendmsg sendmsg(MSG_INTERRUPT)
	s_mov_b32 m0, ttmp2
.LBB2_7131:                             ; =>This Inner Loop Header: Depth=1
	s_sethalt 5
	s_branch .LBB2_7131
.LBB2_7132:
	s_trap 2
	s_sendmsg_rtn_b32 s0, sendmsg(MSG_RTN_GET_DOORBELL)
	s_mov_b32 ttmp2, m0
	s_waitcnt lgkmcnt(0)
	s_and_b32 s0, s0, 0x3ff
	s_delay_alu instid0(SALU_CYCLE_1) | instskip(NEXT) | instid1(SALU_CYCLE_1)
	s_bitset1_b32 s0, 10
	s_mov_b32 m0, s0
	s_sendmsg sendmsg(MSG_INTERRUPT)
	s_mov_b32 m0, ttmp2
.LBB2_7133:                             ; =>This Inner Loop Header: Depth=1
	s_sethalt 5
	s_branch .LBB2_7133
.LBB2_7134:
	s_trap 2
	s_sendmsg_rtn_b32 s0, sendmsg(MSG_RTN_GET_DOORBELL)
	s_mov_b32 ttmp2, m0
	s_waitcnt lgkmcnt(0)
	s_and_b32 s0, s0, 0x3ff
	s_delay_alu instid0(SALU_CYCLE_1) | instskip(NEXT) | instid1(SALU_CYCLE_1)
	s_bitset1_b32 s0, 10
	s_mov_b32 m0, s0
	s_sendmsg sendmsg(MSG_INTERRUPT)
	s_mov_b32 m0, ttmp2
.LBB2_7135:                             ; =>This Inner Loop Header: Depth=1
	s_sethalt 5
	s_branch .LBB2_7135
.LBB2_7136:
	s_trap 2
	s_sendmsg_rtn_b32 s0, sendmsg(MSG_RTN_GET_DOORBELL)
	s_mov_b32 ttmp2, m0
	s_waitcnt lgkmcnt(0)
	s_and_b32 s0, s0, 0x3ff
	s_delay_alu instid0(SALU_CYCLE_1) | instskip(NEXT) | instid1(SALU_CYCLE_1)
	s_bitset1_b32 s0, 10
	s_mov_b32 m0, s0
	s_sendmsg sendmsg(MSG_INTERRUPT)
	s_mov_b32 m0, ttmp2
.LBB2_7137:                             ; =>This Inner Loop Header: Depth=1
	s_sethalt 5
	s_branch .LBB2_7137
.LBB2_7138:
	s_trap 2
	s_sendmsg_rtn_b32 s0, sendmsg(MSG_RTN_GET_DOORBELL)
	s_mov_b32 ttmp2, m0
	s_waitcnt lgkmcnt(0)
	s_and_b32 s0, s0, 0x3ff
	s_delay_alu instid0(SALU_CYCLE_1) | instskip(NEXT) | instid1(SALU_CYCLE_1)
	s_bitset1_b32 s0, 10
	s_mov_b32 m0, s0
	s_sendmsg sendmsg(MSG_INTERRUPT)
	s_mov_b32 m0, ttmp2
.LBB2_7139:                             ; =>This Inner Loop Header: Depth=1
	s_sethalt 5
	s_branch .LBB2_7139
.LBB2_7140:
	s_trap 2
	s_sendmsg_rtn_b32 s0, sendmsg(MSG_RTN_GET_DOORBELL)
	s_mov_b32 ttmp2, m0
	s_waitcnt lgkmcnt(0)
	s_and_b32 s0, s0, 0x3ff
	s_delay_alu instid0(SALU_CYCLE_1) | instskip(NEXT) | instid1(SALU_CYCLE_1)
	s_bitset1_b32 s0, 10
	s_mov_b32 m0, s0
	s_sendmsg sendmsg(MSG_INTERRUPT)
	s_mov_b32 m0, ttmp2
.LBB2_7141:                             ; =>This Inner Loop Header: Depth=1
	s_sethalt 5
	s_branch .LBB2_7141
.LBB2_7142:
	s_trap 2
	s_sendmsg_rtn_b32 s0, sendmsg(MSG_RTN_GET_DOORBELL)
	s_mov_b32 ttmp2, m0
	s_waitcnt lgkmcnt(0)
	s_and_b32 s0, s0, 0x3ff
	s_delay_alu instid0(SALU_CYCLE_1) | instskip(NEXT) | instid1(SALU_CYCLE_1)
	s_bitset1_b32 s0, 10
	s_mov_b32 m0, s0
	s_sendmsg sendmsg(MSG_INTERRUPT)
	s_mov_b32 m0, ttmp2
.LBB2_7143:                             ; =>This Inner Loop Header: Depth=1
	s_sethalt 5
	s_branch .LBB2_7143
.LBB2_7144:
	s_trap 2
	s_sendmsg_rtn_b32 s0, sendmsg(MSG_RTN_GET_DOORBELL)
	s_mov_b32 ttmp2, m0
	s_waitcnt lgkmcnt(0)
	s_and_b32 s0, s0, 0x3ff
	s_delay_alu instid0(SALU_CYCLE_1) | instskip(NEXT) | instid1(SALU_CYCLE_1)
	s_bitset1_b32 s0, 10
	s_mov_b32 m0, s0
	s_sendmsg sendmsg(MSG_INTERRUPT)
	s_mov_b32 m0, ttmp2
.LBB2_7145:                             ; =>This Inner Loop Header: Depth=1
	s_sethalt 5
	s_branch .LBB2_7145
.LBB2_7146:
	s_trap 2
	s_sendmsg_rtn_b32 s0, sendmsg(MSG_RTN_GET_DOORBELL)
	s_mov_b32 ttmp2, m0
	s_waitcnt lgkmcnt(0)
	s_and_b32 s0, s0, 0x3ff
	s_delay_alu instid0(SALU_CYCLE_1) | instskip(NEXT) | instid1(SALU_CYCLE_1)
	s_bitset1_b32 s0, 10
	s_mov_b32 m0, s0
	s_sendmsg sendmsg(MSG_INTERRUPT)
	s_mov_b32 m0, ttmp2
.LBB2_7147:                             ; =>This Inner Loop Header: Depth=1
	s_sethalt 5
	s_branch .LBB2_7147
.LBB2_7148:
	s_trap 2
	s_sendmsg_rtn_b32 s0, sendmsg(MSG_RTN_GET_DOORBELL)
	s_mov_b32 ttmp2, m0
	s_waitcnt lgkmcnt(0)
	s_and_b32 s0, s0, 0x3ff
	s_delay_alu instid0(SALU_CYCLE_1) | instskip(NEXT) | instid1(SALU_CYCLE_1)
	s_bitset1_b32 s0, 10
	s_mov_b32 m0, s0
	s_sendmsg sendmsg(MSG_INTERRUPT)
	s_mov_b32 m0, ttmp2
.LBB2_7149:                             ; =>This Inner Loop Header: Depth=1
	s_sethalt 5
	s_branch .LBB2_7149
.LBB2_7150:
	s_trap 2
	s_sendmsg_rtn_b32 s0, sendmsg(MSG_RTN_GET_DOORBELL)
	s_mov_b32 ttmp2, m0
	s_waitcnt lgkmcnt(0)
	s_and_b32 s0, s0, 0x3ff
	s_delay_alu instid0(SALU_CYCLE_1) | instskip(NEXT) | instid1(SALU_CYCLE_1)
	s_bitset1_b32 s0, 10
	s_mov_b32 m0, s0
	s_sendmsg sendmsg(MSG_INTERRUPT)
	s_mov_b32 m0, ttmp2
.LBB2_7151:                             ; =>This Inner Loop Header: Depth=1
	s_sethalt 5
	s_branch .LBB2_7151
.LBB2_7152:
	s_trap 2
	s_sendmsg_rtn_b32 s0, sendmsg(MSG_RTN_GET_DOORBELL)
	s_mov_b32 ttmp2, m0
	s_waitcnt lgkmcnt(0)
	s_and_b32 s0, s0, 0x3ff
	s_delay_alu instid0(SALU_CYCLE_1) | instskip(NEXT) | instid1(SALU_CYCLE_1)
	s_bitset1_b32 s0, 10
	s_mov_b32 m0, s0
	s_sendmsg sendmsg(MSG_INTERRUPT)
	s_mov_b32 m0, ttmp2
.LBB2_7153:                             ; =>This Inner Loop Header: Depth=1
	s_sethalt 5
	s_branch .LBB2_7153
.LBB2_7154:
	s_trap 2
	s_sendmsg_rtn_b32 s0, sendmsg(MSG_RTN_GET_DOORBELL)
	s_mov_b32 ttmp2, m0
	s_waitcnt lgkmcnt(0)
	s_and_b32 s0, s0, 0x3ff
	s_delay_alu instid0(SALU_CYCLE_1) | instskip(NEXT) | instid1(SALU_CYCLE_1)
	s_bitset1_b32 s0, 10
	s_mov_b32 m0, s0
	s_sendmsg sendmsg(MSG_INTERRUPT)
	s_mov_b32 m0, ttmp2
.LBB2_7155:                             ; =>This Inner Loop Header: Depth=1
	s_sethalt 5
	s_branch .LBB2_7155
.LBB2_7156:
	s_trap 2
	s_sendmsg_rtn_b32 s0, sendmsg(MSG_RTN_GET_DOORBELL)
	s_mov_b32 ttmp2, m0
	s_waitcnt lgkmcnt(0)
	s_and_b32 s0, s0, 0x3ff
	s_delay_alu instid0(SALU_CYCLE_1) | instskip(NEXT) | instid1(SALU_CYCLE_1)
	s_bitset1_b32 s0, 10
	s_mov_b32 m0, s0
	s_sendmsg sendmsg(MSG_INTERRUPT)
	s_mov_b32 m0, ttmp2
.LBB2_7157:                             ; =>This Inner Loop Header: Depth=1
	s_sethalt 5
	s_branch .LBB2_7157
.LBB2_7158:
	s_trap 2
	s_sendmsg_rtn_b32 s0, sendmsg(MSG_RTN_GET_DOORBELL)
	s_mov_b32 ttmp2, m0
	s_waitcnt lgkmcnt(0)
	s_and_b32 s0, s0, 0x3ff
	s_delay_alu instid0(SALU_CYCLE_1) | instskip(NEXT) | instid1(SALU_CYCLE_1)
	s_bitset1_b32 s0, 10
	s_mov_b32 m0, s0
	s_sendmsg sendmsg(MSG_INTERRUPT)
	s_mov_b32 m0, ttmp2
.LBB2_7159:                             ; =>This Inner Loop Header: Depth=1
	s_sethalt 5
	s_branch .LBB2_7159
.LBB2_7160:
	s_trap 2
	s_sendmsg_rtn_b32 s0, sendmsg(MSG_RTN_GET_DOORBELL)
	s_mov_b32 ttmp2, m0
	s_waitcnt lgkmcnt(0)
	s_and_b32 s0, s0, 0x3ff
	s_delay_alu instid0(SALU_CYCLE_1) | instskip(NEXT) | instid1(SALU_CYCLE_1)
	s_bitset1_b32 s0, 10
	s_mov_b32 m0, s0
	s_sendmsg sendmsg(MSG_INTERRUPT)
	s_mov_b32 m0, ttmp2
.LBB2_7161:                             ; =>This Inner Loop Header: Depth=1
	s_sethalt 5
	s_branch .LBB2_7161
.LBB2_7162:
	s_trap 2
	s_sendmsg_rtn_b32 s0, sendmsg(MSG_RTN_GET_DOORBELL)
	s_mov_b32 ttmp2, m0
	s_waitcnt lgkmcnt(0)
	s_and_b32 s0, s0, 0x3ff
	s_delay_alu instid0(SALU_CYCLE_1) | instskip(NEXT) | instid1(SALU_CYCLE_1)
	s_bitset1_b32 s0, 10
	s_mov_b32 m0, s0
	s_sendmsg sendmsg(MSG_INTERRUPT)
	s_mov_b32 m0, ttmp2
.LBB2_7163:                             ; =>This Inner Loop Header: Depth=1
	s_sethalt 5
	s_branch .LBB2_7163
.LBB2_7164:
	s_trap 2
	s_sendmsg_rtn_b32 s0, sendmsg(MSG_RTN_GET_DOORBELL)
	s_mov_b32 ttmp2, m0
	s_waitcnt lgkmcnt(0)
	s_and_b32 s0, s0, 0x3ff
	s_delay_alu instid0(SALU_CYCLE_1) | instskip(NEXT) | instid1(SALU_CYCLE_1)
	s_bitset1_b32 s0, 10
	s_mov_b32 m0, s0
	s_sendmsg sendmsg(MSG_INTERRUPT)
	s_mov_b32 m0, ttmp2
.LBB2_7165:                             ; =>This Inner Loop Header: Depth=1
	s_sethalt 5
	s_branch .LBB2_7165
.LBB2_7166:
	s_trap 2
	s_sendmsg_rtn_b32 s0, sendmsg(MSG_RTN_GET_DOORBELL)
	s_mov_b32 ttmp2, m0
	s_waitcnt lgkmcnt(0)
	s_and_b32 s0, s0, 0x3ff
	s_delay_alu instid0(SALU_CYCLE_1) | instskip(NEXT) | instid1(SALU_CYCLE_1)
	s_bitset1_b32 s0, 10
	s_mov_b32 m0, s0
	s_sendmsg sendmsg(MSG_INTERRUPT)
	s_mov_b32 m0, ttmp2
.LBB2_7167:                             ; =>This Inner Loop Header: Depth=1
	s_sethalt 5
	s_branch .LBB2_7167
.LBB2_7168:
	s_trap 2
	s_sendmsg_rtn_b32 s0, sendmsg(MSG_RTN_GET_DOORBELL)
	s_mov_b32 ttmp2, m0
	s_waitcnt lgkmcnt(0)
	s_and_b32 s0, s0, 0x3ff
	s_delay_alu instid0(SALU_CYCLE_1) | instskip(NEXT) | instid1(SALU_CYCLE_1)
	s_bitset1_b32 s0, 10
	s_mov_b32 m0, s0
	s_sendmsg sendmsg(MSG_INTERRUPT)
	s_mov_b32 m0, ttmp2
.LBB2_7169:                             ; =>This Inner Loop Header: Depth=1
	s_sethalt 5
	s_branch .LBB2_7169
.LBB2_7170:
	s_trap 2
	s_sendmsg_rtn_b32 s0, sendmsg(MSG_RTN_GET_DOORBELL)
	s_mov_b32 ttmp2, m0
	s_waitcnt lgkmcnt(0)
	s_and_b32 s0, s0, 0x3ff
	s_delay_alu instid0(SALU_CYCLE_1) | instskip(NEXT) | instid1(SALU_CYCLE_1)
	s_bitset1_b32 s0, 10
	s_mov_b32 m0, s0
	s_sendmsg sendmsg(MSG_INTERRUPT)
	s_mov_b32 m0, ttmp2
.LBB2_7171:                             ; =>This Inner Loop Header: Depth=1
	s_sethalt 5
	s_branch .LBB2_7171
.LBB2_7172:
	s_trap 2
	s_sendmsg_rtn_b32 s0, sendmsg(MSG_RTN_GET_DOORBELL)
	s_mov_b32 ttmp2, m0
	s_waitcnt lgkmcnt(0)
	s_and_b32 s0, s0, 0x3ff
	s_delay_alu instid0(SALU_CYCLE_1) | instskip(NEXT) | instid1(SALU_CYCLE_1)
	s_bitset1_b32 s0, 10
	s_mov_b32 m0, s0
	s_sendmsg sendmsg(MSG_INTERRUPT)
	s_mov_b32 m0, ttmp2
.LBB2_7173:                             ; =>This Inner Loop Header: Depth=1
	s_sethalt 5
	s_branch .LBB2_7173
.LBB2_7174:
	s_trap 2
	s_sendmsg_rtn_b32 s0, sendmsg(MSG_RTN_GET_DOORBELL)
	s_mov_b32 ttmp2, m0
	s_waitcnt lgkmcnt(0)
	s_and_b32 s0, s0, 0x3ff
	s_delay_alu instid0(SALU_CYCLE_1) | instskip(NEXT) | instid1(SALU_CYCLE_1)
	s_bitset1_b32 s0, 10
	s_mov_b32 m0, s0
	s_sendmsg sendmsg(MSG_INTERRUPT)
	s_mov_b32 m0, ttmp2
.LBB2_7175:                             ; =>This Inner Loop Header: Depth=1
	s_sethalt 5
	s_branch .LBB2_7175
.LBB2_7176:
	s_trap 2
	s_sendmsg_rtn_b32 s0, sendmsg(MSG_RTN_GET_DOORBELL)
	s_mov_b32 ttmp2, m0
	s_waitcnt lgkmcnt(0)
	s_and_b32 s0, s0, 0x3ff
	s_delay_alu instid0(SALU_CYCLE_1) | instskip(NEXT) | instid1(SALU_CYCLE_1)
	s_bitset1_b32 s0, 10
	s_mov_b32 m0, s0
	s_sendmsg sendmsg(MSG_INTERRUPT)
	s_mov_b32 m0, ttmp2
.LBB2_7177:                             ; =>This Inner Loop Header: Depth=1
	s_sethalt 5
	s_branch .LBB2_7177
.LBB2_7178:
	s_or_b32 exec_lo, exec_lo, s4
	s_and_saveexec_b32 s4, s5
	s_delay_alu instid0(SALU_CYCLE_1)
	s_xor_b32 s4, exec_lo, s4
	s_cbranch_execz .LBB2_7180
; %bb.7179:
	v_mov_b32_e32 v0, 1
	ds_store_b32 v0, v0
	s_cbranch_execnz .LBB2_7268
.LBB2_7180:
	s_or_b32 exec_lo, exec_lo, s3
	;;#ASMSTART
	s_wakeup
	;;#ASMEND
.LBB2_7181:
	s_or_b32 exec_lo, exec_lo, s2
.LBB2_7182:
	s_and_not1_saveexec_b32 s1, s1
	s_cbranch_execz .LBB2_7184
; %bb.7183:
	s_waitcnt vmcnt(0) lgkmcnt(0)
	s_waitcnt_vscnt null, 0x0
	buffer_gl1_inv
	buffer_gl0_inv
	s_barrier
.LBB2_7184:
	s_or_b32 exec_lo, exec_lo, s0
.LBB2_7185:
	s_and_not1_saveexec_b32 s21, s18
	s_cbranch_execz .LBB2_7187
; %bb.7186:
	s_getpc_b64 s[0:1]
	s_add_u32 s0, s0, __PRETTY_FUNCTION__._ZN10PrimitivesI11rccl_float810FuncMinMaxIS0_E12FanSymmetricILi1EELi0E11ProtoSimpleILi2ELi2ELi0ELi1ELi0ELi0EELi0ELb0ELi0ELi0ELi0EEC2EiiPKiS9_PKvPvmhhhP15ncclDevWorkCollP14ncclDevWorkP2pii@rel32@lo+4
	s_addc_u32 s1, s1, __PRETTY_FUNCTION__._ZN10PrimitivesI11rccl_float810FuncMinMaxIS0_E12FanSymmetricILi1EELi0E11ProtoSimpleILi2ELi2ELi0ELi1ELi0ELi0EELi0ELb0ELi0ELi0ELi0EEC2EiiPKiS9_PKvPvmhhhP15ncclDevWorkCollP14ncclDevWorkP2pii@rel32@hi+12
	s_delay_alu instid0(SALU_CYCLE_1) | instskip(SKIP_3) | instid1(SALU_CYCLE_1)
	v_dual_mov_b32 v0, s0 :: v_dual_mov_b32 v1, s1
	s_getpc_b64 s[2:3]
	s_add_u32 s2, s2, __assert_fail@rel32@lo+4
	s_addc_u32 s3, s3, __assert_fail@rel32@hi+12
	s_swappc_b64 s[30:31], s[2:3]
	; divergent unreachable
.LBB2_7187:
	s_or_b32 exec_lo, exec_lo, s21
	scratch_load_b32 v40, off, s33          ; 4-byte Folded Reload
	v_readlane_b32 s30, v41, 13
	v_readlane_b32 s31, v41, 14
	;; [unrolled: 1-line block ×16, first 2 shown]
	s_or_saveexec_b32 s1, -1
	s_clause 0x1
	scratch_load_b32 v41, off, s33 offset:4
	scratch_load_b32 v42, off, s33 offset:8
	s_mov_b32 exec_lo, s1
	s_add_i32 s32, s32, -16
	s_mov_b32 s33, s0
	s_waitcnt vmcnt(0) lgkmcnt(0)
	s_setpc_b64 s[30:31]
.LBB2_7188:
	s_trap 2
	s_sendmsg_rtn_b32 s0, sendmsg(MSG_RTN_GET_DOORBELL)
	s_mov_b32 ttmp2, m0
	s_waitcnt lgkmcnt(0)
	s_and_b32 s0, s0, 0x3ff
	s_delay_alu instid0(SALU_CYCLE_1) | instskip(NEXT) | instid1(SALU_CYCLE_1)
	s_bitset1_b32 s0, 10
	s_mov_b32 m0, s0
	s_sendmsg sendmsg(MSG_INTERRUPT)
	s_mov_b32 m0, ttmp2
.LBB2_7189:                             ; =>This Inner Loop Header: Depth=1
	s_sethalt 5
	s_branch .LBB2_7189
.LBB2_7190:
	s_trap 2
	s_sendmsg_rtn_b32 s0, sendmsg(MSG_RTN_GET_DOORBELL)
	s_mov_b32 ttmp2, m0
	s_waitcnt lgkmcnt(0)
	s_and_b32 s0, s0, 0x3ff
	s_delay_alu instid0(SALU_CYCLE_1) | instskip(NEXT) | instid1(SALU_CYCLE_1)
	s_bitset1_b32 s0, 10
	s_mov_b32 m0, s0
	s_sendmsg sendmsg(MSG_INTERRUPT)
	s_mov_b32 m0, ttmp2
.LBB2_7191:                             ; =>This Inner Loop Header: Depth=1
	s_sethalt 5
	s_branch .LBB2_7191
.LBB2_7192:
	s_trap 2
	s_sendmsg_rtn_b32 s0, sendmsg(MSG_RTN_GET_DOORBELL)
	s_mov_b32 ttmp2, m0
	s_waitcnt lgkmcnt(0)
	s_and_b32 s0, s0, 0x3ff
	s_delay_alu instid0(SALU_CYCLE_1) | instskip(NEXT) | instid1(SALU_CYCLE_1)
	s_bitset1_b32 s0, 10
	s_mov_b32 m0, s0
	s_sendmsg sendmsg(MSG_INTERRUPT)
	s_mov_b32 m0, ttmp2
.LBB2_7193:                             ; =>This Inner Loop Header: Depth=1
	s_sethalt 5
	s_branch .LBB2_7193
.LBB2_7194:
	s_trap 2
	s_sendmsg_rtn_b32 s0, sendmsg(MSG_RTN_GET_DOORBELL)
	s_mov_b32 ttmp2, m0
	s_waitcnt lgkmcnt(0)
	s_and_b32 s0, s0, 0x3ff
	s_delay_alu instid0(SALU_CYCLE_1) | instskip(NEXT) | instid1(SALU_CYCLE_1)
	s_bitset1_b32 s0, 10
	s_mov_b32 m0, s0
	s_sendmsg sendmsg(MSG_INTERRUPT)
	s_mov_b32 m0, ttmp2
.LBB2_7195:                             ; =>This Inner Loop Header: Depth=1
	s_sethalt 5
	s_branch .LBB2_7195
.LBB2_7196:
	s_trap 2
	s_sendmsg_rtn_b32 s0, sendmsg(MSG_RTN_GET_DOORBELL)
	s_mov_b32 ttmp2, m0
	s_waitcnt lgkmcnt(0)
	s_and_b32 s0, s0, 0x3ff
	s_delay_alu instid0(SALU_CYCLE_1) | instskip(NEXT) | instid1(SALU_CYCLE_1)
	s_bitset1_b32 s0, 10
	s_mov_b32 m0, s0
	s_sendmsg sendmsg(MSG_INTERRUPT)
	s_mov_b32 m0, ttmp2
.LBB2_7197:                             ; =>This Inner Loop Header: Depth=1
	s_sethalt 5
	s_branch .LBB2_7197
.LBB2_7198:
	s_trap 2
	s_sendmsg_rtn_b32 s0, sendmsg(MSG_RTN_GET_DOORBELL)
	s_mov_b32 ttmp2, m0
	s_waitcnt lgkmcnt(0)
	s_and_b32 s0, s0, 0x3ff
	s_delay_alu instid0(SALU_CYCLE_1) | instskip(NEXT) | instid1(SALU_CYCLE_1)
	s_bitset1_b32 s0, 10
	s_mov_b32 m0, s0
	s_sendmsg sendmsg(MSG_INTERRUPT)
	s_mov_b32 m0, ttmp2
.LBB2_7199:                             ; =>This Inner Loop Header: Depth=1
	s_sethalt 5
	s_branch .LBB2_7199
.LBB2_7200:
	s_trap 2
	s_sendmsg_rtn_b32 s0, sendmsg(MSG_RTN_GET_DOORBELL)
	s_mov_b32 ttmp2, m0
	s_waitcnt lgkmcnt(0)
	s_and_b32 s0, s0, 0x3ff
	s_delay_alu instid0(SALU_CYCLE_1) | instskip(NEXT) | instid1(SALU_CYCLE_1)
	s_bitset1_b32 s0, 10
	s_mov_b32 m0, s0
	s_sendmsg sendmsg(MSG_INTERRUPT)
	s_mov_b32 m0, ttmp2
.LBB2_7201:                             ; =>This Inner Loop Header: Depth=1
	s_sethalt 5
	s_branch .LBB2_7201
.LBB2_7202:
	s_trap 2
	s_sendmsg_rtn_b32 s0, sendmsg(MSG_RTN_GET_DOORBELL)
	s_mov_b32 ttmp2, m0
	s_waitcnt lgkmcnt(0)
	s_and_b32 s0, s0, 0x3ff
	s_delay_alu instid0(SALU_CYCLE_1) | instskip(NEXT) | instid1(SALU_CYCLE_1)
	s_bitset1_b32 s0, 10
	s_mov_b32 m0, s0
	s_sendmsg sendmsg(MSG_INTERRUPT)
	s_mov_b32 m0, ttmp2
.LBB2_7203:                             ; =>This Inner Loop Header: Depth=1
	s_sethalt 5
	s_branch .LBB2_7203
.LBB2_7204:
	s_trap 2
	s_sendmsg_rtn_b32 s0, sendmsg(MSG_RTN_GET_DOORBELL)
	s_mov_b32 ttmp2, m0
	s_waitcnt lgkmcnt(0)
	s_and_b32 s0, s0, 0x3ff
	s_delay_alu instid0(SALU_CYCLE_1) | instskip(NEXT) | instid1(SALU_CYCLE_1)
	s_bitset1_b32 s0, 10
	s_mov_b32 m0, s0
	s_sendmsg sendmsg(MSG_INTERRUPT)
	s_mov_b32 m0, ttmp2
.LBB2_7205:                             ; =>This Inner Loop Header: Depth=1
	s_sethalt 5
	s_branch .LBB2_7205
.LBB2_7206:
	s_trap 2
	s_sendmsg_rtn_b32 s0, sendmsg(MSG_RTN_GET_DOORBELL)
	s_mov_b32 ttmp2, m0
	s_waitcnt lgkmcnt(0)
	s_and_b32 s0, s0, 0x3ff
	s_delay_alu instid0(SALU_CYCLE_1) | instskip(NEXT) | instid1(SALU_CYCLE_1)
	s_bitset1_b32 s0, 10
	s_mov_b32 m0, s0
	s_sendmsg sendmsg(MSG_INTERRUPT)
	s_mov_b32 m0, ttmp2
.LBB2_7207:                             ; =>This Inner Loop Header: Depth=1
	s_sethalt 5
	s_branch .LBB2_7207
.LBB2_7208:
	s_trap 2
	s_sendmsg_rtn_b32 s0, sendmsg(MSG_RTN_GET_DOORBELL)
	s_mov_b32 ttmp2, m0
	s_waitcnt lgkmcnt(0)
	s_and_b32 s0, s0, 0x3ff
	s_delay_alu instid0(SALU_CYCLE_1) | instskip(NEXT) | instid1(SALU_CYCLE_1)
	s_bitset1_b32 s0, 10
	s_mov_b32 m0, s0
	s_sendmsg sendmsg(MSG_INTERRUPT)
	s_mov_b32 m0, ttmp2
.LBB2_7209:                             ; =>This Inner Loop Header: Depth=1
	s_sethalt 5
	s_branch .LBB2_7209
.LBB2_7210:
	s_trap 2
	s_sendmsg_rtn_b32 s0, sendmsg(MSG_RTN_GET_DOORBELL)
	s_mov_b32 ttmp2, m0
	s_waitcnt lgkmcnt(0)
	s_and_b32 s0, s0, 0x3ff
	s_delay_alu instid0(SALU_CYCLE_1) | instskip(NEXT) | instid1(SALU_CYCLE_1)
	s_bitset1_b32 s0, 10
	s_mov_b32 m0, s0
	s_sendmsg sendmsg(MSG_INTERRUPT)
	s_mov_b32 m0, ttmp2
.LBB2_7211:                             ; =>This Inner Loop Header: Depth=1
	s_sethalt 5
	s_branch .LBB2_7211
.LBB2_7212:
	s_trap 2
	s_sendmsg_rtn_b32 s0, sendmsg(MSG_RTN_GET_DOORBELL)
	s_mov_b32 ttmp2, m0
	s_waitcnt lgkmcnt(0)
	s_and_b32 s0, s0, 0x3ff
	s_delay_alu instid0(SALU_CYCLE_1) | instskip(NEXT) | instid1(SALU_CYCLE_1)
	s_bitset1_b32 s0, 10
	s_mov_b32 m0, s0
	s_sendmsg sendmsg(MSG_INTERRUPT)
	s_mov_b32 m0, ttmp2
.LBB2_7213:                             ; =>This Inner Loop Header: Depth=1
	s_sethalt 5
	s_branch .LBB2_7213
.LBB2_7214:
	s_trap 2
	s_sendmsg_rtn_b32 s0, sendmsg(MSG_RTN_GET_DOORBELL)
	s_mov_b32 ttmp2, m0
	s_waitcnt lgkmcnt(0)
	s_and_b32 s0, s0, 0x3ff
	s_delay_alu instid0(SALU_CYCLE_1) | instskip(NEXT) | instid1(SALU_CYCLE_1)
	s_bitset1_b32 s0, 10
	s_mov_b32 m0, s0
	s_sendmsg sendmsg(MSG_INTERRUPT)
	s_mov_b32 m0, ttmp2
.LBB2_7215:                             ; =>This Inner Loop Header: Depth=1
	s_sethalt 5
	s_branch .LBB2_7215
.LBB2_7216:
	s_trap 2
	s_sendmsg_rtn_b32 s0, sendmsg(MSG_RTN_GET_DOORBELL)
	s_mov_b32 ttmp2, m0
	s_waitcnt lgkmcnt(0)
	s_and_b32 s0, s0, 0x3ff
	s_delay_alu instid0(SALU_CYCLE_1) | instskip(NEXT) | instid1(SALU_CYCLE_1)
	s_bitset1_b32 s0, 10
	s_mov_b32 m0, s0
	s_sendmsg sendmsg(MSG_INTERRUPT)
	s_mov_b32 m0, ttmp2
.LBB2_7217:                             ; =>This Inner Loop Header: Depth=1
	s_sethalt 5
	s_branch .LBB2_7217
.LBB2_7218:
	s_trap 2
	s_sendmsg_rtn_b32 s0, sendmsg(MSG_RTN_GET_DOORBELL)
	s_mov_b32 ttmp2, m0
	s_waitcnt lgkmcnt(0)
	s_and_b32 s0, s0, 0x3ff
	s_delay_alu instid0(SALU_CYCLE_1) | instskip(NEXT) | instid1(SALU_CYCLE_1)
	s_bitset1_b32 s0, 10
	s_mov_b32 m0, s0
	s_sendmsg sendmsg(MSG_INTERRUPT)
	s_mov_b32 m0, ttmp2
.LBB2_7219:                             ; =>This Inner Loop Header: Depth=1
	s_sethalt 5
	s_branch .LBB2_7219
.LBB2_7220:
	s_trap 2
	s_sendmsg_rtn_b32 s0, sendmsg(MSG_RTN_GET_DOORBELL)
	s_mov_b32 ttmp2, m0
	s_waitcnt lgkmcnt(0)
	s_and_b32 s0, s0, 0x3ff
	s_delay_alu instid0(SALU_CYCLE_1) | instskip(NEXT) | instid1(SALU_CYCLE_1)
	s_bitset1_b32 s0, 10
	s_mov_b32 m0, s0
	s_sendmsg sendmsg(MSG_INTERRUPT)
	s_mov_b32 m0, ttmp2
.LBB2_7221:                             ; =>This Inner Loop Header: Depth=1
	s_sethalt 5
	s_branch .LBB2_7221
.LBB2_7222:
	s_trap 2
	s_sendmsg_rtn_b32 s0, sendmsg(MSG_RTN_GET_DOORBELL)
	s_mov_b32 ttmp2, m0
	s_waitcnt lgkmcnt(0)
	s_and_b32 s0, s0, 0x3ff
	s_delay_alu instid0(SALU_CYCLE_1) | instskip(NEXT) | instid1(SALU_CYCLE_1)
	s_bitset1_b32 s0, 10
	s_mov_b32 m0, s0
	s_sendmsg sendmsg(MSG_INTERRUPT)
	s_mov_b32 m0, ttmp2
.LBB2_7223:                             ; =>This Inner Loop Header: Depth=1
	s_sethalt 5
	s_branch .LBB2_7223
.LBB2_7224:
	s_trap 2
	s_sendmsg_rtn_b32 s0, sendmsg(MSG_RTN_GET_DOORBELL)
	s_mov_b32 ttmp2, m0
	s_waitcnt lgkmcnt(0)
	s_and_b32 s0, s0, 0x3ff
	s_delay_alu instid0(SALU_CYCLE_1) | instskip(NEXT) | instid1(SALU_CYCLE_1)
	s_bitset1_b32 s0, 10
	s_mov_b32 m0, s0
	s_sendmsg sendmsg(MSG_INTERRUPT)
	s_mov_b32 m0, ttmp2
.LBB2_7225:                             ; =>This Inner Loop Header: Depth=1
	s_sethalt 5
	s_branch .LBB2_7225
.LBB2_7226:
	s_trap 2
	s_sendmsg_rtn_b32 s0, sendmsg(MSG_RTN_GET_DOORBELL)
	s_mov_b32 ttmp2, m0
	s_waitcnt lgkmcnt(0)
	s_and_b32 s0, s0, 0x3ff
	s_delay_alu instid0(SALU_CYCLE_1) | instskip(NEXT) | instid1(SALU_CYCLE_1)
	s_bitset1_b32 s0, 10
	s_mov_b32 m0, s0
	s_sendmsg sendmsg(MSG_INTERRUPT)
	s_mov_b32 m0, ttmp2
.LBB2_7227:                             ; =>This Inner Loop Header: Depth=1
	s_sethalt 5
	s_branch .LBB2_7227
.LBB2_7228:
	s_trap 2
	s_sendmsg_rtn_b32 s0, sendmsg(MSG_RTN_GET_DOORBELL)
	s_mov_b32 ttmp2, m0
	s_waitcnt lgkmcnt(0)
	s_and_b32 s0, s0, 0x3ff
	s_delay_alu instid0(SALU_CYCLE_1) | instskip(NEXT) | instid1(SALU_CYCLE_1)
	s_bitset1_b32 s0, 10
	s_mov_b32 m0, s0
	s_sendmsg sendmsg(MSG_INTERRUPT)
	s_mov_b32 m0, ttmp2
.LBB2_7229:                             ; =>This Inner Loop Header: Depth=1
	s_sethalt 5
	s_branch .LBB2_7229
.LBB2_7230:
	s_trap 2
	s_sendmsg_rtn_b32 s0, sendmsg(MSG_RTN_GET_DOORBELL)
	s_mov_b32 ttmp2, m0
	s_waitcnt lgkmcnt(0)
	s_and_b32 s0, s0, 0x3ff
	s_delay_alu instid0(SALU_CYCLE_1) | instskip(NEXT) | instid1(SALU_CYCLE_1)
	s_bitset1_b32 s0, 10
	s_mov_b32 m0, s0
	s_sendmsg sendmsg(MSG_INTERRUPT)
	s_mov_b32 m0, ttmp2
.LBB2_7231:                             ; =>This Inner Loop Header: Depth=1
	s_sethalt 5
	s_branch .LBB2_7231
.LBB2_7232:
	s_trap 2
	s_sendmsg_rtn_b32 s0, sendmsg(MSG_RTN_GET_DOORBELL)
	s_mov_b32 ttmp2, m0
	s_waitcnt lgkmcnt(0)
	s_and_b32 s0, s0, 0x3ff
	s_delay_alu instid0(SALU_CYCLE_1) | instskip(NEXT) | instid1(SALU_CYCLE_1)
	s_bitset1_b32 s0, 10
	s_mov_b32 m0, s0
	s_sendmsg sendmsg(MSG_INTERRUPT)
	s_mov_b32 m0, ttmp2
.LBB2_7233:                             ; =>This Inner Loop Header: Depth=1
	s_sethalt 5
	s_branch .LBB2_7233
.LBB2_7234:
	s_trap 2
	s_sendmsg_rtn_b32 s0, sendmsg(MSG_RTN_GET_DOORBELL)
	s_mov_b32 ttmp2, m0
	s_waitcnt lgkmcnt(0)
	s_and_b32 s0, s0, 0x3ff
	s_delay_alu instid0(SALU_CYCLE_1) | instskip(NEXT) | instid1(SALU_CYCLE_1)
	s_bitset1_b32 s0, 10
	s_mov_b32 m0, s0
	s_sendmsg sendmsg(MSG_INTERRUPT)
	s_mov_b32 m0, ttmp2
.LBB2_7235:                             ; =>This Inner Loop Header: Depth=1
	s_sethalt 5
	s_branch .LBB2_7235
.LBB2_7236:
	s_trap 2
	s_sendmsg_rtn_b32 s0, sendmsg(MSG_RTN_GET_DOORBELL)
	s_mov_b32 ttmp2, m0
	s_waitcnt lgkmcnt(0)
	s_and_b32 s0, s0, 0x3ff
	s_delay_alu instid0(SALU_CYCLE_1) | instskip(NEXT) | instid1(SALU_CYCLE_1)
	s_bitset1_b32 s0, 10
	s_mov_b32 m0, s0
	s_sendmsg sendmsg(MSG_INTERRUPT)
	s_mov_b32 m0, ttmp2
.LBB2_7237:                             ; =>This Inner Loop Header: Depth=1
	s_sethalt 5
	s_branch .LBB2_7237
.LBB2_7238:
	s_trap 2
	s_sendmsg_rtn_b32 s0, sendmsg(MSG_RTN_GET_DOORBELL)
	s_mov_b32 ttmp2, m0
	s_waitcnt lgkmcnt(0)
	s_and_b32 s0, s0, 0x3ff
	s_delay_alu instid0(SALU_CYCLE_1) | instskip(NEXT) | instid1(SALU_CYCLE_1)
	s_bitset1_b32 s0, 10
	s_mov_b32 m0, s0
	s_sendmsg sendmsg(MSG_INTERRUPT)
	s_mov_b32 m0, ttmp2
.LBB2_7239:                             ; =>This Inner Loop Header: Depth=1
	s_sethalt 5
	s_branch .LBB2_7239
.LBB2_7240:
	s_trap 2
	s_sendmsg_rtn_b32 s0, sendmsg(MSG_RTN_GET_DOORBELL)
	s_mov_b32 ttmp2, m0
	s_waitcnt lgkmcnt(0)
	s_and_b32 s0, s0, 0x3ff
	s_delay_alu instid0(SALU_CYCLE_1) | instskip(NEXT) | instid1(SALU_CYCLE_1)
	s_bitset1_b32 s0, 10
	s_mov_b32 m0, s0
	s_sendmsg sendmsg(MSG_INTERRUPT)
	s_mov_b32 m0, ttmp2
.LBB2_7241:                             ; =>This Inner Loop Header: Depth=1
	s_sethalt 5
	s_branch .LBB2_7241
.LBB2_7242:
	s_trap 2
	s_sendmsg_rtn_b32 s0, sendmsg(MSG_RTN_GET_DOORBELL)
	s_mov_b32 ttmp2, m0
	s_waitcnt lgkmcnt(0)
	s_and_b32 s0, s0, 0x3ff
	s_delay_alu instid0(SALU_CYCLE_1) | instskip(NEXT) | instid1(SALU_CYCLE_1)
	s_bitset1_b32 s0, 10
	s_mov_b32 m0, s0
	s_sendmsg sendmsg(MSG_INTERRUPT)
	s_mov_b32 m0, ttmp2
.LBB2_7243:                             ; =>This Inner Loop Header: Depth=1
	s_sethalt 5
	s_branch .LBB2_7243
.LBB2_7244:
	s_trap 2
	s_sendmsg_rtn_b32 s0, sendmsg(MSG_RTN_GET_DOORBELL)
	s_mov_b32 ttmp2, m0
	s_waitcnt lgkmcnt(0)
	s_and_b32 s0, s0, 0x3ff
	s_delay_alu instid0(SALU_CYCLE_1) | instskip(NEXT) | instid1(SALU_CYCLE_1)
	s_bitset1_b32 s0, 10
	s_mov_b32 m0, s0
	s_sendmsg sendmsg(MSG_INTERRUPT)
	s_mov_b32 m0, ttmp2
.LBB2_7245:                             ; =>This Inner Loop Header: Depth=1
	s_sethalt 5
	s_branch .LBB2_7245
.LBB2_7246:
	s_trap 2
	s_sendmsg_rtn_b32 s0, sendmsg(MSG_RTN_GET_DOORBELL)
	s_mov_b32 ttmp2, m0
	s_waitcnt lgkmcnt(0)
	s_and_b32 s0, s0, 0x3ff
	s_delay_alu instid0(SALU_CYCLE_1) | instskip(NEXT) | instid1(SALU_CYCLE_1)
	s_bitset1_b32 s0, 10
	s_mov_b32 m0, s0
	s_sendmsg sendmsg(MSG_INTERRUPT)
	s_mov_b32 m0, ttmp2
.LBB2_7247:                             ; =>This Inner Loop Header: Depth=1
	s_sethalt 5
	s_branch .LBB2_7247
.LBB2_7248:
	s_trap 2
	s_sendmsg_rtn_b32 s0, sendmsg(MSG_RTN_GET_DOORBELL)
	s_mov_b32 ttmp2, m0
	s_waitcnt lgkmcnt(0)
	s_and_b32 s0, s0, 0x3ff
	s_delay_alu instid0(SALU_CYCLE_1) | instskip(NEXT) | instid1(SALU_CYCLE_1)
	s_bitset1_b32 s0, 10
	s_mov_b32 m0, s0
	s_sendmsg sendmsg(MSG_INTERRUPT)
	s_mov_b32 m0, ttmp2
.LBB2_7249:                             ; =>This Inner Loop Header: Depth=1
	s_sethalt 5
	s_branch .LBB2_7249
.LBB2_7250:
	s_trap 2
	s_sendmsg_rtn_b32 s0, sendmsg(MSG_RTN_GET_DOORBELL)
	s_mov_b32 ttmp2, m0
	s_waitcnt lgkmcnt(0)
	s_and_b32 s0, s0, 0x3ff
	s_delay_alu instid0(SALU_CYCLE_1) | instskip(NEXT) | instid1(SALU_CYCLE_1)
	s_bitset1_b32 s0, 10
	s_mov_b32 m0, s0
	s_sendmsg sendmsg(MSG_INTERRUPT)
	s_mov_b32 m0, ttmp2
.LBB2_7251:                             ; =>This Inner Loop Header: Depth=1
	s_sethalt 5
	s_branch .LBB2_7251
.LBB2_7252:
	s_trap 2
	s_sendmsg_rtn_b32 s0, sendmsg(MSG_RTN_GET_DOORBELL)
	s_mov_b32 ttmp2, m0
	s_waitcnt lgkmcnt(0)
	s_and_b32 s0, s0, 0x3ff
	s_delay_alu instid0(SALU_CYCLE_1) | instskip(NEXT) | instid1(SALU_CYCLE_1)
	s_bitset1_b32 s0, 10
	s_mov_b32 m0, s0
	s_sendmsg sendmsg(MSG_INTERRUPT)
	s_mov_b32 m0, ttmp2
.LBB2_7253:                             ; =>This Inner Loop Header: Depth=1
	s_sethalt 5
	s_branch .LBB2_7253
.LBB2_7254:
	s_trap 2
	s_sendmsg_rtn_b32 s0, sendmsg(MSG_RTN_GET_DOORBELL)
	s_mov_b32 ttmp2, m0
	s_waitcnt lgkmcnt(0)
	s_and_b32 s0, s0, 0x3ff
	s_delay_alu instid0(SALU_CYCLE_1) | instskip(NEXT) | instid1(SALU_CYCLE_1)
	s_bitset1_b32 s0, 10
	s_mov_b32 m0, s0
	s_sendmsg sendmsg(MSG_INTERRUPT)
	s_mov_b32 m0, ttmp2
.LBB2_7255:                             ; =>This Inner Loop Header: Depth=1
	s_sethalt 5
	s_branch .LBB2_7255
.LBB2_7256:
	s_trap 2
	s_sendmsg_rtn_b32 s0, sendmsg(MSG_RTN_GET_DOORBELL)
	s_mov_b32 ttmp2, m0
	s_waitcnt lgkmcnt(0)
	s_and_b32 s0, s0, 0x3ff
	s_delay_alu instid0(SALU_CYCLE_1) | instskip(NEXT) | instid1(SALU_CYCLE_1)
	s_bitset1_b32 s0, 10
	s_mov_b32 m0, s0
	s_sendmsg sendmsg(MSG_INTERRUPT)
	s_mov_b32 m0, ttmp2
.LBB2_7257:                             ; =>This Inner Loop Header: Depth=1
	s_sethalt 5
	s_branch .LBB2_7257
.LBB2_7258:
	s_trap 2
	s_sendmsg_rtn_b32 s0, sendmsg(MSG_RTN_GET_DOORBELL)
	s_mov_b32 ttmp2, m0
	s_waitcnt lgkmcnt(0)
	s_and_b32 s0, s0, 0x3ff
	s_delay_alu instid0(SALU_CYCLE_1) | instskip(NEXT) | instid1(SALU_CYCLE_1)
	s_bitset1_b32 s0, 10
	s_mov_b32 m0, s0
	s_sendmsg sendmsg(MSG_INTERRUPT)
	s_mov_b32 m0, ttmp2
.LBB2_7259:                             ; =>This Inner Loop Header: Depth=1
	s_sethalt 5
	s_branch .LBB2_7259
.LBB2_7260:
	s_trap 2
	s_sendmsg_rtn_b32 s0, sendmsg(MSG_RTN_GET_DOORBELL)
	s_mov_b32 ttmp2, m0
	s_waitcnt lgkmcnt(0)
	s_and_b32 s0, s0, 0x3ff
	s_delay_alu instid0(SALU_CYCLE_1) | instskip(NEXT) | instid1(SALU_CYCLE_1)
	s_bitset1_b32 s0, 10
	s_mov_b32 m0, s0
	s_sendmsg sendmsg(MSG_INTERRUPT)
	s_mov_b32 m0, ttmp2
.LBB2_7261:                             ; =>This Inner Loop Header: Depth=1
	s_sethalt 5
	s_branch .LBB2_7261
.LBB2_7262:
	s_trap 2
	s_sendmsg_rtn_b32 s0, sendmsg(MSG_RTN_GET_DOORBELL)
	s_mov_b32 ttmp2, m0
	s_waitcnt lgkmcnt(0)
	s_and_b32 s0, s0, 0x3ff
	s_delay_alu instid0(SALU_CYCLE_1) | instskip(NEXT) | instid1(SALU_CYCLE_1)
	s_bitset1_b32 s0, 10
	s_mov_b32 m0, s0
	s_sendmsg sendmsg(MSG_INTERRUPT)
	s_mov_b32 m0, ttmp2
.LBB2_7263:                             ; =>This Inner Loop Header: Depth=1
	s_sethalt 5
	s_branch .LBB2_7263
.LBB2_7264:
	s_trap 2
	s_sendmsg_rtn_b32 s0, sendmsg(MSG_RTN_GET_DOORBELL)
	s_mov_b32 ttmp2, m0
	s_waitcnt lgkmcnt(0)
	s_and_b32 s0, s0, 0x3ff
	s_delay_alu instid0(SALU_CYCLE_1) | instskip(NEXT) | instid1(SALU_CYCLE_1)
	s_bitset1_b32 s0, 10
	s_mov_b32 m0, s0
	s_sendmsg sendmsg(MSG_INTERRUPT)
	s_mov_b32 m0, ttmp2
.LBB2_7265:                             ; =>This Inner Loop Header: Depth=1
	s_sethalt 5
	s_branch .LBB2_7265
.LBB2_7266:
	s_trap 2
	s_sendmsg_rtn_b32 s0, sendmsg(MSG_RTN_GET_DOORBELL)
	s_mov_b32 ttmp2, m0
	s_waitcnt lgkmcnt(0)
	s_and_b32 s0, s0, 0x3ff
	s_delay_alu instid0(SALU_CYCLE_1) | instskip(NEXT) | instid1(SALU_CYCLE_1)
	s_bitset1_b32 s0, 10
	s_mov_b32 m0, s0
	s_sendmsg sendmsg(MSG_INTERRUPT)
	s_mov_b32 m0, ttmp2
.LBB2_7267:                             ; =>This Inner Loop Header: Depth=1
	s_sethalt 5
	s_branch .LBB2_7267
.LBB2_7268:
	s_trap 2
	s_sendmsg_rtn_b32 s0, sendmsg(MSG_RTN_GET_DOORBELL)
	s_mov_b32 ttmp2, m0
	s_waitcnt lgkmcnt(0)
	s_and_b32 s0, s0, 0x3ff
	s_delay_alu instid0(SALU_CYCLE_1) | instskip(NEXT) | instid1(SALU_CYCLE_1)
	s_bitset1_b32 s0, 10
	s_mov_b32 m0, s0
	s_sendmsg sendmsg(MSG_INTERRUPT)
	s_mov_b32 m0, ttmp2
.LBB2_7269:                             ; =>This Inner Loop Header: Depth=1
	s_sethalt 5
	s_branch .LBB2_7269
.LBB2_7270:
	s_trap 2
	s_sendmsg_rtn_b32 s0, sendmsg(MSG_RTN_GET_DOORBELL)
	s_mov_b32 ttmp2, m0
	s_waitcnt lgkmcnt(0)
	s_and_b32 s0, s0, 0x3ff
	s_delay_alu instid0(SALU_CYCLE_1) | instskip(NEXT) | instid1(SALU_CYCLE_1)
	s_bitset1_b32 s0, 10
	s_mov_b32 m0, s0
	s_sendmsg sendmsg(MSG_INTERRUPT)
	s_mov_b32 m0, ttmp2
.LBB2_7271:                             ; =>This Inner Loop Header: Depth=1
	s_sethalt 5
	s_branch .LBB2_7271
.LBB2_7272:
	s_trap 2
	s_sendmsg_rtn_b32 s0, sendmsg(MSG_RTN_GET_DOORBELL)
	s_mov_b32 ttmp2, m0
	s_waitcnt lgkmcnt(0)
	s_and_b32 s0, s0, 0x3ff
	s_delay_alu instid0(SALU_CYCLE_1) | instskip(NEXT) | instid1(SALU_CYCLE_1)
	s_bitset1_b32 s0, 10
	s_mov_b32 m0, s0
	s_sendmsg sendmsg(MSG_INTERRUPT)
	s_mov_b32 m0, ttmp2
.LBB2_7273:                             ; =>This Inner Loop Header: Depth=1
	s_sethalt 5
	s_branch .LBB2_7273
.LBB2_7274:
	s_trap 2
	s_sendmsg_rtn_b32 s0, sendmsg(MSG_RTN_GET_DOORBELL)
	s_mov_b32 ttmp2, m0
	s_waitcnt lgkmcnt(0)
	s_and_b32 s0, s0, 0x3ff
	s_delay_alu instid0(SALU_CYCLE_1) | instskip(NEXT) | instid1(SALU_CYCLE_1)
	s_bitset1_b32 s0, 10
	s_mov_b32 m0, s0
	s_sendmsg sendmsg(MSG_INTERRUPT)
	s_mov_b32 m0, ttmp2
.LBB2_7275:                             ; =>This Inner Loop Header: Depth=1
	s_sethalt 5
	s_branch .LBB2_7275
.LBB2_7276:
	s_trap 2
	s_sendmsg_rtn_b32 s0, sendmsg(MSG_RTN_GET_DOORBELL)
	s_mov_b32 ttmp2, m0
	s_waitcnt lgkmcnt(0)
	s_and_b32 s0, s0, 0x3ff
	s_delay_alu instid0(SALU_CYCLE_1) | instskip(NEXT) | instid1(SALU_CYCLE_1)
	s_bitset1_b32 s0, 10
	s_mov_b32 m0, s0
	s_sendmsg sendmsg(MSG_INTERRUPT)
	s_mov_b32 m0, ttmp2
.LBB2_7277:                             ; =>This Inner Loop Header: Depth=1
	s_sethalt 5
	s_branch .LBB2_7277
.LBB2_7278:
	s_trap 2
	s_sendmsg_rtn_b32 s0, sendmsg(MSG_RTN_GET_DOORBELL)
	s_mov_b32 ttmp2, m0
	s_waitcnt lgkmcnt(0)
	s_and_b32 s0, s0, 0x3ff
	s_delay_alu instid0(SALU_CYCLE_1) | instskip(NEXT) | instid1(SALU_CYCLE_1)
	s_bitset1_b32 s0, 10
	s_mov_b32 m0, s0
	s_sendmsg sendmsg(MSG_INTERRUPT)
	s_mov_b32 m0, ttmp2
.LBB2_7279:                             ; =>This Inner Loop Header: Depth=1
	s_sethalt 5
	s_branch .LBB2_7279
.LBB2_7280:
	s_trap 2
	s_sendmsg_rtn_b32 s0, sendmsg(MSG_RTN_GET_DOORBELL)
	s_mov_b32 ttmp2, m0
	s_waitcnt lgkmcnt(0)
	s_and_b32 s0, s0, 0x3ff
	s_delay_alu instid0(SALU_CYCLE_1) | instskip(NEXT) | instid1(SALU_CYCLE_1)
	s_bitset1_b32 s0, 10
	s_mov_b32 m0, s0
	s_sendmsg sendmsg(MSG_INTERRUPT)
	s_mov_b32 m0, ttmp2
.LBB2_7281:                             ; =>This Inner Loop Header: Depth=1
	s_sethalt 5
	s_branch .LBB2_7281
.LBB2_7282:
	s_trap 2
	s_sendmsg_rtn_b32 s0, sendmsg(MSG_RTN_GET_DOORBELL)
	s_mov_b32 ttmp2, m0
	s_waitcnt lgkmcnt(0)
	s_and_b32 s0, s0, 0x3ff
	s_delay_alu instid0(SALU_CYCLE_1) | instskip(NEXT) | instid1(SALU_CYCLE_1)
	s_bitset1_b32 s0, 10
	s_mov_b32 m0, s0
	s_sendmsg sendmsg(MSG_INTERRUPT)
	s_mov_b32 m0, ttmp2
.LBB2_7283:                             ; =>This Inner Loop Header: Depth=1
	s_sethalt 5
	s_branch .LBB2_7283
.LBB2_7284:
	s_trap 2
	s_sendmsg_rtn_b32 s0, sendmsg(MSG_RTN_GET_DOORBELL)
	s_mov_b32 ttmp2, m0
	s_waitcnt lgkmcnt(0)
	s_and_b32 s0, s0, 0x3ff
	s_delay_alu instid0(SALU_CYCLE_1) | instskip(NEXT) | instid1(SALU_CYCLE_1)
	s_bitset1_b32 s0, 10
	s_mov_b32 m0, s0
	s_sendmsg sendmsg(MSG_INTERRUPT)
	s_mov_b32 m0, ttmp2
.LBB2_7285:                             ; =>This Inner Loop Header: Depth=1
	s_sethalt 5
	s_branch .LBB2_7285
.LBB2_7286:
	s_trap 2
	s_sendmsg_rtn_b32 s0, sendmsg(MSG_RTN_GET_DOORBELL)
	s_mov_b32 ttmp2, m0
	s_waitcnt lgkmcnt(0)
	s_and_b32 s0, s0, 0x3ff
	s_delay_alu instid0(SALU_CYCLE_1) | instskip(NEXT) | instid1(SALU_CYCLE_1)
	s_bitset1_b32 s0, 10
	s_mov_b32 m0, s0
	s_sendmsg sendmsg(MSG_INTERRUPT)
	s_mov_b32 m0, ttmp2
.LBB2_7287:                             ; =>This Inner Loop Header: Depth=1
	s_sethalt 5
	s_branch .LBB2_7287
.LBB2_7288:
	s_trap 2
	s_sendmsg_rtn_b32 s0, sendmsg(MSG_RTN_GET_DOORBELL)
	s_mov_b32 ttmp2, m0
	s_waitcnt lgkmcnt(0)
	s_and_b32 s0, s0, 0x3ff
	s_delay_alu instid0(SALU_CYCLE_1) | instskip(NEXT) | instid1(SALU_CYCLE_1)
	s_bitset1_b32 s0, 10
	s_mov_b32 m0, s0
	s_sendmsg sendmsg(MSG_INTERRUPT)
	s_mov_b32 m0, ttmp2
.LBB2_7289:                             ; =>This Inner Loop Header: Depth=1
	s_sethalt 5
	s_branch .LBB2_7289
.LBB2_7290:
	s_trap 2
	s_sendmsg_rtn_b32 s0, sendmsg(MSG_RTN_GET_DOORBELL)
	s_mov_b32 ttmp2, m0
	s_waitcnt lgkmcnt(0)
	s_and_b32 s0, s0, 0x3ff
	s_delay_alu instid0(SALU_CYCLE_1) | instskip(NEXT) | instid1(SALU_CYCLE_1)
	s_bitset1_b32 s0, 10
	s_mov_b32 m0, s0
	s_sendmsg sendmsg(MSG_INTERRUPT)
	s_mov_b32 m0, ttmp2
.LBB2_7291:                             ; =>This Inner Loop Header: Depth=1
	s_sethalt 5
	s_branch .LBB2_7291
.LBB2_7292:
	s_trap 2
	s_sendmsg_rtn_b32 s0, sendmsg(MSG_RTN_GET_DOORBELL)
	s_mov_b32 ttmp2, m0
	s_waitcnt lgkmcnt(0)
	s_and_b32 s0, s0, 0x3ff
	s_delay_alu instid0(SALU_CYCLE_1) | instskip(NEXT) | instid1(SALU_CYCLE_1)
	s_bitset1_b32 s0, 10
	s_mov_b32 m0, s0
	s_sendmsg sendmsg(MSG_INTERRUPT)
	s_mov_b32 m0, ttmp2
.LBB2_7293:                             ; =>This Inner Loop Header: Depth=1
	s_sethalt 5
	s_branch .LBB2_7293
.LBB2_7294:
	s_trap 2
	s_sendmsg_rtn_b32 s0, sendmsg(MSG_RTN_GET_DOORBELL)
	s_mov_b32 ttmp2, m0
	s_waitcnt lgkmcnt(0)
	s_and_b32 s0, s0, 0x3ff
	s_delay_alu instid0(SALU_CYCLE_1) | instskip(NEXT) | instid1(SALU_CYCLE_1)
	s_bitset1_b32 s0, 10
	s_mov_b32 m0, s0
	s_sendmsg sendmsg(MSG_INTERRUPT)
	s_mov_b32 m0, ttmp2
.LBB2_7295:                             ; =>This Inner Loop Header: Depth=1
	s_sethalt 5
	s_branch .LBB2_7295
.LBB2_7296:
	s_trap 2
	s_sendmsg_rtn_b32 s0, sendmsg(MSG_RTN_GET_DOORBELL)
	s_mov_b32 ttmp2, m0
	s_waitcnt lgkmcnt(0)
	s_and_b32 s0, s0, 0x3ff
	s_delay_alu instid0(SALU_CYCLE_1) | instskip(NEXT) | instid1(SALU_CYCLE_1)
	s_bitset1_b32 s0, 10
	s_mov_b32 m0, s0
	s_sendmsg sendmsg(MSG_INTERRUPT)
	s_mov_b32 m0, ttmp2
.LBB2_7297:                             ; =>This Inner Loop Header: Depth=1
	s_sethalt 5
	s_branch .LBB2_7297
.LBB2_7298:
	s_trap 2
	s_sendmsg_rtn_b32 s0, sendmsg(MSG_RTN_GET_DOORBELL)
	s_mov_b32 ttmp2, m0
	s_waitcnt lgkmcnt(0)
	s_and_b32 s0, s0, 0x3ff
	s_delay_alu instid0(SALU_CYCLE_1) | instskip(NEXT) | instid1(SALU_CYCLE_1)
	s_bitset1_b32 s0, 10
	s_mov_b32 m0, s0
	s_sendmsg sendmsg(MSG_INTERRUPT)
	s_mov_b32 m0, ttmp2
.LBB2_7299:                             ; =>This Inner Loop Header: Depth=1
	s_sethalt 5
	s_branch .LBB2_7299
.LBB2_7300:
	s_trap 2
	s_sendmsg_rtn_b32 s0, sendmsg(MSG_RTN_GET_DOORBELL)
	s_mov_b32 ttmp2, m0
	s_waitcnt lgkmcnt(0)
	s_and_b32 s0, s0, 0x3ff
	s_delay_alu instid0(SALU_CYCLE_1) | instskip(NEXT) | instid1(SALU_CYCLE_1)
	s_bitset1_b32 s0, 10
	s_mov_b32 m0, s0
	s_sendmsg sendmsg(MSG_INTERRUPT)
	s_mov_b32 m0, ttmp2
.LBB2_7301:                             ; =>This Inner Loop Header: Depth=1
	s_sethalt 5
	s_branch .LBB2_7301
.LBB2_7302:
	s_trap 2
	s_sendmsg_rtn_b32 s0, sendmsg(MSG_RTN_GET_DOORBELL)
	s_mov_b32 ttmp2, m0
	s_waitcnt lgkmcnt(0)
	s_and_b32 s0, s0, 0x3ff
	s_delay_alu instid0(SALU_CYCLE_1) | instskip(NEXT) | instid1(SALU_CYCLE_1)
	s_bitset1_b32 s0, 10
	s_mov_b32 m0, s0
	s_sendmsg sendmsg(MSG_INTERRUPT)
	s_mov_b32 m0, ttmp2
.LBB2_7303:                             ; =>This Inner Loop Header: Depth=1
	s_sethalt 5
	s_branch .LBB2_7303
.LBB2_7304:
	s_trap 2
	s_sendmsg_rtn_b32 s0, sendmsg(MSG_RTN_GET_DOORBELL)
	s_mov_b32 ttmp2, m0
	s_waitcnt lgkmcnt(0)
	s_and_b32 s0, s0, 0x3ff
	s_delay_alu instid0(SALU_CYCLE_1) | instskip(NEXT) | instid1(SALU_CYCLE_1)
	s_bitset1_b32 s0, 10
	s_mov_b32 m0, s0
	s_sendmsg sendmsg(MSG_INTERRUPT)
	s_mov_b32 m0, ttmp2
.LBB2_7305:                             ; =>This Inner Loop Header: Depth=1
	s_sethalt 5
	s_branch .LBB2_7305
.LBB2_7306:
	s_trap 2
	s_sendmsg_rtn_b32 s0, sendmsg(MSG_RTN_GET_DOORBELL)
	s_mov_b32 ttmp2, m0
	s_waitcnt lgkmcnt(0)
	s_and_b32 s0, s0, 0x3ff
	s_delay_alu instid0(SALU_CYCLE_1) | instskip(NEXT) | instid1(SALU_CYCLE_1)
	s_bitset1_b32 s0, 10
	s_mov_b32 m0, s0
	s_sendmsg sendmsg(MSG_INTERRUPT)
	s_mov_b32 m0, ttmp2
.LBB2_7307:                             ; =>This Inner Loop Header: Depth=1
	s_sethalt 5
	s_branch .LBB2_7307
.LBB2_7308:
	s_trap 2
	s_sendmsg_rtn_b32 s0, sendmsg(MSG_RTN_GET_DOORBELL)
	s_mov_b32 ttmp2, m0
	s_waitcnt lgkmcnt(0)
	s_and_b32 s0, s0, 0x3ff
	s_delay_alu instid0(SALU_CYCLE_1) | instskip(NEXT) | instid1(SALU_CYCLE_1)
	s_bitset1_b32 s0, 10
	s_mov_b32 m0, s0
	s_sendmsg sendmsg(MSG_INTERRUPT)
	s_mov_b32 m0, ttmp2
.LBB2_7309:                             ; =>This Inner Loop Header: Depth=1
	s_sethalt 5
	s_branch .LBB2_7309
.LBB2_7310:
	s_trap 2
	s_sendmsg_rtn_b32 s0, sendmsg(MSG_RTN_GET_DOORBELL)
	s_mov_b32 ttmp2, m0
	s_waitcnt lgkmcnt(0)
	s_and_b32 s0, s0, 0x3ff
	s_delay_alu instid0(SALU_CYCLE_1) | instskip(NEXT) | instid1(SALU_CYCLE_1)
	s_bitset1_b32 s0, 10
	s_mov_b32 m0, s0
	s_sendmsg sendmsg(MSG_INTERRUPT)
	s_mov_b32 m0, ttmp2
.LBB2_7311:                             ; =>This Inner Loop Header: Depth=1
	s_sethalt 5
	s_branch .LBB2_7311
.LBB2_7312:
	s_trap 2
	s_sendmsg_rtn_b32 s0, sendmsg(MSG_RTN_GET_DOORBELL)
	s_mov_b32 ttmp2, m0
	s_waitcnt lgkmcnt(0)
	s_and_b32 s0, s0, 0x3ff
	s_delay_alu instid0(SALU_CYCLE_1) | instskip(NEXT) | instid1(SALU_CYCLE_1)
	s_bitset1_b32 s0, 10
	s_mov_b32 m0, s0
	s_sendmsg sendmsg(MSG_INTERRUPT)
	s_mov_b32 m0, ttmp2
.LBB2_7313:                             ; =>This Inner Loop Header: Depth=1
	s_sethalt 5
	s_branch .LBB2_7313
.LBB2_7314:
	s_trap 2
	s_sendmsg_rtn_b32 s0, sendmsg(MSG_RTN_GET_DOORBELL)
	s_mov_b32 ttmp2, m0
	s_waitcnt lgkmcnt(0)
	s_and_b32 s0, s0, 0x3ff
	s_delay_alu instid0(SALU_CYCLE_1) | instskip(NEXT) | instid1(SALU_CYCLE_1)
	s_bitset1_b32 s0, 10
	s_mov_b32 m0, s0
	s_sendmsg sendmsg(MSG_INTERRUPT)
	s_mov_b32 m0, ttmp2
.LBB2_7315:                             ; =>This Inner Loop Header: Depth=1
	s_sethalt 5
	s_branch .LBB2_7315
.LBB2_7316:
	s_trap 2
	s_sendmsg_rtn_b32 s0, sendmsg(MSG_RTN_GET_DOORBELL)
	s_mov_b32 ttmp2, m0
	s_waitcnt lgkmcnt(0)
	s_and_b32 s0, s0, 0x3ff
	s_delay_alu instid0(SALU_CYCLE_1) | instskip(NEXT) | instid1(SALU_CYCLE_1)
	s_bitset1_b32 s0, 10
	s_mov_b32 m0, s0
	s_sendmsg sendmsg(MSG_INTERRUPT)
	s_mov_b32 m0, ttmp2
.LBB2_7317:                             ; =>This Inner Loop Header: Depth=1
	s_sethalt 5
	s_branch .LBB2_7317
.LBB2_7318:
	s_trap 2
	s_sendmsg_rtn_b32 s0, sendmsg(MSG_RTN_GET_DOORBELL)
	s_mov_b32 ttmp2, m0
	s_waitcnt lgkmcnt(0)
	s_and_b32 s0, s0, 0x3ff
	s_delay_alu instid0(SALU_CYCLE_1) | instskip(NEXT) | instid1(SALU_CYCLE_1)
	s_bitset1_b32 s0, 10
	s_mov_b32 m0, s0
	s_sendmsg sendmsg(MSG_INTERRUPT)
	s_mov_b32 m0, ttmp2
.LBB2_7319:                             ; =>This Inner Loop Header: Depth=1
	s_sethalt 5
	s_branch .LBB2_7319
.LBB2_7320:
	s_trap 2
	s_sendmsg_rtn_b32 s0, sendmsg(MSG_RTN_GET_DOORBELL)
	s_mov_b32 ttmp2, m0
	s_waitcnt lgkmcnt(0)
	s_and_b32 s0, s0, 0x3ff
	s_delay_alu instid0(SALU_CYCLE_1) | instskip(NEXT) | instid1(SALU_CYCLE_1)
	s_bitset1_b32 s0, 10
	s_mov_b32 m0, s0
	s_sendmsg sendmsg(MSG_INTERRUPT)
	s_mov_b32 m0, ttmp2
.LBB2_7321:                             ; =>This Inner Loop Header: Depth=1
	s_sethalt 5
	s_branch .LBB2_7321
.LBB2_7322:
	s_trap 2
	s_sendmsg_rtn_b32 s0, sendmsg(MSG_RTN_GET_DOORBELL)
	s_mov_b32 ttmp2, m0
	s_waitcnt lgkmcnt(0)
	s_and_b32 s0, s0, 0x3ff
	s_delay_alu instid0(SALU_CYCLE_1) | instskip(NEXT) | instid1(SALU_CYCLE_1)
	s_bitset1_b32 s0, 10
	s_mov_b32 m0, s0
	s_sendmsg sendmsg(MSG_INTERRUPT)
	s_mov_b32 m0, ttmp2
.LBB2_7323:                             ; =>This Inner Loop Header: Depth=1
	s_sethalt 5
	s_branch .LBB2_7323
.LBB2_7324:
	s_trap 2
	s_sendmsg_rtn_b32 s0, sendmsg(MSG_RTN_GET_DOORBELL)
	s_mov_b32 ttmp2, m0
	s_waitcnt lgkmcnt(0)
	s_and_b32 s0, s0, 0x3ff
	s_delay_alu instid0(SALU_CYCLE_1) | instskip(NEXT) | instid1(SALU_CYCLE_1)
	s_bitset1_b32 s0, 10
	s_mov_b32 m0, s0
	s_sendmsg sendmsg(MSG_INTERRUPT)
	s_mov_b32 m0, ttmp2
.LBB2_7325:                             ; =>This Inner Loop Header: Depth=1
	s_sethalt 5
	s_branch .LBB2_7325
.LBB2_7326:
	s_trap 2
	s_sendmsg_rtn_b32 s0, sendmsg(MSG_RTN_GET_DOORBELL)
	s_mov_b32 ttmp2, m0
	s_waitcnt lgkmcnt(0)
	s_and_b32 s0, s0, 0x3ff
	s_delay_alu instid0(SALU_CYCLE_1) | instskip(NEXT) | instid1(SALU_CYCLE_1)
	s_bitset1_b32 s0, 10
	s_mov_b32 m0, s0
	s_sendmsg sendmsg(MSG_INTERRUPT)
	s_mov_b32 m0, ttmp2
.LBB2_7327:                             ; =>This Inner Loop Header: Depth=1
	s_sethalt 5
	s_branch .LBB2_7327
.LBB2_7328:
	s_trap 2
	s_sendmsg_rtn_b32 s0, sendmsg(MSG_RTN_GET_DOORBELL)
	s_mov_b32 ttmp2, m0
	s_waitcnt lgkmcnt(0)
	s_and_b32 s0, s0, 0x3ff
	s_delay_alu instid0(SALU_CYCLE_1) | instskip(NEXT) | instid1(SALU_CYCLE_1)
	s_bitset1_b32 s0, 10
	s_mov_b32 m0, s0
	s_sendmsg sendmsg(MSG_INTERRUPT)
	s_mov_b32 m0, ttmp2
.LBB2_7329:                             ; =>This Inner Loop Header: Depth=1
	s_sethalt 5
	s_branch .LBB2_7329
.LBB2_7330:
	s_trap 2
	s_sendmsg_rtn_b32 s0, sendmsg(MSG_RTN_GET_DOORBELL)
	s_mov_b32 ttmp2, m0
	s_waitcnt lgkmcnt(0)
	s_and_b32 s0, s0, 0x3ff
	s_delay_alu instid0(SALU_CYCLE_1) | instskip(NEXT) | instid1(SALU_CYCLE_1)
	s_bitset1_b32 s0, 10
	s_mov_b32 m0, s0
	s_sendmsg sendmsg(MSG_INTERRUPT)
	s_mov_b32 m0, ttmp2
.LBB2_7331:                             ; =>This Inner Loop Header: Depth=1
	s_sethalt 5
	s_branch .LBB2_7331
.LBB2_7332:
	s_trap 2
	s_sendmsg_rtn_b32 s0, sendmsg(MSG_RTN_GET_DOORBELL)
	s_mov_b32 ttmp2, m0
	s_waitcnt lgkmcnt(0)
	s_and_b32 s0, s0, 0x3ff
	s_delay_alu instid0(SALU_CYCLE_1) | instskip(NEXT) | instid1(SALU_CYCLE_1)
	s_bitset1_b32 s0, 10
	s_mov_b32 m0, s0
	s_sendmsg sendmsg(MSG_INTERRUPT)
	s_mov_b32 m0, ttmp2
.LBB2_7333:                             ; =>This Inner Loop Header: Depth=1
	s_sethalt 5
	s_branch .LBB2_7333
.LBB2_7334:
	s_trap 2
	s_sendmsg_rtn_b32 s0, sendmsg(MSG_RTN_GET_DOORBELL)
	s_mov_b32 ttmp2, m0
	s_waitcnt lgkmcnt(0)
	s_and_b32 s0, s0, 0x3ff
	s_delay_alu instid0(SALU_CYCLE_1) | instskip(NEXT) | instid1(SALU_CYCLE_1)
	s_bitset1_b32 s0, 10
	s_mov_b32 m0, s0
	s_sendmsg sendmsg(MSG_INTERRUPT)
	s_mov_b32 m0, ttmp2
.LBB2_7335:                             ; =>This Inner Loop Header: Depth=1
	s_sethalt 5
	s_branch .LBB2_7335
.LBB2_7336:
	s_trap 2
	s_sendmsg_rtn_b32 s0, sendmsg(MSG_RTN_GET_DOORBELL)
	s_mov_b32 ttmp2, m0
	s_waitcnt lgkmcnt(0)
	s_and_b32 s0, s0, 0x3ff
	s_delay_alu instid0(SALU_CYCLE_1) | instskip(NEXT) | instid1(SALU_CYCLE_1)
	s_bitset1_b32 s0, 10
	s_mov_b32 m0, s0
	s_sendmsg sendmsg(MSG_INTERRUPT)
	s_mov_b32 m0, ttmp2
.LBB2_7337:                             ; =>This Inner Loop Header: Depth=1
	s_sethalt 5
	s_branch .LBB2_7337
.LBB2_7338:
	s_trap 2
	s_sendmsg_rtn_b32 s0, sendmsg(MSG_RTN_GET_DOORBELL)
	s_mov_b32 ttmp2, m0
	s_waitcnt lgkmcnt(0)
	s_and_b32 s0, s0, 0x3ff
	s_delay_alu instid0(SALU_CYCLE_1) | instskip(NEXT) | instid1(SALU_CYCLE_1)
	s_bitset1_b32 s0, 10
	s_mov_b32 m0, s0
	s_sendmsg sendmsg(MSG_INTERRUPT)
	s_mov_b32 m0, ttmp2
.LBB2_7339:                             ; =>This Inner Loop Header: Depth=1
	s_sethalt 5
	s_branch .LBB2_7339
.LBB2_7340:
	s_trap 2
	s_sendmsg_rtn_b32 s0, sendmsg(MSG_RTN_GET_DOORBELL)
	s_mov_b32 ttmp2, m0
	s_waitcnt lgkmcnt(0)
	s_and_b32 s0, s0, 0x3ff
	s_delay_alu instid0(SALU_CYCLE_1) | instskip(NEXT) | instid1(SALU_CYCLE_1)
	s_bitset1_b32 s0, 10
	s_mov_b32 m0, s0
	s_sendmsg sendmsg(MSG_INTERRUPT)
	s_mov_b32 m0, ttmp2
.LBB2_7341:                             ; =>This Inner Loop Header: Depth=1
	s_sethalt 5
	s_branch .LBB2_7341
.LBB2_7342:
	s_trap 2
	s_sendmsg_rtn_b32 s0, sendmsg(MSG_RTN_GET_DOORBELL)
	s_mov_b32 ttmp2, m0
	s_waitcnt lgkmcnt(0)
	s_and_b32 s0, s0, 0x3ff
	s_delay_alu instid0(SALU_CYCLE_1) | instskip(NEXT) | instid1(SALU_CYCLE_1)
	s_bitset1_b32 s0, 10
	s_mov_b32 m0, s0
	s_sendmsg sendmsg(MSG_INTERRUPT)
	s_mov_b32 m0, ttmp2
.LBB2_7343:                             ; =>This Inner Loop Header: Depth=1
	s_sethalt 5
	s_branch .LBB2_7343
.LBB2_7344:
	s_trap 2
	s_sendmsg_rtn_b32 s0, sendmsg(MSG_RTN_GET_DOORBELL)
	s_mov_b32 ttmp2, m0
	s_waitcnt lgkmcnt(0)
	s_and_b32 s0, s0, 0x3ff
	s_delay_alu instid0(SALU_CYCLE_1) | instskip(NEXT) | instid1(SALU_CYCLE_1)
	s_bitset1_b32 s0, 10
	s_mov_b32 m0, s0
	s_sendmsg sendmsg(MSG_INTERRUPT)
	s_mov_b32 m0, ttmp2
.LBB2_7345:                             ; =>This Inner Loop Header: Depth=1
	s_sethalt 5
	s_branch .LBB2_7345
.LBB2_7346:
	s_trap 2
	s_sendmsg_rtn_b32 s0, sendmsg(MSG_RTN_GET_DOORBELL)
	s_mov_b32 ttmp2, m0
	s_waitcnt lgkmcnt(0)
	s_and_b32 s0, s0, 0x3ff
	s_delay_alu instid0(SALU_CYCLE_1) | instskip(NEXT) | instid1(SALU_CYCLE_1)
	s_bitset1_b32 s0, 10
	s_mov_b32 m0, s0
	s_sendmsg sendmsg(MSG_INTERRUPT)
	s_mov_b32 m0, ttmp2
.LBB2_7347:                             ; =>This Inner Loop Header: Depth=1
	s_sethalt 5
	s_branch .LBB2_7347
.LBB2_7348:
	s_trap 2
	s_sendmsg_rtn_b32 s0, sendmsg(MSG_RTN_GET_DOORBELL)
	s_mov_b32 ttmp2, m0
	s_waitcnt lgkmcnt(0)
	s_and_b32 s0, s0, 0x3ff
	s_delay_alu instid0(SALU_CYCLE_1) | instskip(NEXT) | instid1(SALU_CYCLE_1)
	s_bitset1_b32 s0, 10
	s_mov_b32 m0, s0
	s_sendmsg sendmsg(MSG_INTERRUPT)
	s_mov_b32 m0, ttmp2
.LBB2_7349:                             ; =>This Inner Loop Header: Depth=1
	s_sethalt 5
	s_branch .LBB2_7349
.LBB2_7350:
	s_trap 2
	s_sendmsg_rtn_b32 s0, sendmsg(MSG_RTN_GET_DOORBELL)
	s_mov_b32 ttmp2, m0
	s_waitcnt lgkmcnt(0)
	s_and_b32 s0, s0, 0x3ff
	s_delay_alu instid0(SALU_CYCLE_1) | instskip(NEXT) | instid1(SALU_CYCLE_1)
	s_bitset1_b32 s0, 10
	s_mov_b32 m0, s0
	s_sendmsg sendmsg(MSG_INTERRUPT)
	s_mov_b32 m0, ttmp2
.LBB2_7351:                             ; =>This Inner Loop Header: Depth=1
	s_sethalt 5
	s_branch .LBB2_7351
.LBB2_7352:
	s_trap 2
	s_sendmsg_rtn_b32 s0, sendmsg(MSG_RTN_GET_DOORBELL)
	s_mov_b32 ttmp2, m0
	s_waitcnt lgkmcnt(0)
	s_and_b32 s0, s0, 0x3ff
	s_delay_alu instid0(SALU_CYCLE_1) | instskip(NEXT) | instid1(SALU_CYCLE_1)
	s_bitset1_b32 s0, 10
	s_mov_b32 m0, s0
	s_sendmsg sendmsg(MSG_INTERRUPT)
	s_mov_b32 m0, ttmp2
.LBB2_7353:                             ; =>This Inner Loop Header: Depth=1
	s_sethalt 5
	s_branch .LBB2_7353
.LBB2_7354:
	s_trap 2
	s_sendmsg_rtn_b32 s0, sendmsg(MSG_RTN_GET_DOORBELL)
	s_mov_b32 ttmp2, m0
	s_waitcnt lgkmcnt(0)
	s_and_b32 s0, s0, 0x3ff
	s_delay_alu instid0(SALU_CYCLE_1) | instskip(NEXT) | instid1(SALU_CYCLE_1)
	s_bitset1_b32 s0, 10
	s_mov_b32 m0, s0
	s_sendmsg sendmsg(MSG_INTERRUPT)
	s_mov_b32 m0, ttmp2
.LBB2_7355:                             ; =>This Inner Loop Header: Depth=1
	s_sethalt 5
	s_branch .LBB2_7355
.LBB2_7356:
	s_trap 2
	s_sendmsg_rtn_b32 s0, sendmsg(MSG_RTN_GET_DOORBELL)
	s_mov_b32 ttmp2, m0
	s_waitcnt lgkmcnt(0)
	s_and_b32 s0, s0, 0x3ff
	s_delay_alu instid0(SALU_CYCLE_1) | instskip(NEXT) | instid1(SALU_CYCLE_1)
	s_bitset1_b32 s0, 10
	s_mov_b32 m0, s0
	s_sendmsg sendmsg(MSG_INTERRUPT)
	s_mov_b32 m0, ttmp2
.LBB2_7357:                             ; =>This Inner Loop Header: Depth=1
	s_sethalt 5
	s_branch .LBB2_7357
.LBB2_7358:
	s_trap 2
	s_sendmsg_rtn_b32 s0, sendmsg(MSG_RTN_GET_DOORBELL)
	s_mov_b32 ttmp2, m0
	s_waitcnt lgkmcnt(0)
	s_and_b32 s0, s0, 0x3ff
	s_delay_alu instid0(SALU_CYCLE_1) | instskip(NEXT) | instid1(SALU_CYCLE_1)
	s_bitset1_b32 s0, 10
	s_mov_b32 m0, s0
	s_sendmsg sendmsg(MSG_INTERRUPT)
	s_mov_b32 m0, ttmp2
.LBB2_7359:                             ; =>This Inner Loop Header: Depth=1
	s_sethalt 5
	s_branch .LBB2_7359
.LBB2_7360:
	s_trap 2
	s_sendmsg_rtn_b32 s0, sendmsg(MSG_RTN_GET_DOORBELL)
	s_mov_b32 ttmp2, m0
	s_waitcnt lgkmcnt(0)
	s_and_b32 s0, s0, 0x3ff
	s_delay_alu instid0(SALU_CYCLE_1) | instskip(NEXT) | instid1(SALU_CYCLE_1)
	s_bitset1_b32 s0, 10
	s_mov_b32 m0, s0
	s_sendmsg sendmsg(MSG_INTERRUPT)
	s_mov_b32 m0, ttmp2
.LBB2_7361:                             ; =>This Inner Loop Header: Depth=1
	s_sethalt 5
	s_branch .LBB2_7361
.LBB2_7362:
	s_trap 2
	s_sendmsg_rtn_b32 s0, sendmsg(MSG_RTN_GET_DOORBELL)
	s_mov_b32 ttmp2, m0
	s_waitcnt lgkmcnt(0)
	s_and_b32 s0, s0, 0x3ff
	s_delay_alu instid0(SALU_CYCLE_1) | instskip(NEXT) | instid1(SALU_CYCLE_1)
	s_bitset1_b32 s0, 10
	s_mov_b32 m0, s0
	s_sendmsg sendmsg(MSG_INTERRUPT)
	s_mov_b32 m0, ttmp2
.LBB2_7363:                             ; =>This Inner Loop Header: Depth=1
	s_sethalt 5
	s_branch .LBB2_7363
.LBB2_7364:
	s_trap 2
	s_sendmsg_rtn_b32 s0, sendmsg(MSG_RTN_GET_DOORBELL)
	s_mov_b32 ttmp2, m0
	s_waitcnt lgkmcnt(0)
	s_and_b32 s0, s0, 0x3ff
	s_delay_alu instid0(SALU_CYCLE_1) | instskip(NEXT) | instid1(SALU_CYCLE_1)
	s_bitset1_b32 s0, 10
	s_mov_b32 m0, s0
	s_sendmsg sendmsg(MSG_INTERRUPT)
	s_mov_b32 m0, ttmp2
.LBB2_7365:                             ; =>This Inner Loop Header: Depth=1
	s_sethalt 5
	s_branch .LBB2_7365
.LBB2_7366:
	s_trap 2
	s_sendmsg_rtn_b32 s0, sendmsg(MSG_RTN_GET_DOORBELL)
	s_mov_b32 ttmp2, m0
	s_waitcnt lgkmcnt(0)
	s_and_b32 s0, s0, 0x3ff
	s_delay_alu instid0(SALU_CYCLE_1) | instskip(NEXT) | instid1(SALU_CYCLE_1)
	s_bitset1_b32 s0, 10
	s_mov_b32 m0, s0
	s_sendmsg sendmsg(MSG_INTERRUPT)
	s_mov_b32 m0, ttmp2
.LBB2_7367:                             ; =>This Inner Loop Header: Depth=1
	s_sethalt 5
	s_branch .LBB2_7367
.LBB2_7368:
	s_trap 2
	s_sendmsg_rtn_b32 s0, sendmsg(MSG_RTN_GET_DOORBELL)
	s_mov_b32 ttmp2, m0
	s_waitcnt lgkmcnt(0)
	s_and_b32 s0, s0, 0x3ff
	s_delay_alu instid0(SALU_CYCLE_1) | instskip(NEXT) | instid1(SALU_CYCLE_1)
	s_bitset1_b32 s0, 10
	s_mov_b32 m0, s0
	s_sendmsg sendmsg(MSG_INTERRUPT)
	s_mov_b32 m0, ttmp2
.LBB2_7369:                             ; =>This Inner Loop Header: Depth=1
	s_sethalt 5
	s_branch .LBB2_7369
.LBB2_7370:
	s_trap 2
	s_sendmsg_rtn_b32 s0, sendmsg(MSG_RTN_GET_DOORBELL)
	s_mov_b32 ttmp2, m0
	s_waitcnt lgkmcnt(0)
	s_and_b32 s0, s0, 0x3ff
	s_delay_alu instid0(SALU_CYCLE_1) | instskip(NEXT) | instid1(SALU_CYCLE_1)
	s_bitset1_b32 s0, 10
	s_mov_b32 m0, s0
	s_sendmsg sendmsg(MSG_INTERRUPT)
	s_mov_b32 m0, ttmp2
.LBB2_7371:                             ; =>This Inner Loop Header: Depth=1
	s_sethalt 5
	s_branch .LBB2_7371
.LBB2_7372:
	s_trap 2
	s_sendmsg_rtn_b32 s0, sendmsg(MSG_RTN_GET_DOORBELL)
	s_mov_b32 ttmp2, m0
	s_waitcnt lgkmcnt(0)
	s_and_b32 s0, s0, 0x3ff
	s_delay_alu instid0(SALU_CYCLE_1) | instskip(NEXT) | instid1(SALU_CYCLE_1)
	s_bitset1_b32 s0, 10
	s_mov_b32 m0, s0
	s_sendmsg sendmsg(MSG_INTERRUPT)
	s_mov_b32 m0, ttmp2
.LBB2_7373:                             ; =>This Inner Loop Header: Depth=1
	s_sethalt 5
	s_branch .LBB2_7373
.LBB2_7374:
	s_trap 2
	s_sendmsg_rtn_b32 s0, sendmsg(MSG_RTN_GET_DOORBELL)
	s_mov_b32 ttmp2, m0
	s_waitcnt lgkmcnt(0)
	s_and_b32 s0, s0, 0x3ff
	s_delay_alu instid0(SALU_CYCLE_1) | instskip(NEXT) | instid1(SALU_CYCLE_1)
	s_bitset1_b32 s0, 10
	s_mov_b32 m0, s0
	s_sendmsg sendmsg(MSG_INTERRUPT)
	s_mov_b32 m0, ttmp2
.LBB2_7375:                             ; =>This Inner Loop Header: Depth=1
	s_sethalt 5
	s_branch .LBB2_7375
.LBB2_7376:
	s_trap 2
	s_sendmsg_rtn_b32 s0, sendmsg(MSG_RTN_GET_DOORBELL)
	s_mov_b32 ttmp2, m0
	s_waitcnt lgkmcnt(0)
	s_and_b32 s0, s0, 0x3ff
	s_delay_alu instid0(SALU_CYCLE_1) | instskip(NEXT) | instid1(SALU_CYCLE_1)
	s_bitset1_b32 s0, 10
	s_mov_b32 m0, s0
	s_sendmsg sendmsg(MSG_INTERRUPT)
	s_mov_b32 m0, ttmp2
.LBB2_7377:                             ; =>This Inner Loop Header: Depth=1
	s_sethalt 5
	s_branch .LBB2_7377
.LBB2_7378:
	s_trap 2
	s_sendmsg_rtn_b32 s0, sendmsg(MSG_RTN_GET_DOORBELL)
	s_mov_b32 ttmp2, m0
	s_waitcnt lgkmcnt(0)
	s_and_b32 s0, s0, 0x3ff
	s_delay_alu instid0(SALU_CYCLE_1) | instskip(NEXT) | instid1(SALU_CYCLE_1)
	s_bitset1_b32 s0, 10
	s_mov_b32 m0, s0
	s_sendmsg sendmsg(MSG_INTERRUPT)
	s_mov_b32 m0, ttmp2
.LBB2_7379:                             ; =>This Inner Loop Header: Depth=1
	s_sethalt 5
	s_branch .LBB2_7379
.LBB2_7380:
	s_trap 2
	s_sendmsg_rtn_b32 s0, sendmsg(MSG_RTN_GET_DOORBELL)
	s_mov_b32 ttmp2, m0
	s_waitcnt lgkmcnt(0)
	s_and_b32 s0, s0, 0x3ff
	s_delay_alu instid0(SALU_CYCLE_1) | instskip(NEXT) | instid1(SALU_CYCLE_1)
	s_bitset1_b32 s0, 10
	s_mov_b32 m0, s0
	s_sendmsg sendmsg(MSG_INTERRUPT)
	s_mov_b32 m0, ttmp2
.LBB2_7381:                             ; =>This Inner Loop Header: Depth=1
	s_sethalt 5
	s_branch .LBB2_7381
.LBB2_7382:
	s_trap 2
	s_sendmsg_rtn_b32 s0, sendmsg(MSG_RTN_GET_DOORBELL)
	s_mov_b32 ttmp2, m0
	s_waitcnt lgkmcnt(0)
	s_and_b32 s0, s0, 0x3ff
	s_delay_alu instid0(SALU_CYCLE_1) | instskip(NEXT) | instid1(SALU_CYCLE_1)
	s_bitset1_b32 s0, 10
	s_mov_b32 m0, s0
	s_sendmsg sendmsg(MSG_INTERRUPT)
	s_mov_b32 m0, ttmp2
.LBB2_7383:                             ; =>This Inner Loop Header: Depth=1
	s_sethalt 5
	s_branch .LBB2_7383
.LBB2_7384:
	s_trap 2
	s_sendmsg_rtn_b32 s0, sendmsg(MSG_RTN_GET_DOORBELL)
	s_mov_b32 ttmp2, m0
	s_waitcnt lgkmcnt(0)
	s_and_b32 s0, s0, 0x3ff
	s_delay_alu instid0(SALU_CYCLE_1) | instskip(NEXT) | instid1(SALU_CYCLE_1)
	s_bitset1_b32 s0, 10
	s_mov_b32 m0, s0
	s_sendmsg sendmsg(MSG_INTERRUPT)
	s_mov_b32 m0, ttmp2
.LBB2_7385:                             ; =>This Inner Loop Header: Depth=1
	s_sethalt 5
	s_branch .LBB2_7385
.LBB2_7386:
	s_trap 2
	s_sendmsg_rtn_b32 s0, sendmsg(MSG_RTN_GET_DOORBELL)
	s_mov_b32 ttmp2, m0
	s_waitcnt lgkmcnt(0)
	s_and_b32 s0, s0, 0x3ff
	s_delay_alu instid0(SALU_CYCLE_1) | instskip(NEXT) | instid1(SALU_CYCLE_1)
	s_bitset1_b32 s0, 10
	s_mov_b32 m0, s0
	s_sendmsg sendmsg(MSG_INTERRUPT)
	s_mov_b32 m0, ttmp2
.LBB2_7387:                             ; =>This Inner Loop Header: Depth=1
	s_sethalt 5
	s_branch .LBB2_7387
.LBB2_7388:
	s_trap 2
	s_sendmsg_rtn_b32 s0, sendmsg(MSG_RTN_GET_DOORBELL)
	s_mov_b32 ttmp2, m0
	s_waitcnt lgkmcnt(0)
	s_and_b32 s0, s0, 0x3ff
	s_delay_alu instid0(SALU_CYCLE_1) | instskip(NEXT) | instid1(SALU_CYCLE_1)
	s_bitset1_b32 s0, 10
	s_mov_b32 m0, s0
	s_sendmsg sendmsg(MSG_INTERRUPT)
	s_mov_b32 m0, ttmp2
.LBB2_7389:                             ; =>This Inner Loop Header: Depth=1
	s_sethalt 5
	s_branch .LBB2_7389
.LBB2_7390:
	s_trap 2
	s_sendmsg_rtn_b32 s0, sendmsg(MSG_RTN_GET_DOORBELL)
	s_mov_b32 ttmp2, m0
	s_waitcnt lgkmcnt(0)
	s_and_b32 s0, s0, 0x3ff
	s_delay_alu instid0(SALU_CYCLE_1) | instskip(NEXT) | instid1(SALU_CYCLE_1)
	s_bitset1_b32 s0, 10
	s_mov_b32 m0, s0
	s_sendmsg sendmsg(MSG_INTERRUPT)
	s_mov_b32 m0, ttmp2
.LBB2_7391:                             ; =>This Inner Loop Header: Depth=1
	s_sethalt 5
	s_branch .LBB2_7391
.LBB2_7392:
	s_trap 2
	s_sendmsg_rtn_b32 s0, sendmsg(MSG_RTN_GET_DOORBELL)
	s_mov_b32 ttmp2, m0
	s_waitcnt lgkmcnt(0)
	s_and_b32 s0, s0, 0x3ff
	s_delay_alu instid0(SALU_CYCLE_1) | instskip(NEXT) | instid1(SALU_CYCLE_1)
	s_bitset1_b32 s0, 10
	s_mov_b32 m0, s0
	s_sendmsg sendmsg(MSG_INTERRUPT)
	s_mov_b32 m0, ttmp2
.LBB2_7393:                             ; =>This Inner Loop Header: Depth=1
	s_sethalt 5
	s_branch .LBB2_7393
.LBB2_7394:
	s_trap 2
	s_sendmsg_rtn_b32 s0, sendmsg(MSG_RTN_GET_DOORBELL)
	s_mov_b32 ttmp2, m0
	s_waitcnt lgkmcnt(0)
	s_and_b32 s0, s0, 0x3ff
	s_delay_alu instid0(SALU_CYCLE_1) | instskip(NEXT) | instid1(SALU_CYCLE_1)
	s_bitset1_b32 s0, 10
	s_mov_b32 m0, s0
	s_sendmsg sendmsg(MSG_INTERRUPT)
	s_mov_b32 m0, ttmp2
.LBB2_7395:                             ; =>This Inner Loop Header: Depth=1
	s_sethalt 5
	s_branch .LBB2_7395
.LBB2_7396:
	s_trap 2
	s_sendmsg_rtn_b32 s0, sendmsg(MSG_RTN_GET_DOORBELL)
	s_mov_b32 ttmp2, m0
	s_waitcnt lgkmcnt(0)
	s_and_b32 s0, s0, 0x3ff
	s_delay_alu instid0(SALU_CYCLE_1) | instskip(NEXT) | instid1(SALU_CYCLE_1)
	s_bitset1_b32 s0, 10
	s_mov_b32 m0, s0
	s_sendmsg sendmsg(MSG_INTERRUPT)
	s_mov_b32 m0, ttmp2
.LBB2_7397:                             ; =>This Inner Loop Header: Depth=1
	s_sethalt 5
	s_branch .LBB2_7397
.LBB2_7398:
	s_trap 2
	s_sendmsg_rtn_b32 s0, sendmsg(MSG_RTN_GET_DOORBELL)
	s_mov_b32 ttmp2, m0
	s_waitcnt lgkmcnt(0)
	s_and_b32 s0, s0, 0x3ff
	s_delay_alu instid0(SALU_CYCLE_1) | instskip(NEXT) | instid1(SALU_CYCLE_1)
	s_bitset1_b32 s0, 10
	s_mov_b32 m0, s0
	s_sendmsg sendmsg(MSG_INTERRUPT)
	s_mov_b32 m0, ttmp2
.LBB2_7399:                             ; =>This Inner Loop Header: Depth=1
	s_sethalt 5
	s_branch .LBB2_7399
.LBB2_7400:
	s_trap 2
	s_sendmsg_rtn_b32 s0, sendmsg(MSG_RTN_GET_DOORBELL)
	s_mov_b32 ttmp2, m0
	s_waitcnt lgkmcnt(0)
	s_and_b32 s0, s0, 0x3ff
	s_delay_alu instid0(SALU_CYCLE_1) | instskip(NEXT) | instid1(SALU_CYCLE_1)
	s_bitset1_b32 s0, 10
	s_mov_b32 m0, s0
	s_sendmsg sendmsg(MSG_INTERRUPT)
	s_mov_b32 m0, ttmp2
.LBB2_7401:                             ; =>This Inner Loop Header: Depth=1
	s_sethalt 5
	s_branch .LBB2_7401
.LBB2_7402:
	s_trap 2
	s_sendmsg_rtn_b32 s0, sendmsg(MSG_RTN_GET_DOORBELL)
	s_mov_b32 ttmp2, m0
	s_waitcnt lgkmcnt(0)
	s_and_b32 s0, s0, 0x3ff
	s_delay_alu instid0(SALU_CYCLE_1) | instskip(NEXT) | instid1(SALU_CYCLE_1)
	s_bitset1_b32 s0, 10
	s_mov_b32 m0, s0
	s_sendmsg sendmsg(MSG_INTERRUPT)
	s_mov_b32 m0, ttmp2
.LBB2_7403:                             ; =>This Inner Loop Header: Depth=1
	s_sethalt 5
	s_branch .LBB2_7403
.LBB2_7404:
	s_trap 2
	s_sendmsg_rtn_b32 s0, sendmsg(MSG_RTN_GET_DOORBELL)
	s_mov_b32 ttmp2, m0
	s_waitcnt lgkmcnt(0)
	s_and_b32 s0, s0, 0x3ff
	s_delay_alu instid0(SALU_CYCLE_1) | instskip(NEXT) | instid1(SALU_CYCLE_1)
	s_bitset1_b32 s0, 10
	s_mov_b32 m0, s0
	s_sendmsg sendmsg(MSG_INTERRUPT)
	s_mov_b32 m0, ttmp2
.LBB2_7405:                             ; =>This Inner Loop Header: Depth=1
	s_sethalt 5
	s_branch .LBB2_7405
.LBB2_7406:
	s_trap 2
	s_sendmsg_rtn_b32 s0, sendmsg(MSG_RTN_GET_DOORBELL)
	s_mov_b32 ttmp2, m0
	s_waitcnt lgkmcnt(0)
	s_and_b32 s0, s0, 0x3ff
	s_delay_alu instid0(SALU_CYCLE_1) | instskip(NEXT) | instid1(SALU_CYCLE_1)
	s_bitset1_b32 s0, 10
	s_mov_b32 m0, s0
	s_sendmsg sendmsg(MSG_INTERRUPT)
	s_mov_b32 m0, ttmp2
.LBB2_7407:                             ; =>This Inner Loop Header: Depth=1
	s_sethalt 5
	s_branch .LBB2_7407
.LBB2_7408:
	s_trap 2
	s_sendmsg_rtn_b32 s0, sendmsg(MSG_RTN_GET_DOORBELL)
	s_mov_b32 ttmp2, m0
	s_waitcnt lgkmcnt(0)
	s_and_b32 s0, s0, 0x3ff
	s_delay_alu instid0(SALU_CYCLE_1) | instskip(NEXT) | instid1(SALU_CYCLE_1)
	s_bitset1_b32 s0, 10
	s_mov_b32 m0, s0
	s_sendmsg sendmsg(MSG_INTERRUPT)
	s_mov_b32 m0, ttmp2
.LBB2_7409:                             ; =>This Inner Loop Header: Depth=1
	s_sethalt 5
	s_branch .LBB2_7409
.LBB2_7410:
	s_trap 2
	s_sendmsg_rtn_b32 s0, sendmsg(MSG_RTN_GET_DOORBELL)
	s_mov_b32 ttmp2, m0
	s_waitcnt lgkmcnt(0)
	s_and_b32 s0, s0, 0x3ff
	s_delay_alu instid0(SALU_CYCLE_1) | instskip(NEXT) | instid1(SALU_CYCLE_1)
	s_bitset1_b32 s0, 10
	s_mov_b32 m0, s0
	s_sendmsg sendmsg(MSG_INTERRUPT)
	s_mov_b32 m0, ttmp2
.LBB2_7411:                             ; =>This Inner Loop Header: Depth=1
	s_sethalt 5
	s_branch .LBB2_7411
.LBB2_7412:
	s_trap 2
	s_sendmsg_rtn_b32 s0, sendmsg(MSG_RTN_GET_DOORBELL)
	s_mov_b32 ttmp2, m0
	s_waitcnt lgkmcnt(0)
	s_and_b32 s0, s0, 0x3ff
	s_delay_alu instid0(SALU_CYCLE_1) | instskip(NEXT) | instid1(SALU_CYCLE_1)
	s_bitset1_b32 s0, 10
	s_mov_b32 m0, s0
	s_sendmsg sendmsg(MSG_INTERRUPT)
	s_mov_b32 m0, ttmp2
.LBB2_7413:                             ; =>This Inner Loop Header: Depth=1
	s_sethalt 5
	s_branch .LBB2_7413
.LBB2_7414:
	s_trap 2
	s_sendmsg_rtn_b32 s0, sendmsg(MSG_RTN_GET_DOORBELL)
	s_mov_b32 ttmp2, m0
	s_waitcnt lgkmcnt(0)
	s_and_b32 s0, s0, 0x3ff
	s_delay_alu instid0(SALU_CYCLE_1) | instskip(NEXT) | instid1(SALU_CYCLE_1)
	s_bitset1_b32 s0, 10
	s_mov_b32 m0, s0
	s_sendmsg sendmsg(MSG_INTERRUPT)
	s_mov_b32 m0, ttmp2
.LBB2_7415:                             ; =>This Inner Loop Header: Depth=1
	s_sethalt 5
	s_branch .LBB2_7415
.LBB2_7416:
	s_trap 2
	s_sendmsg_rtn_b32 s0, sendmsg(MSG_RTN_GET_DOORBELL)
	s_mov_b32 ttmp2, m0
	s_waitcnt lgkmcnt(0)
	s_and_b32 s0, s0, 0x3ff
	s_delay_alu instid0(SALU_CYCLE_1) | instskip(NEXT) | instid1(SALU_CYCLE_1)
	s_bitset1_b32 s0, 10
	s_mov_b32 m0, s0
	s_sendmsg sendmsg(MSG_INTERRUPT)
	s_mov_b32 m0, ttmp2
.LBB2_7417:                             ; =>This Inner Loop Header: Depth=1
	s_sethalt 5
	s_branch .LBB2_7417
.LBB2_7418:
	s_trap 2
	s_sendmsg_rtn_b32 s0, sendmsg(MSG_RTN_GET_DOORBELL)
	s_mov_b32 ttmp2, m0
	s_waitcnt lgkmcnt(0)
	s_and_b32 s0, s0, 0x3ff
	s_delay_alu instid0(SALU_CYCLE_1) | instskip(NEXT) | instid1(SALU_CYCLE_1)
	s_bitset1_b32 s0, 10
	s_mov_b32 m0, s0
	s_sendmsg sendmsg(MSG_INTERRUPT)
	s_mov_b32 m0, ttmp2
.LBB2_7419:                             ; =>This Inner Loop Header: Depth=1
	s_sethalt 5
	s_branch .LBB2_7419
.LBB2_7420:
	s_trap 2
	s_sendmsg_rtn_b32 s0, sendmsg(MSG_RTN_GET_DOORBELL)
	s_mov_b32 ttmp2, m0
	s_waitcnt lgkmcnt(0)
	s_and_b32 s0, s0, 0x3ff
	s_delay_alu instid0(SALU_CYCLE_1) | instskip(NEXT) | instid1(SALU_CYCLE_1)
	s_bitset1_b32 s0, 10
	s_mov_b32 m0, s0
	s_sendmsg sendmsg(MSG_INTERRUPT)
	s_mov_b32 m0, ttmp2
.LBB2_7421:                             ; =>This Inner Loop Header: Depth=1
	s_sethalt 5
	s_branch .LBB2_7421
.LBB2_7422:
	s_trap 2
	s_sendmsg_rtn_b32 s0, sendmsg(MSG_RTN_GET_DOORBELL)
	s_mov_b32 ttmp2, m0
	s_waitcnt lgkmcnt(0)
	s_and_b32 s0, s0, 0x3ff
	s_delay_alu instid0(SALU_CYCLE_1) | instskip(NEXT) | instid1(SALU_CYCLE_1)
	s_bitset1_b32 s0, 10
	s_mov_b32 m0, s0
	s_sendmsg sendmsg(MSG_INTERRUPT)
	s_mov_b32 m0, ttmp2
.LBB2_7423:                             ; =>This Inner Loop Header: Depth=1
	s_sethalt 5
	s_branch .LBB2_7423
.LBB2_7424:
	s_trap 2
	s_sendmsg_rtn_b32 s0, sendmsg(MSG_RTN_GET_DOORBELL)
	s_mov_b32 ttmp2, m0
	s_waitcnt lgkmcnt(0)
	s_and_b32 s0, s0, 0x3ff
	s_delay_alu instid0(SALU_CYCLE_1) | instskip(NEXT) | instid1(SALU_CYCLE_1)
	s_bitset1_b32 s0, 10
	s_mov_b32 m0, s0
	s_sendmsg sendmsg(MSG_INTERRUPT)
	s_mov_b32 m0, ttmp2
.LBB2_7425:                             ; =>This Inner Loop Header: Depth=1
	s_sethalt 5
	s_branch .LBB2_7425
.LBB2_7426:
	s_trap 2
	s_sendmsg_rtn_b32 s0, sendmsg(MSG_RTN_GET_DOORBELL)
	s_mov_b32 ttmp2, m0
	s_waitcnt lgkmcnt(0)
	s_and_b32 s0, s0, 0x3ff
	s_delay_alu instid0(SALU_CYCLE_1) | instskip(NEXT) | instid1(SALU_CYCLE_1)
	s_bitset1_b32 s0, 10
	s_mov_b32 m0, s0
	s_sendmsg sendmsg(MSG_INTERRUPT)
	s_mov_b32 m0, ttmp2
.LBB2_7427:                             ; =>This Inner Loop Header: Depth=1
	s_sethalt 5
	s_branch .LBB2_7427
.LBB2_7428:
	s_trap 2
	s_sendmsg_rtn_b32 s0, sendmsg(MSG_RTN_GET_DOORBELL)
	s_mov_b32 ttmp2, m0
	s_waitcnt lgkmcnt(0)
	s_and_b32 s0, s0, 0x3ff
	s_delay_alu instid0(SALU_CYCLE_1) | instskip(NEXT) | instid1(SALU_CYCLE_1)
	s_bitset1_b32 s0, 10
	s_mov_b32 m0, s0
	s_sendmsg sendmsg(MSG_INTERRUPT)
	s_mov_b32 m0, ttmp2
.LBB2_7429:                             ; =>This Inner Loop Header: Depth=1
	s_sethalt 5
	s_branch .LBB2_7429
.LBB2_7430:
	s_trap 2
	s_sendmsg_rtn_b32 s0, sendmsg(MSG_RTN_GET_DOORBELL)
	s_mov_b32 ttmp2, m0
	s_waitcnt lgkmcnt(0)
	s_and_b32 s0, s0, 0x3ff
	s_delay_alu instid0(SALU_CYCLE_1) | instskip(NEXT) | instid1(SALU_CYCLE_1)
	s_bitset1_b32 s0, 10
	s_mov_b32 m0, s0
	s_sendmsg sendmsg(MSG_INTERRUPT)
	s_mov_b32 m0, ttmp2
.LBB2_7431:                             ; =>This Inner Loop Header: Depth=1
	s_sethalt 5
	s_branch .LBB2_7431
.LBB2_7432:
	s_trap 2
	s_sendmsg_rtn_b32 s0, sendmsg(MSG_RTN_GET_DOORBELL)
	s_mov_b32 ttmp2, m0
	s_waitcnt lgkmcnt(0)
	s_and_b32 s0, s0, 0x3ff
	s_delay_alu instid0(SALU_CYCLE_1) | instskip(NEXT) | instid1(SALU_CYCLE_1)
	s_bitset1_b32 s0, 10
	s_mov_b32 m0, s0
	s_sendmsg sendmsg(MSG_INTERRUPT)
	s_mov_b32 m0, ttmp2
.LBB2_7433:                             ; =>This Inner Loop Header: Depth=1
	s_sethalt 5
	s_branch .LBB2_7433
.LBB2_7434:
	s_trap 2
	s_sendmsg_rtn_b32 s0, sendmsg(MSG_RTN_GET_DOORBELL)
	s_mov_b32 ttmp2, m0
	s_waitcnt lgkmcnt(0)
	s_and_b32 s0, s0, 0x3ff
	s_delay_alu instid0(SALU_CYCLE_1) | instskip(NEXT) | instid1(SALU_CYCLE_1)
	s_bitset1_b32 s0, 10
	s_mov_b32 m0, s0
	s_sendmsg sendmsg(MSG_INTERRUPT)
	s_mov_b32 m0, ttmp2
.LBB2_7435:                             ; =>This Inner Loop Header: Depth=1
	s_sethalt 5
	s_branch .LBB2_7435
.LBB2_7436:
	s_trap 2
	s_sendmsg_rtn_b32 s0, sendmsg(MSG_RTN_GET_DOORBELL)
	s_mov_b32 ttmp2, m0
	s_waitcnt lgkmcnt(0)
	s_and_b32 s0, s0, 0x3ff
	s_delay_alu instid0(SALU_CYCLE_1) | instskip(NEXT) | instid1(SALU_CYCLE_1)
	s_bitset1_b32 s0, 10
	s_mov_b32 m0, s0
	s_sendmsg sendmsg(MSG_INTERRUPT)
	s_mov_b32 m0, ttmp2
.LBB2_7437:                             ; =>This Inner Loop Header: Depth=1
	s_sethalt 5
	s_branch .LBB2_7437
.LBB2_7438:
	s_trap 2
	s_sendmsg_rtn_b32 s0, sendmsg(MSG_RTN_GET_DOORBELL)
	s_mov_b32 ttmp2, m0
	s_waitcnt lgkmcnt(0)
	s_and_b32 s0, s0, 0x3ff
	s_delay_alu instid0(SALU_CYCLE_1) | instskip(NEXT) | instid1(SALU_CYCLE_1)
	s_bitset1_b32 s0, 10
	s_mov_b32 m0, s0
	s_sendmsg sendmsg(MSG_INTERRUPT)
	s_mov_b32 m0, ttmp2
.LBB2_7439:                             ; =>This Inner Loop Header: Depth=1
	s_sethalt 5
	s_branch .LBB2_7439
.LBB2_7440:
	s_trap 2
	s_sendmsg_rtn_b32 s0, sendmsg(MSG_RTN_GET_DOORBELL)
	s_mov_b32 ttmp2, m0
	s_waitcnt lgkmcnt(0)
	s_and_b32 s0, s0, 0x3ff
	s_delay_alu instid0(SALU_CYCLE_1) | instskip(NEXT) | instid1(SALU_CYCLE_1)
	s_bitset1_b32 s0, 10
	s_mov_b32 m0, s0
	s_sendmsg sendmsg(MSG_INTERRUPT)
	s_mov_b32 m0, ttmp2
.LBB2_7441:                             ; =>This Inner Loop Header: Depth=1
	s_sethalt 5
	s_branch .LBB2_7441
.LBB2_7442:
	s_trap 2
	s_sendmsg_rtn_b32 s0, sendmsg(MSG_RTN_GET_DOORBELL)
	s_mov_b32 ttmp2, m0
	s_waitcnt lgkmcnt(0)
	s_and_b32 s0, s0, 0x3ff
	s_delay_alu instid0(SALU_CYCLE_1) | instskip(NEXT) | instid1(SALU_CYCLE_1)
	s_bitset1_b32 s0, 10
	s_mov_b32 m0, s0
	s_sendmsg sendmsg(MSG_INTERRUPT)
	s_mov_b32 m0, ttmp2
.LBB2_7443:                             ; =>This Inner Loop Header: Depth=1
	s_sethalt 5
	s_branch .LBB2_7443
.LBB2_7444:
	s_trap 2
	s_sendmsg_rtn_b32 s0, sendmsg(MSG_RTN_GET_DOORBELL)
	s_mov_b32 ttmp2, m0
	s_waitcnt lgkmcnt(0)
	s_and_b32 s0, s0, 0x3ff
	s_delay_alu instid0(SALU_CYCLE_1) | instskip(NEXT) | instid1(SALU_CYCLE_1)
	s_bitset1_b32 s0, 10
	s_mov_b32 m0, s0
	s_sendmsg sendmsg(MSG_INTERRUPT)
	s_mov_b32 m0, ttmp2
.LBB2_7445:                             ; =>This Inner Loop Header: Depth=1
	s_sethalt 5
	s_branch .LBB2_7445
.LBB2_7446:
	s_trap 2
	s_sendmsg_rtn_b32 s0, sendmsg(MSG_RTN_GET_DOORBELL)
	s_mov_b32 ttmp2, m0
	s_waitcnt lgkmcnt(0)
	s_and_b32 s0, s0, 0x3ff
	s_delay_alu instid0(SALU_CYCLE_1) | instskip(NEXT) | instid1(SALU_CYCLE_1)
	s_bitset1_b32 s0, 10
	s_mov_b32 m0, s0
	s_sendmsg sendmsg(MSG_INTERRUPT)
	s_mov_b32 m0, ttmp2
.LBB2_7447:                             ; =>This Inner Loop Header: Depth=1
	s_sethalt 5
	s_branch .LBB2_7447
.LBB2_7448:
	s_trap 2
	s_sendmsg_rtn_b32 s0, sendmsg(MSG_RTN_GET_DOORBELL)
	s_mov_b32 ttmp2, m0
	s_waitcnt lgkmcnt(0)
	s_and_b32 s0, s0, 0x3ff
	s_delay_alu instid0(SALU_CYCLE_1) | instskip(NEXT) | instid1(SALU_CYCLE_1)
	s_bitset1_b32 s0, 10
	s_mov_b32 m0, s0
	s_sendmsg sendmsg(MSG_INTERRUPT)
	s_mov_b32 m0, ttmp2
.LBB2_7449:                             ; =>This Inner Loop Header: Depth=1
	s_sethalt 5
	s_branch .LBB2_7449
.LBB2_7450:
	s_trap 2
	s_sendmsg_rtn_b32 s0, sendmsg(MSG_RTN_GET_DOORBELL)
	s_mov_b32 ttmp2, m0
	s_waitcnt lgkmcnt(0)
	s_and_b32 s0, s0, 0x3ff
	s_delay_alu instid0(SALU_CYCLE_1) | instskip(NEXT) | instid1(SALU_CYCLE_1)
	s_bitset1_b32 s0, 10
	s_mov_b32 m0, s0
	s_sendmsg sendmsg(MSG_INTERRUPT)
	s_mov_b32 m0, ttmp2
.LBB2_7451:                             ; =>This Inner Loop Header: Depth=1
	s_sethalt 5
	s_branch .LBB2_7451
.LBB2_7452:
	s_trap 2
	s_sendmsg_rtn_b32 s0, sendmsg(MSG_RTN_GET_DOORBELL)
	s_mov_b32 ttmp2, m0
	s_waitcnt lgkmcnt(0)
	s_and_b32 s0, s0, 0x3ff
	s_delay_alu instid0(SALU_CYCLE_1) | instskip(NEXT) | instid1(SALU_CYCLE_1)
	s_bitset1_b32 s0, 10
	s_mov_b32 m0, s0
	s_sendmsg sendmsg(MSG_INTERRUPT)
	s_mov_b32 m0, ttmp2
.LBB2_7453:                             ; =>This Inner Loop Header: Depth=1
	s_sethalt 5
	s_branch .LBB2_7453
.LBB2_7454:
	s_trap 2
	s_sendmsg_rtn_b32 s0, sendmsg(MSG_RTN_GET_DOORBELL)
	s_mov_b32 ttmp2, m0
	s_waitcnt lgkmcnt(0)
	s_and_b32 s0, s0, 0x3ff
	s_delay_alu instid0(SALU_CYCLE_1) | instskip(NEXT) | instid1(SALU_CYCLE_1)
	s_bitset1_b32 s0, 10
	s_mov_b32 m0, s0
	s_sendmsg sendmsg(MSG_INTERRUPT)
	s_mov_b32 m0, ttmp2
.LBB2_7455:                             ; =>This Inner Loop Header: Depth=1
	s_sethalt 5
	s_branch .LBB2_7455
.LBB2_7456:
	s_trap 2
	s_sendmsg_rtn_b32 s0, sendmsg(MSG_RTN_GET_DOORBELL)
	s_mov_b32 ttmp2, m0
	s_waitcnt lgkmcnt(0)
	s_and_b32 s0, s0, 0x3ff
	s_delay_alu instid0(SALU_CYCLE_1) | instskip(NEXT) | instid1(SALU_CYCLE_1)
	s_bitset1_b32 s0, 10
	s_mov_b32 m0, s0
	s_sendmsg sendmsg(MSG_INTERRUPT)
	s_mov_b32 m0, ttmp2
.LBB2_7457:                             ; =>This Inner Loop Header: Depth=1
	s_sethalt 5
	s_branch .LBB2_7457
.LBB2_7458:
	s_trap 2
	s_sendmsg_rtn_b32 s0, sendmsg(MSG_RTN_GET_DOORBELL)
	s_mov_b32 ttmp2, m0
	s_waitcnt lgkmcnt(0)
	s_and_b32 s0, s0, 0x3ff
	s_delay_alu instid0(SALU_CYCLE_1) | instskip(NEXT) | instid1(SALU_CYCLE_1)
	s_bitset1_b32 s0, 10
	s_mov_b32 m0, s0
	s_sendmsg sendmsg(MSG_INTERRUPT)
	s_mov_b32 m0, ttmp2
.LBB2_7459:                             ; =>This Inner Loop Header: Depth=1
	s_sethalt 5
	s_branch .LBB2_7459
.LBB2_7460:
	s_trap 2
	s_sendmsg_rtn_b32 s0, sendmsg(MSG_RTN_GET_DOORBELL)
	s_mov_b32 ttmp2, m0
	s_waitcnt lgkmcnt(0)
	s_and_b32 s0, s0, 0x3ff
	s_delay_alu instid0(SALU_CYCLE_1) | instskip(NEXT) | instid1(SALU_CYCLE_1)
	s_bitset1_b32 s0, 10
	s_mov_b32 m0, s0
	s_sendmsg sendmsg(MSG_INTERRUPT)
	s_mov_b32 m0, ttmp2
.LBB2_7461:                             ; =>This Inner Loop Header: Depth=1
	s_sethalt 5
	s_branch .LBB2_7461
.LBB2_7462:
	s_trap 2
	s_sendmsg_rtn_b32 s0, sendmsg(MSG_RTN_GET_DOORBELL)
	s_mov_b32 ttmp2, m0
	s_waitcnt lgkmcnt(0)
	s_and_b32 s0, s0, 0x3ff
	s_delay_alu instid0(SALU_CYCLE_1) | instskip(NEXT) | instid1(SALU_CYCLE_1)
	s_bitset1_b32 s0, 10
	s_mov_b32 m0, s0
	s_sendmsg sendmsg(MSG_INTERRUPT)
	s_mov_b32 m0, ttmp2
.LBB2_7463:                             ; =>This Inner Loop Header: Depth=1
	s_sethalt 5
	s_branch .LBB2_7463
.LBB2_7464:
	s_trap 2
	s_sendmsg_rtn_b32 s0, sendmsg(MSG_RTN_GET_DOORBELL)
	s_mov_b32 ttmp2, m0
	s_waitcnt lgkmcnt(0)
	s_and_b32 s0, s0, 0x3ff
	s_delay_alu instid0(SALU_CYCLE_1) | instskip(NEXT) | instid1(SALU_CYCLE_1)
	s_bitset1_b32 s0, 10
	s_mov_b32 m0, s0
	s_sendmsg sendmsg(MSG_INTERRUPT)
	s_mov_b32 m0, ttmp2
.LBB2_7465:                             ; =>This Inner Loop Header: Depth=1
	s_sethalt 5
	s_branch .LBB2_7465
.LBB2_7466:
	s_trap 2
	s_sendmsg_rtn_b32 s0, sendmsg(MSG_RTN_GET_DOORBELL)
	s_mov_b32 ttmp2, m0
	s_waitcnt lgkmcnt(0)
	s_and_b32 s0, s0, 0x3ff
	s_delay_alu instid0(SALU_CYCLE_1) | instskip(NEXT) | instid1(SALU_CYCLE_1)
	s_bitset1_b32 s0, 10
	s_mov_b32 m0, s0
	s_sendmsg sendmsg(MSG_INTERRUPT)
	s_mov_b32 m0, ttmp2
.LBB2_7467:                             ; =>This Inner Loop Header: Depth=1
	s_sethalt 5
	s_branch .LBB2_7467
.LBB2_7468:
	s_trap 2
	s_sendmsg_rtn_b32 s0, sendmsg(MSG_RTN_GET_DOORBELL)
	s_mov_b32 ttmp2, m0
	s_waitcnt lgkmcnt(0)
	s_and_b32 s0, s0, 0x3ff
	s_delay_alu instid0(SALU_CYCLE_1) | instskip(NEXT) | instid1(SALU_CYCLE_1)
	s_bitset1_b32 s0, 10
	s_mov_b32 m0, s0
	s_sendmsg sendmsg(MSG_INTERRUPT)
	s_mov_b32 m0, ttmp2
.LBB2_7469:                             ; =>This Inner Loop Header: Depth=1
	s_sethalt 5
	s_branch .LBB2_7469
.LBB2_7470:
	s_trap 2
	s_sendmsg_rtn_b32 s0, sendmsg(MSG_RTN_GET_DOORBELL)
	s_mov_b32 ttmp2, m0
	s_waitcnt lgkmcnt(0)
	s_and_b32 s0, s0, 0x3ff
	s_delay_alu instid0(SALU_CYCLE_1) | instskip(NEXT) | instid1(SALU_CYCLE_1)
	s_bitset1_b32 s0, 10
	s_mov_b32 m0, s0
	s_sendmsg sendmsg(MSG_INTERRUPT)
	s_mov_b32 m0, ttmp2
.LBB2_7471:                             ; =>This Inner Loop Header: Depth=1
	s_sethalt 5
	s_branch .LBB2_7471
.Lfunc_end2:
	.size	_ZN12_GLOBAL__N_17runRingI11rccl_float810FuncMinMaxIS1_E11ProtoSimpleILi2ELi2ELi0ELi1ELi0ELi0EELi0ELi0ELi1ELi0EEEviiP15ncclDevWorkColl, .Lfunc_end2-_ZN12_GLOBAL__N_17runRingI11rccl_float810FuncMinMaxIS1_E11ProtoSimpleILi2ELi2ELi0ELi1ELi0ELi0EELi0ELi0ELi1ELi0EEEviiP15ncclDevWorkColl
                                        ; -- End function
	.section	.AMDGPU.csdata,"",@progbits
; Function info:
; codeLenInByte = 257176
; NumSgprs: 52
; NumVgprs: 181
; ScratchSize: 80
; MemoryBound: 1
	.text
	.p2align	2                               ; -- Begin function _Z53ncclDevFunc_AllReduce_RING_SIMPLE_MinMax_f8e4m3_0_0_1v
	.type	_Z53ncclDevFunc_AllReduce_RING_SIMPLE_MinMax_f8e4m3_0_0_1v,@function
_Z53ncclDevFunc_AllReduce_RING_SIMPLE_MinMax_f8e4m3_0_0_1v: ; @_Z53ncclDevFunc_AllReduce_RING_SIMPLE_MinMax_f8e4m3_0_0_1v
; %bb.0:
	s_waitcnt vmcnt(0) expcnt(0) lgkmcnt(0)
	s_mov_b32 s0, s33
	s_mov_b32 s33, s32
	s_or_saveexec_b32 s1, -1
	scratch_store_b32 off, v40, s33 offset:8 ; 4-byte Folded Spill
	s_mov_b32 exec_lo, s1
	v_writelane_b32 v40, s0, 23
	s_add_i32 s32, s32, 16
	s_clause 0x1
	scratch_store_b32 off, v41, s33 offset:4
	; meta instruction
	scratch_store_b32 off, v42, s33
	v_writelane_b32 v40, s34, 0
	v_writelane_b32 v40, s35, 1
	;; [unrolled: 1-line block ×23, first 2 shown]
	s_cbranch_execnz .LBB3_7
; %bb.1:
	ds_load_b32 v0, v0
	v_and_b32_e32 v181, 0x3ff, v31
	s_mov_b32 s0, exec_lo
	s_waitcnt lgkmcnt(0)
	s_delay_alu instid0(VALU_DEP_1)
	v_cmpx_lt_i32_e64 v181, v0
	s_cbranch_execz .LBB3_9
; %bb.2:
	s_load_b32 s1, s[8:9], 0x0
	v_mov_b32_e32 v1, 0
	s_waitcnt lgkmcnt(0)
	s_cmp_lt_u32 s12, s1
	s_cselect_b32 s1, 12, 18
	s_delay_alu instid0(SALU_CYCLE_1)
	s_add_u32 s2, s8, s1
	s_addc_u32 s3, s9, 0
	s_mov_b32 s1, 0
	global_load_u16 v1, v1, s[2:3]
	s_cbranch_execnz .LBB3_24
; %bb.3:
	ds_load_b32 v2, v0
	v_mov_b32_e32 v3, v181
	s_mov_b32 s2, 0
                                        ; implicit-def: $vgpr4
	s_waitcnt vmcnt(0) lgkmcnt(0)
	v_mul_lo_u32 v2, v2, v1
	s_branch .LBB3_5
	.p2align	6
.LBB3_4:                                ;   in Loop: Header=BB3_5 Depth=1
	s_or_b32 exec_lo, exec_lo, s3
	v_add_nc_u32_e32 v3, v3, v1
	v_add_nc_u32_e32 v4, v4, v2
	s_delay_alu instid0(VALU_DEP_2) | instskip(SKIP_1) | instid1(SALU_CYCLE_1)
	v_cmp_ge_i32_e32 vcc_lo, v3, v0
	s_or_b32 s1, vcc_lo, s1
	s_and_not1_b32 exec_lo, exec_lo, s1
	s_cbranch_execz .LBB3_9
.LBB3_5:                                ; =>This Inner Loop Header: Depth=1
	ds_load_b32 v5, v4
	s_mov_b32 s3, exec_lo
	s_waitcnt lgkmcnt(0)
	v_and_b32_e32 v5, 0x1000000, v5
	s_delay_alu instid0(VALU_DEP_1)
	v_cmpx_ne_u32_e32 0, v5
	s_cbranch_execz .LBB3_4
; %bb.6:                                ;   in Loop: Header=BB3_5 Depth=1
	ds_load_b64 v[5:6], v4 offset:104
	s_waitcnt lgkmcnt(0)
	flat_load_u8 v5, v[5:6]
	s_waitcnt vmcnt(0) lgkmcnt(0)
	v_dual_mov_b32 v6, s2 :: v_dual_and_b32 v5, 0xffff, v5
	ds_store_b64 v4, v[5:6] offset:104
	s_branch .LBB3_4
.LBB3_7:
	s_trap 2
	s_sendmsg_rtn_b32 s0, sendmsg(MSG_RTN_GET_DOORBELL)
	s_mov_b32 ttmp2, m0
	s_waitcnt lgkmcnt(0)
	s_and_b32 s0, s0, 0x3ff
	s_delay_alu instid0(SALU_CYCLE_1) | instskip(NEXT) | instid1(SALU_CYCLE_1)
	s_bitset1_b32 s0, 10
	s_mov_b32 m0, s0
	s_sendmsg sendmsg(MSG_INTERRUPT)
	s_mov_b32 m0, ttmp2
.LBB3_8:                                ; =>This Inner Loop Header: Depth=1
	s_sethalt 5
	s_branch .LBB3_8
.LBB3_9:
	s_or_b32 exec_lo, exec_lo, s0
	s_waitcnt lgkmcnt(0)
	s_waitcnt_vscnt null, 0x0
	s_barrier
	buffer_gl0_inv
	s_cbranch_execnz .LBB3_22
; %bb.10:
	ds_load_b32 v0, v0
	s_waitcnt lgkmcnt(0)
	v_cmp_gt_i32_e32 vcc_lo, 1, v0
	s_cbranch_vccnz .LBB3_21
; %bb.11:
	s_mov_b32 s54, 0
	s_mov_b64 s[52:53], src_shared_base
.LBB3_12:                               ; =>This Inner Loop Header: Depth=1
	s_cbranch_execnz .LBB3_26
; %bb.13:                               ;   in Loop: Header=BB3_12 Depth=1
	ds_load_b32 v0, v0
	s_cmp_eq_u32 s54, 0
	s_cbranch_scc1 .LBB3_17
; %bb.14:                               ;   in Loop: Header=BB3_12 Depth=1
	s_cbranch_execnz .LBB3_30
; %bb.15:                               ;   in Loop: Header=BB3_12 Depth=1
	s_waitcnt lgkmcnt(0)
	ds_load_b32 v1, v0
	s_waitcnt lgkmcnt(0)
	v_xor_b32_e32 v1, v1, v0
	s_delay_alu instid0(VALU_DEP_1) | instskip(NEXT) | instid1(VALU_DEP_1)
	v_and_b32_e32 v1, 0xff0000, v1
	v_cmp_eq_u32_e32 vcc_lo, 0, v1
	s_cbranch_vccnz .LBB3_17
; %bb.16:                               ;   in Loop: Header=BB3_12 Depth=1
	s_waitcnt_vscnt null, 0x0
	s_barrier
	buffer_gl0_inv
	ds_load_b32 v0, v0
.LBB3_17:                               ;   in Loop: Header=BB3_12 Depth=1
	s_waitcnt lgkmcnt(0)
	v_lshrrev_b32_e32 v0, 11, v0
	s_mov_b32 s52, exec_lo
	s_delay_alu instid0(VALU_DEP_1) | instskip(NEXT) | instid1(VALU_DEP_1)
	v_and_b32_e32 v1, 0x1fe0, v0
	v_cmpx_lt_u32_e64 v181, v1
	s_cbranch_execz .LBB3_19
; %bb.18:                               ;   in Loop: Header=BB3_12 Depth=1
	v_dual_mov_b32 v182, v31 :: v_dual_mov_b32 v3, s53
	v_mov_b32_e32 v0, v181
	s_getpc_b64 s[0:1]
	s_add_u32 s0, s0, _ZN12_GLOBAL__N_17runRingI11rccl_float810FuncMinMaxIS1_E11ProtoSimpleILi2ELi2ELi0ELi1ELi0ELi0EELi0ELi0ELi1ELi0EEEviiP15ncclDevWorkColl@rel32@lo+4
	s_addc_u32 s1, s1, _ZN12_GLOBAL__N_17runRingI11rccl_float810FuncMinMaxIS1_E11ProtoSimpleILi2ELi2ELi0ELi1ELi0ELi0EELi0ELi0ELi1ELi0EEEviiP15ncclDevWorkColl@rel32@hi+12
	s_mov_b64 s[50:51], s[8:9]
	s_mov_b32 s47, s12
	s_swappc_b64 s[30:31], s[0:1]
	v_mov_b32_e32 v31, v182
	s_mov_b32 s12, s47
	s_mov_b64 s[8:9], s[50:51]
.LBB3_19:                               ;   in Loop: Header=BB3_12 Depth=1
	s_or_b32 exec_lo, exec_lo, s52
	s_cbranch_execnz .LBB3_28
; %bb.20:                               ;   in Loop: Header=BB3_12 Depth=1
	ds_load_b32 v0, v0
	s_add_i32 s54, s54, 1
	s_waitcnt lgkmcnt(0)
	v_cmp_lt_i32_e32 vcc_lo, s54, v0
	s_cbranch_vccnz .LBB3_12
.LBB3_21:
	s_clause 0x1
	scratch_load_b32 v42, off, s33
	scratch_load_b32 v41, off, s33 offset:4
	v_readlane_b32 s30, v40, 21
	v_readlane_b32 s31, v40, 22
	;; [unrolled: 1-line block ×24, first 2 shown]
	s_or_saveexec_b32 s1, -1
	scratch_load_b32 v40, off, s33 offset:8 ; 4-byte Folded Reload
	s_mov_b32 exec_lo, s1
	s_add_i32 s32, s32, -16
	s_mov_b32 s33, s0
	s_waitcnt vmcnt(0)
	s_setpc_b64 s[30:31]
.LBB3_22:
	s_trap 2
	s_sendmsg_rtn_b32 s0, sendmsg(MSG_RTN_GET_DOORBELL)
	s_mov_b32 ttmp2, m0
	s_waitcnt lgkmcnt(0)
	s_and_b32 s0, s0, 0x3ff
	s_delay_alu instid0(SALU_CYCLE_1) | instskip(NEXT) | instid1(SALU_CYCLE_1)
	s_bitset1_b32 s0, 10
	s_mov_b32 m0, s0
	s_sendmsg sendmsg(MSG_INTERRUPT)
	s_mov_b32 m0, ttmp2
.LBB3_23:                               ; =>This Inner Loop Header: Depth=1
	s_sethalt 5
	s_branch .LBB3_23
.LBB3_24:
	s_trap 2
	s_sendmsg_rtn_b32 s0, sendmsg(MSG_RTN_GET_DOORBELL)
	s_mov_b32 ttmp2, m0
	s_waitcnt lgkmcnt(0)
	s_and_b32 s0, s0, 0x3ff
	s_delay_alu instid0(SALU_CYCLE_1) | instskip(NEXT) | instid1(SALU_CYCLE_1)
	s_bitset1_b32 s0, 10
	s_mov_b32 m0, s0
	s_sendmsg sendmsg(MSG_INTERRUPT)
	s_mov_b32 m0, ttmp2
.LBB3_25:                               ; =>This Inner Loop Header: Depth=1
	s_sethalt 5
	s_branch .LBB3_25
.LBB3_26:
	s_trap 2
	s_sendmsg_rtn_b32 s0, sendmsg(MSG_RTN_GET_DOORBELL)
	s_mov_b32 ttmp2, m0
	s_waitcnt lgkmcnt(0)
	s_and_b32 s0, s0, 0x3ff
	s_delay_alu instid0(SALU_CYCLE_1) | instskip(NEXT) | instid1(SALU_CYCLE_1)
	s_bitset1_b32 s0, 10
	s_mov_b32 m0, s0
	s_sendmsg sendmsg(MSG_INTERRUPT)
	s_mov_b32 m0, ttmp2
.LBB3_27:                               ; =>This Inner Loop Header: Depth=1
	s_sethalt 5
	s_branch .LBB3_27
.LBB3_28:
	s_trap 2
	s_sendmsg_rtn_b32 s0, sendmsg(MSG_RTN_GET_DOORBELL)
	s_mov_b32 ttmp2, m0
	s_waitcnt lgkmcnt(0)
	s_and_b32 s0, s0, 0x3ff
	s_delay_alu instid0(SALU_CYCLE_1) | instskip(NEXT) | instid1(SALU_CYCLE_1)
	s_bitset1_b32 s0, 10
	s_mov_b32 m0, s0
	s_sendmsg sendmsg(MSG_INTERRUPT)
	s_mov_b32 m0, ttmp2
.LBB3_29:                               ; =>This Inner Loop Header: Depth=1
	s_sethalt 5
	s_branch .LBB3_29
.LBB3_30:
	s_trap 2
	s_sendmsg_rtn_b32 s0, sendmsg(MSG_RTN_GET_DOORBELL)
	s_mov_b32 ttmp2, m0
	s_waitcnt lgkmcnt(0)
	s_and_b32 s0, s0, 0x3ff
	s_delay_alu instid0(SALU_CYCLE_1) | instskip(NEXT) | instid1(SALU_CYCLE_1)
	s_bitset1_b32 s0, 10
	s_mov_b32 m0, s0
	s_sendmsg sendmsg(MSG_INTERRUPT)
	s_mov_b32 m0, ttmp2
.LBB3_31:                               ; =>This Inner Loop Header: Depth=1
	s_sethalt 5
	s_branch .LBB3_31
.Lfunc_end3:
	.size	_Z53ncclDevFunc_AllReduce_RING_SIMPLE_MinMax_f8e4m3_0_0_1v, .Lfunc_end3-_Z53ncclDevFunc_AllReduce_RING_SIMPLE_MinMax_f8e4m3_0_0_1v
                                        ; -- End function
	.section	.AMDGPU.csdata,"",@progbits
; Function info:
; codeLenInByte = 1312
; NumSgprs: 57
; NumVgprs: 183
; ScratchSize: 96
; MemoryBound: 0
	.text
	.p2align	2                               ; -- Begin function _ZN12_GLOBAL__N_17runRingI11rccl_float810FuncMinMaxIS1_E11ProtoSimpleILi2ELi2ELi0ELi2ELi0ELi0EELi0ELi0ELi2ELi0EEEviiP15ncclDevWorkColl
	.type	_ZN12_GLOBAL__N_17runRingI11rccl_float810FuncMinMaxIS1_E11ProtoSimpleILi2ELi2ELi0ELi2ELi0ELi0EELi0ELi0ELi2ELi0EEEviiP15ncclDevWorkColl,@function
_ZN12_GLOBAL__N_17runRingI11rccl_float810FuncMinMaxIS1_E11ProtoSimpleILi2ELi2ELi0ELi2ELi0ELi0EELi0ELi0ELi2ELi0EEEviiP15ncclDevWorkColl: ; @_ZN12_GLOBAL__N_17runRingI11rccl_float810FuncMinMaxIS1_E11ProtoSimpleILi2ELi2ELi0ELi2ELi0ELi0EELi0ELi0ELi2ELi0EEEviiP15ncclDevWorkColl
; %bb.0:
	s_waitcnt vmcnt(0) expcnt(0) lgkmcnt(0)
	s_mov_b32 s0, s33
	s_mov_b32 s33, s32
	s_or_saveexec_b32 s1, -1
	s_clause 0x1
	scratch_store_b32 off, v47, s33 offset:28
	; meta instruction
	scratch_store_b32 off, v56, s33 offset:32
	s_mov_b32 exec_lo, s1
	v_writelane_b32 v47, s0, 15
	s_add_i32 s32, s32, 48
	s_clause 0x6
	scratch_store_b32 off, v40, s33 offset:24
	; meta instruction
	scratch_store_b32 off, v41, s33 offset:20
	; meta instruction
	;; [unrolled: 2-line block ×6, first 2 shown]
	scratch_store_b32 off, v46, s33
	v_writelane_b32 v47, s34, 0
	v_writelane_b32 v47, s35, 1
	;; [unrolled: 1-line block ×15, first 2 shown]
	s_cbranch_execz .LBB4_1
; %bb.10708:
	s_getpc_b64 s[48:49]
.Lpost_getpc131:
	s_add_u32 s48, s48, (.LBB4_10168-.Lpost_getpc131)&4294967295
	s_addc_u32 s49, s49, (.LBB4_10168-.Lpost_getpc131)>>32
	s_setpc_b64 s[48:49]
.LBB4_1:
	flat_load_b32 v7, v[2:3]
	ds_load_b32 v6, v0
	s_mov_b32 s0, exec_lo
                                        ; implicit-def: $vgpr14_vgpr15
                                        ; implicit-def: $vgpr24_vgpr25
                                        ; implicit-def: $vgpr4_vgpr5
	s_waitcnt lgkmcnt(0)
	v_readfirstlane_b32 s19, v6
	s_waitcnt vmcnt(0)
	v_and_b32_e32 v8, 0xff, v7
	s_delay_alu instid0(VALU_DEP_1)
	v_cmpx_ne_u32_e64 v8, v6
	s_xor_b32 s0, exec_lo, s0
	s_cbranch_execz .LBB4_2
; %bb.10710:
	s_getpc_b64 s[48:49]
.Lpost_getpc132:
	s_add_u32 s48, s48, (.LBB4_10170-.Lpost_getpc132)&4294967295
	s_addc_u32 s49, s49, (.LBB4_10170-.Lpost_getpc132)>>32
	s_setpc_b64 s[48:49]
.LBB4_2:
	s_and_not1_saveexec_b32 s0, s0
	s_cbranch_execz .LBB4_3
; %bb.10712:
	s_getpc_b64 s[48:49]
.Lpost_getpc133:
	s_add_u32 s48, s48, (.LBB4_10175-.Lpost_getpc133)&4294967295
	s_addc_u32 s49, s49, (.LBB4_10175-.Lpost_getpc133)>>32
	s_setpc_b64 s[48:49]
.LBB4_3:
	s_or_b32 exec_lo, exec_lo, s0
	s_cbranch_execz .LBB4_4
; %bb.10714:
	s_getpc_b64 s[48:49]
.Lpost_getpc134:
	s_add_u32 s48, s48, (.LBB4_10176-.Lpost_getpc134)&4294967295
	s_addc_u32 s49, s49, (.LBB4_10176-.Lpost_getpc134)>>32
	s_setpc_b64 s[48:49]
.LBB4_4:
	ds_load_b64 v[6:7], v0
	s_mov_b32 s1, exec_lo
	s_waitcnt lgkmcnt(0)
	v_cmp_ne_u32_e32 vcc_lo, -1, v6
	v_cndmask_b32_e64 v17, 0, 1, vcc_lo
	v_cmp_ne_u32_e32 vcc_lo, -1, v7
	s_delay_alu instid0(VALU_DEP_2) | instskip(NEXT) | instid1(VALU_DEP_1)
	v_add_co_ci_u32_e64 v8, s0, 0, v17, vcc_lo
	v_lshlrev_b32_e32 v6, 1, v8
	s_delay_alu instid0(VALU_DEP_1)
	v_cmpx_le_i32_e64 v6, v1
	s_xor_b32 s18, exec_lo, s1
	s_cbranch_execnz .LBB4_5
; %bb.10716:
	s_getpc_b64 s[48:49]
.Lpost_getpc135:
	s_add_u32 s48, s48, (.LBB4_10421-.Lpost_getpc135)&4294967295
	s_addc_u32 s49, s49, (.LBB4_10421-.Lpost_getpc135)>>32
	s_setpc_b64 s[48:49]
.LBB4_5:
	s_clause 0x3
	flat_load_b64 v[15:16], v[2:3] offset:104
	flat_load_b128 v[10:13], v[2:3] offset:16
	flat_load_u16 v7, v[2:3] offset:8
	flat_load_b32 v6, v[2:3] offset:4
	s_cbranch_execz .LBB4_6
; %bb.10718:
	s_getpc_b64 s[48:49]
.Lpost_getpc136:
	s_add_u32 s48, s48, (.LBB4_10178-.Lpost_getpc136)&4294967295
	s_addc_u32 s49, s49, (.LBB4_10178-.Lpost_getpc136)>>32
	s_setpc_b64 s[48:49]
.LBB4_6:
	s_load_b32 s0, s[8:9], 0x0
	v_dual_mov_b32 v9, 0 :: v_dual_mov_b32 v30, 4
	s_waitcnt lgkmcnt(0)
	s_cmp_lt_u32 s12, s0
	s_cselect_b32 s0, 12, 18
	s_delay_alu instid0(SALU_CYCLE_1)
	s_add_u32 s0, s8, s0
	s_addc_u32 s1, s9, 0
	global_load_u16 v18, v9, s[0:1]
	ds_load_b32 v9, v0
	s_mov_b32 s1, exec_lo
	s_waitcnt lgkmcnt(0)
	v_readfirstlane_b32 s5, v9
	v_cmpx_ge_i32_e64 v0, v17
	s_cbranch_execz .LBB4_16
; %bb.7:
	v_cmp_le_u32_e64 s0, v8, v0
                                        ; implicit-def: $vgpr30
	s_delay_alu instid0(VALU_DEP_1) | instskip(NEXT) | instid1(SALU_CYCLE_1)
	s_and_saveexec_b32 s2, s0
	s_xor_b32 s0, exec_lo, s2
	s_cbranch_execz .LBB4_13
; %bb.8:
	v_cndmask_b32_e64 v9, 0, 1, vcc_lo
	s_mov_b32 s2, exec_lo
                                        ; implicit-def: $sgpr3
	s_delay_alu instid0(VALU_DEP_1) | instskip(NEXT) | instid1(VALU_DEP_1)
	v_sub_nc_u32_e32 v9, v1, v9
	v_cmpx_ge_u32_e64 v0, v9
	s_xor_b32 s2, exec_lo, s2
; %bb.9:
	s_mov_b32 s3, 16
                                        ; implicit-def: $vgpr8
; %bb.10:
	s_or_saveexec_b32 s2, s2
	v_mov_b32_e32 v30, s3
	s_xor_b32 exec_lo, exec_lo, s2
; %bb.11:
	v_sub_nc_u32_e32 v8, v1, v8
	s_delay_alu instid0(VALU_DEP_1) | instskip(SKIP_1) | instid1(VALU_DEP_1)
	v_cmp_ge_i32_e32 vcc_lo, v0, v8
	v_cndmask_b32_e64 v8, 0, 1, vcc_lo
	v_lshlrev_b32_e32 v30, 5, v8
; %bb.12:
	s_or_b32 exec_lo, exec_lo, s2
.LBB4_13:
	s_and_not1_saveexec_b32 s0, s0
; %bb.14:
	v_mov_b32_e32 v30, 8
; %bb.15:
	s_or_b32 exec_lo, exec_lo, s0
.LBB4_16:
	s_delay_alu instid0(SALU_CYCLE_1) | instskip(NEXT) | instid1(VALU_DEP_1)
	s_or_b32 exec_lo, exec_lo, s1
	v_and_b32_e32 v8, 36, v30
	s_delay_alu instid0(VALU_DEP_1)
	v_cmp_ne_u32_e32 vcc_lo, 0, v8
	v_mov_b32_e32 v8, -1
	s_and_saveexec_b32 s0, vcc_lo
	s_cbranch_execz .LBB4_19
; %bb.17:
	s_cbranch_execz .LBB4_18
; %bb.10720:
	s_getpc_b64 s[48:49]
.Lpost_getpc137:
	s_add_u32 s48, s48, (.LBB4_10180-.Lpost_getpc137)&4294967295
	s_addc_u32 s49, s49, (.LBB4_10180-.Lpost_getpc137)>>32
	s_setpc_b64 s[48:49]
.LBB4_18:
	ds_load_b32 v8, v0
.LBB4_19:
	s_or_b32 exec_lo, exec_lo, s0
	v_and_b32_e32 v9, 24, v30
	s_mov_b32 s1, exec_lo
	s_delay_alu instid0(VALU_DEP_1)
	v_cmpx_ne_u32_e32 0, v9
	s_cbranch_execz .LBB4_22
; %bb.20:
	s_cbranch_execz .LBB4_21
; %bb.10722:
	s_getpc_b64 s[48:49]
.Lpost_getpc138:
	s_add_u32 s48, s48, (.LBB4_10182-.Lpost_getpc138)&4294967295
	s_addc_u32 s49, s49, (.LBB4_10182-.Lpost_getpc138)>>32
	s_setpc_b64 s[48:49]
.LBB4_21:
	s_waitcnt lgkmcnt(0)
	ds_load_b32 v8, v0
.LBB4_22:
	s_or_b32 exec_lo, exec_lo, s1
	s_waitcnt vmcnt(1)
	v_lshrrev_b64 v[6:7], 31, v[6:7]
	v_mov_b32_e32 v28, 0
	v_mov_b32_e32 v29, 0
                                        ; implicit-def: $vgpr26_vgpr27
                                        ; implicit-def: $vgpr86
                                        ; implicit-def: $vgpr34_vgpr35
                                        ; implicit-def: $vgpr36_vgpr37
                                        ; implicit-def: $vgpr50_vgpr51
                                        ; implicit-def: $vgpr32_vgpr33
	s_delay_alu instid0(VALU_DEP_2) | instskip(NEXT) | instid1(VALU_DEP_2)
	v_dual_mov_b32 v6, v28 :: v_dual_and_b32 v19, 3, v6
	v_mov_b32_e32 v7, v29
	s_and_saveexec_b32 s0, vcc_lo
	s_cbranch_execz .LBB4_35
; %bb.23:
	s_cbranch_execz .LBB4_24
; %bb.10724:
	s_getpc_b64 s[48:49]
.Lpost_getpc139:
	s_add_u32 s48, s48, (.LBB4_10184-.Lpost_getpc139)&4294967295
	s_addc_u32 s49, s49, (.LBB4_10184-.Lpost_getpc139)>>32
	s_setpc_b64 s[48:49]
.LBB4_24:
	ds_load_b64 v[6:7], v0
	s_waitcnt lgkmcnt(1)
	v_ashrrev_i32_e32 v9, 31, v8
	s_mov_b32 s1, exec_lo
                                        ; implicit-def: $vgpr26_vgpr27
	s_delay_alu instid0(VALU_DEP_1) | instskip(SKIP_2) | instid1(VALU_DEP_2)
	v_lshlrev_b64 v[20:21], 3, v[8:9]
	v_and_b32_e32 v9, 0xffff, v19
	s_waitcnt lgkmcnt(0)
	v_add_co_u32 v6, vcc_lo, v6, v20
	s_delay_alu instid0(VALU_DEP_3)
	v_add_co_ci_u32_e32 v7, vcc_lo, v7, v21, vcc_lo
	flat_load_b64 v[6:7], v[6:7]
	s_waitcnt vmcnt(0) lgkmcnt(0)
	v_mad_u64_u32 v[20:21], null, 0xa8, v9, v[6:7]
	flat_load_b32 v6, v[20:21] offset:640
	v_add_co_u32 v28, vcc_lo, 0x1f8, v20
	v_add_co_ci_u32_e32 v29, vcc_lo, 0, v21, vcc_lo
	s_waitcnt vmcnt(0) lgkmcnt(0)
	v_cmpx_eq_u32_e32 1, v6
	s_cbranch_execz .LBB4_27
; %bb.25:
	flat_load_b64 v[26:27], v[28:29] offset:144
	s_waitcnt vmcnt(0) lgkmcnt(0)
	flat_load_b64 v[6:7], v[26:27]
	s_cbranch_execz .LBB4_26
; %bb.10726:
	s_getpc_b64 s[48:49]
.Lpost_getpc140:
	s_add_u32 s48, s48, (.LBB4_10192-.Lpost_getpc140)&4294967295
	s_addc_u32 s49, s49, (.LBB4_10192-.Lpost_getpc140)>>32
	s_setpc_b64 s[48:49]
.LBB4_26:
	s_waitcnt vmcnt(0) lgkmcnt(0)
	ds_store_b64 v0, v[6:7]
	flat_load_b64 v[6:7], v[26:27] offset:8
	v_or_b32_e32 v30, 0x2000, v30
	s_waitcnt vmcnt(0) lgkmcnt(0)
	ds_store_b64 v0, v[6:7]
	flat_load_b64 v[6:7], v[26:27] offset:16
	s_waitcnt vmcnt(0) lgkmcnt(0)
	ds_store_b64 v0, v[6:7]
.LBB4_27:
	s_or_b32 exec_lo, exec_lo, s1
	flat_load_b64 v[6:7], v[28:29] offset:104
	v_and_b32_e32 v9, 32, v30
	s_mov_b32 s1, exec_lo
                                        ; implicit-def: $vgpr32_vgpr33
	s_waitcnt vmcnt(0) lgkmcnt(0)
	v_add_co_u32 v6, vcc_lo, v6, 3
	v_add_co_ci_u32_e32 v35, vcc_lo, 0, v7, vcc_lo
	s_delay_alu instid0(VALU_DEP_2)
	v_and_b32_e32 v34, -4, v6
	v_cmpx_ne_u32_e32 0, v9
	s_cbranch_execz .LBB4_29
; %bb.28:
	flat_load_b64 v[32:33], v[28:29] offset:56
	s_waitcnt vmcnt(0) lgkmcnt(0)
	s_waitcnt_vscnt null, 0x0
	flat_store_b64 v[32:33], v[34:35]
.LBB4_29:
	s_or_b32 exec_lo, exec_lo, s1
	v_dual_mov_b32 v6, 0 :: v_dual_and_b32 v9, 4, v30
	v_mov_b32_e32 v7, 0
	s_mov_b32 s1, exec_lo
                                        ; implicit-def: $vgpr86
                                        ; implicit-def: $vgpr36_vgpr37
                                        ; implicit-def: $vgpr50_vgpr51
	s_delay_alu instid0(VALU_DEP_2)
	v_cmpx_ne_u32_e32 0, v9
	s_cbranch_execz .LBB4_34
; %bb.30:
	v_and_b32_e32 v6, 0x800, v30
	s_mov_b32 s2, exec_lo
	s_delay_alu instid0(VALU_DEP_1)
	v_cmpx_eq_u32_e32 0, v6
	s_cbranch_execz .LBB4_33
; %bb.31:
	s_cbranch_execz .LBB4_32
; %bb.10728:
	s_getpc_b64 s[48:49]
.Lpost_getpc141:
	s_add_u32 s48, s48, (.LBB4_10194-.Lpost_getpc141)&4294967295
	s_addc_u32 s49, s49, (.LBB4_10194-.Lpost_getpc141)>>32
	s_setpc_b64 s[48:49]
.LBB4_32:
	ds_store_b64 v0, v[28:29]
.LBB4_33:
	s_or_b32 exec_lo, exec_lo, s2
	flat_load_b64 v[32:33], v[28:29] offset:48
	v_or_b32_e32 v9, 0x100, v30
	s_waitcnt vmcnt(0) lgkmcnt(0)
	flat_load_b64 v[50:51], v[32:33] glc
	s_clause 0x2
	flat_load_b64 v[6:7], v[28:29] offset:96
	flat_load_b32 v86, v[28:29] offset:72
	flat_load_b64 v[36:37], v[28:29] offset:16
	s_waitcnt vmcnt(2) lgkmcnt(2)
	v_cmp_eq_u64_e32 vcc_lo, 0, v[6:7]
	v_cndmask_b32_e32 v30, v9, v30, vcc_lo
.LBB4_34:
	s_or_b32 exec_lo, exec_lo, s1
.LBB4_35:
	s_delay_alu instid0(SALU_CYCLE_1) | instskip(NEXT) | instid1(VALU_DEP_1)
	s_or_b32 exec_lo, exec_lo, s0
	v_and_b32_e32 v9, 24, v30
	s_mov_b32 s0, exec_lo
                                        ; implicit-def: $vgpr38_vgpr39
	s_delay_alu instid0(VALU_DEP_1)
	v_cmpx_ne_u32_e32 0, v9
	s_cbranch_execz .LBB4_45
; %bb.36:
	s_cbranch_execz .LBB4_37
; %bb.10730:
	s_getpc_b64 s[48:49]
.Lpost_getpc142:
	s_add_u32 s48, s48, (.LBB4_10186-.Lpost_getpc142)&4294967295
	s_addc_u32 s49, s49, (.LBB4_10186-.Lpost_getpc142)>>32
	s_setpc_b64 s[48:49]
.LBB4_37:
	ds_load_b64 v[6:7], v0
	s_waitcnt lgkmcnt(1)
	v_ashrrev_i32_e32 v9, 31, v8
	s_mov_b32 s1, exec_lo
                                        ; implicit-def: $vgpr38_vgpr39
	s_delay_alu instid0(VALU_DEP_1) | instskip(SKIP_1) | instid1(VALU_DEP_1)
	v_lshlrev_b64 v[8:9], 3, v[8:9]
	s_waitcnt lgkmcnt(0)
	v_add_co_u32 v6, vcc_lo, v6, v8
	s_delay_alu instid0(VALU_DEP_2)
	v_add_co_ci_u32_e32 v7, vcc_lo, v7, v9, vcc_lo
	v_and_b32_e32 v8, 0xffff, v19
	v_or_b32_e32 v19, 0x100, v30
	flat_load_b64 v[6:7], v[6:7]
	s_waitcnt vmcnt(0) lgkmcnt(0)
	v_mad_u64_u32 v[28:29], null, 0xa8, v8, v[6:7]
	flat_load_b128 v[6:9], v[28:29] offset:96
	s_waitcnt vmcnt(0) lgkmcnt(0)
	v_cmp_eq_u64_e32 vcc_lo, 0, v[6:7]
	v_cndmask_b32_e32 v30, v19, v30, vcc_lo
	s_delay_alu instid0(VALU_DEP_1) | instskip(NEXT) | instid1(VALU_DEP_1)
	v_and_b32_e32 v19, 16, v30
	v_cmpx_ne_u32_e32 0, v19
; %bb.38:
	s_clause 0x2
	flat_load_b64 v[38:39], v[28:29] offset:120
	flat_load_b64 v[32:33], v[28:29] offset:48
	;; [unrolled: 1-line block ×3, first 2 shown]
; %bb.39:
	s_or_b32 exec_lo, exec_lo, s1
	v_and_b32_e32 v19, 8, v30
	s_mov_b32 s1, exec_lo
	s_delay_alu instid0(VALU_DEP_1)
	v_cmpx_ne_u32_e32 0, v19
	s_cbranch_execz .LBB4_44
; %bb.40:
	v_and_b32_e32 v19, 0x800, v30
	s_mov_b32 s2, exec_lo
	s_delay_alu instid0(VALU_DEP_1)
	v_cmpx_eq_u32_e32 0, v19
	s_cbranch_execz .LBB4_43
; %bb.41:
	s_cbranch_execz .LBB4_42
; %bb.10732:
	s_getpc_b64 s[48:49]
.Lpost_getpc143:
	s_add_u32 s48, s48, (.LBB4_10196-.Lpost_getpc143)&4294967295
	s_addc_u32 s49, s49, (.LBB4_10196-.Lpost_getpc143)>>32
	s_setpc_b64 s[48:49]
.LBB4_42:
	ds_store_b64 v0, v[28:29]
.LBB4_43:
	s_or_b32 exec_lo, exec_lo, s2
	s_waitcnt vmcnt(1) lgkmcnt(1)
	flat_load_b64 v[32:33], v[28:29] offset:56
	s_waitcnt vmcnt(0) lgkmcnt(0)
	flat_load_b64 v[50:51], v[32:33] glc
	s_clause 0x1
	flat_load_b32 v86, v[28:29] offset:72
	flat_load_b64 v[36:37], v[28:29] offset:16
.LBB4_44:
	s_or_b32 exec_lo, exec_lo, s1
	v_add_co_u32 v8, vcc_lo, v8, 3
	v_add_co_ci_u32_e32 v35, vcc_lo, 0, v9, vcc_lo
	s_delay_alu instid0(VALU_DEP_2)
	v_and_b32_e32 v34, -4, v8
.LBB4_45:
	s_or_b32 exec_lo, exec_lo, s0
	v_cmp_eq_u32_e64 s0, 0, v0
	s_delay_alu instid0(VALU_DEP_1)
	s_and_saveexec_b32 s1, s0
	s_cbranch_execz .LBB4_48
; %bb.46:
	s_waitcnt lgkmcnt(0)
	flat_load_b64 v[8:9], v[2:3] offset:32
	ds_store_2addr_b64 v0, v[12:13], v[10:11] offset1:1
	s_cbranch_execz .LBB4_47
; %bb.10734:
	s_getpc_b64 s[48:49]
.Lpost_getpc144:
	s_add_u32 s48, s48, (.LBB4_10188-.Lpost_getpc144)&4294967295
	s_addc_u32 s49, s49, (.LBB4_10188-.Lpost_getpc144)>>32
	s_setpc_b64 s[48:49]
.LBB4_47:
	s_waitcnt vmcnt(0) lgkmcnt(1)
	ds_store_b64 v0, v[8:9]
	ds_store_b64 v0, v[15:16]
.LBB4_48:
	s_or_b32 exec_lo, exec_lo, s1
	s_waitcnt vmcnt(0)
	v_dual_mov_b32 v48, 0 :: v_dual_and_b32 v87, 0xffff, v18
	v_mov_b32_e32 v49, 0
	s_mov_b32 s20, exec_lo
	v_cmpx_lt_i64_e32 0, v[4:5]
	s_cbranch_execnz .LBB4_49
; %bb.10736:
	s_getpc_b64 s[48:49]
.Lpost_getpc145:
	s_add_u32 s48, s48, (.LBB4_10162-.Lpost_getpc145)&4294967295
	s_addc_u32 s49, s49, (.LBB4_10162-.Lpost_getpc145)>>32
	s_setpc_b64 s[48:49]
.LBB4_49:
	s_waitcnt lgkmcnt(0)
	flat_load_b32 v8, v[2:3] offset:4
	v_dual_mov_b32 v3, 0 :: v_dual_and_b32 v2, 31, v31
	s_ashr_i32 s21, s19, 31
	s_add_u32 s22, s19, -1
	s_addc_u32 s23, s21, -1
	s_not_b32 s2, s19
	v_cmp_ge_i32_e32 vcc_lo, v0, v1
	v_cmp_eq_u32_e64 s1, 0, v2
	s_cmp_gt_i32 s19, 0
	s_mov_b32 s24, 0
	s_cselect_b32 s26, s2, -1
	s_cbranch_execz .LBB4_50
; %bb.10738:
	s_getpc_b64 s[48:49]
.Lpost_getpc146:
	s_add_u32 s48, s48, (.LBB4_10190-.Lpost_getpc146)&4294967295
	s_addc_u32 s49, s49, (.LBB4_10190-.Lpost_getpc146)>>32
	s_setpc_b64 s[48:49]
.LBB4_50:
	v_ashrrev_i32_e32 v9, 31, v0
	v_lshrrev_b32_e32 v97, 5, v1
	v_and_b32_e32 v2, 0x3ffffe00, v14
	s_waitcnt vmcnt(0) lgkmcnt(0)
	v_and_b32_e32 v8, 1, v8
	s_ashr_i32 s6, s5, 31
	v_lshrrev_b32_e32 v9, 27, v9
	v_dual_mov_b32 v134, 1 :: v_dual_lshlrev_b32 v101, 9, v97
	s_add_i32 s25, s19, s19
	s_lshr_b32 s6, s6, 25
	s_delay_alu instid0(VALU_DEP_2) | instskip(SKIP_1) | instid1(VALU_DEP_2)
	v_dual_mov_b32 v54, 0 :: v_dual_add_nc_u32 v9, v0, v9
	v_mov_b32_e32 v55, 0
	v_mov_b32_e32 v48, v54
	v_dual_mov_b32 v65, v3 :: v_dual_and_b32 v98, 0xffffffe0, v1
	s_delay_alu instid0(VALU_DEP_3) | instskip(SKIP_3) | instid1(VALU_DEP_4)
	v_dual_mov_b32 v49, v55 :: v_dual_and_b32 v10, 0xffffffe0, v9
	v_ashrrev_i32_e32 v99, 5, v9
	v_lshl_add_u32 v9, v97, 11, 0xfffff800
	v_dual_mov_b32 v64, v2 :: v_dual_add_nc_u32 v103, 0xfffffe00, v101
	v_sub_nc_u32_e32 v100, v0, v10
	s_delay_alu instid0(VALU_DEP_4) | instskip(SKIP_3) | instid1(VALU_DEP_4)
	v_lshlrev_b32_e32 v10, 11, v99
	v_subrev_nc_u32_e32 v116, 32, v98
	v_add_co_u32 v113, s7, 0x800, v9
	v_ashrrev_i32_e32 v115, 31, v103
	v_lshl_add_u32 v102, v100, 4, v10
	v_ashrrev_i32_e32 v10, 31, v9
	v_ashrrev_i32_e32 v119, 31, v116
	s_add_i32 s26, s26, s25
	s_add_i32 s5, s5, s6
	s_ashr_i32 s27, s26, 31
	v_add_co_ci_u32_e64 v114, s7, 0, v10, s7
	v_add_co_u32 v117, s7, 0x200, v103
	s_delay_alu instid0(VALU_DEP_1) | instskip(SKIP_1) | instid1(VALU_DEP_1)
	v_add_co_ci_u32_e64 v118, s7, 0, v115, s7
	v_add_co_u32 v128, s7, v116, 32
	v_add_co_ci_u32_e64 v129, s7, 0, v119, s7
	v_cmp_eq_u32_e64 s7, 1, v8
	v_lshlrev_b32_e32 v8, 10, v99
	s_ashr_i32 s28, s5, 7
	s_cmp_gt_i32 s19, 2
	v_mad_i64_i32 v[52:53], null, v2, s19, 0
	s_delay_alu instid0(VALU_DEP_2)
	v_sub_nc_u32_e32 v130, v102, v8
	v_lshl_add_u32 v8, v97, 10, 0xfffffc00
	s_cselect_b32 s29, -1, 0
	s_add_i32 s13, s19, 1
	s_xor_b32 vcc_hi, s7, -1
	s_cmp_le_i32 s19, s13
	v_ashrrev_i32_e32 v9, 31, v8
	s_cselect_b32 s14, s19, 0
	v_cmp_eq_u64_e64 s10, 0, v[38:39]
	s_sub_i32 s36, s13, s14
	v_add_co_u32 v132, s13, 0x400, v8
	v_cmp_ne_u64_e64 s11, 0, v[38:39]
	v_ashrrev_i32_e32 v96, 31, v86
	v_cmp_eq_u32_e64 s2, 32, v1
	v_cmp_ne_u32_e64 s3, 32, v1
	v_cmp_ne_u32_e64 s4, v87, v1
	v_cmp_gt_i32_e64 s5, 1, v100
	v_cmp_lt_i32_e64 s6, v100, v17
	v_ashrrev_i32_e32 v112, 31, v102
	v_cmp_le_i32_e64 s12, v100, v17
	v_ashrrev_i32_e32 v131, 31, v130
	v_add_co_ci_u32_e64 v133, s13, 0, v9, s13
	s_ashr_i32 s34, s36, 31
	s_add_i32 s31, s19, -2
	s_xor_b32 s30, vcc_lo, -1
	s_sub_i32 s35, 0, s19
.LBB4_51:                               ; =>This Loop Header: Depth=1
                                        ;     Child Loop BB4_59 Depth 2
                                        ;       Child Loop BB4_68 Depth 3
                                        ;       Child Loop BB4_95 Depth 3
	;; [unrolled: 1-line block ×9, first 2 shown]
                                        ;     Child Loop BB4_222 Depth 2
                                        ;       Child Loop BB4_228 Depth 3
                                        ;       Child Loop BB4_255 Depth 3
	;; [unrolled: 1-line block ×3, first 2 shown]
                                        ;     Child Loop BB4_303 Depth 2
                                        ;       Child Loop BB4_305 Depth 3
                                        ;         Child Loop BB4_314 Depth 4
                                        ;         Child Loop BB4_344 Depth 4
	;; [unrolled: 1-line block ×9, first 2 shown]
                                        ;       Child Loop BB4_3397 Depth 3
                                        ;         Child Loop BB4_3403 Depth 4
                                        ;         Child Loop BB4_3435 Depth 4
	;; [unrolled: 1-line block ×3, first 2 shown]
                                        ;     Child Loop BB4_3484 Depth 2
                                        ;       Child Loop BB4_3493 Depth 3
                                        ;       Child Loop BB4_3523 Depth 3
	;; [unrolled: 1-line block ×5, first 2 shown]
                                        ;         Child Loop BB4_5483 Depth 4
                                        ;       Child Loop BB4_5753 Depth 3
                                        ;       Child Loop BB4_6476 Depth 3
                                        ;         Child Loop BB4_6506 Depth 4
                                        ;       Child Loop BB4_6538 Depth 3
                                        ;       Child Loop BB4_7984 Depth 3
	;; [unrolled: 1-line block ×6, first 2 shown]
                                        ;     Child Loop BB4_9541 Depth 2
                                        ;       Child Loop BB4_9547 Depth 3
                                        ;       Child Loop BB4_9577 Depth 3
	;; [unrolled: 1-line block ×3, first 2 shown]
                                        ;     Child Loop BB4_9625 Depth 2
                                        ;       Child Loop BB4_9627 Depth 3
                                        ;         Child Loop BB4_9636 Depth 4
                                        ;         Child Loop BB4_9666 Depth 4
	;; [unrolled: 1-line block ×5, first 2 shown]
                                        ;           Child Loop BB4_9721 Depth 5
                                        ;         Child Loop BB4_9732 Depth 4
                                        ;         Child Loop BB4_9738 Depth 4
                                        ;           Child Loop BB4_9739 Depth 5
                                        ;         Child Loop BB4_9753 Depth 4
                                        ;         Child Loop BB4_9759 Depth 4
	;; [unrolled: 1-line block ×6, first 2 shown]
                                        ;       Child Loop BB4_9834 Depth 3
                                        ;         Child Loop BB4_9840 Depth 4
                                        ;         Child Loop BB4_9872 Depth 4
	;; [unrolled: 1-line block ×3, first 2 shown]
                                        ;     Child Loop BB4_9922 Depth 2
                                        ;       Child Loop BB4_9931 Depth 3
                                        ;       Child Loop BB4_9958 Depth 3
	;; [unrolled: 1-line block ×9, first 2 shown]
                                        ;     Child Loop BB4_10083 Depth 2
                                        ;       Child Loop BB4_10089 Depth 3
                                        ;       Child Loop BB4_10116 Depth 3
	;; [unrolled: 1-line block ×3, first 2 shown]
	v_sub_co_u32 v66, vcc_lo, v4, v54
	v_sub_co_ci_u32_e32 v67, vcc_lo, v5, v55, vcc_lo
	s_mov_b32 s37, exec_lo
	s_delay_alu instid0(VALU_DEP_1)
	v_cmpx_lt_i64_e64 v[66:67], v[52:53]
	s_cbranch_execz .LBB4_57
; %bb.52:                               ;   in Loop: Header=BB4_51 Depth=1
	v_add_co_u32 v2, vcc_lo, s22, v66
	v_add_co_ci_u32_e32 v10, vcc_lo, s23, v67, vcc_lo
	v_mov_b32_e32 v8, v3
	s_delay_alu instid0(VALU_DEP_2) | instskip(NEXT) | instid1(VALU_DEP_1)
	v_or_b32_e32 v9, s21, v10
	v_cmp_ne_u64_e32 vcc_lo, 0, v[8:9]
                                        ; implicit-def: $vgpr8_vgpr9
	s_and_saveexec_b32 s13, vcc_lo
	s_delay_alu instid0(SALU_CYCLE_1)
	s_xor_b32 s38, exec_lo, s13
	s_cbranch_execz .LBB4_54
; %bb.53:                               ;   in Loop: Header=BB4_51 Depth=1
	s_add_u32 s16, s19, s21
	s_mov_b32 s14, s21
	s_mov_b32 s15, s21
	s_addc_u32 s17, s21, s21
	s_delay_alu instid0(SALU_CYCLE_1) | instskip(NEXT) | instid1(SALU_CYCLE_1)
	s_xor_b64 s[16:17], s[16:17], s[14:15]
	v_cvt_f32_u32_e32 v8, s16
	v_cvt_f32_u32_e32 v9, s17
	s_sub_u32 s13, 0, s16
	s_subb_u32 s39, 0, s17
	s_delay_alu instid0(VALU_DEP_1) | instskip(NEXT) | instid1(VALU_DEP_1)
	v_fmac_f32_e32 v8, 0x4f800000, v9
	v_rcp_f32_e32 v8, v8
	s_waitcnt_depctr 0xfff
	v_mul_f32_e32 v8, 0x5f7ffffc, v8
	s_delay_alu instid0(VALU_DEP_1) | instskip(NEXT) | instid1(VALU_DEP_1)
	v_mul_f32_e32 v9, 0x2f800000, v8
	v_trunc_f32_e32 v9, v9
	s_delay_alu instid0(VALU_DEP_1) | instskip(SKIP_1) | instid1(VALU_DEP_2)
	v_fmac_f32_e32 v8, 0xcf800000, v9
	v_cvt_u32_f32_e32 v9, v9
	v_cvt_u32_f32_e32 v8, v8
	s_delay_alu instid0(VALU_DEP_2) | instskip(NEXT) | instid1(VALU_DEP_2)
	v_mul_lo_u32 v11, s13, v9
	v_mul_hi_u32 v12, s13, v8
	v_mul_lo_u32 v13, s39, v8
	s_delay_alu instid0(VALU_DEP_2) | instskip(SKIP_1) | instid1(VALU_DEP_2)
	v_add_nc_u32_e32 v11, v12, v11
	v_mul_lo_u32 v12, s13, v8
	v_add_nc_u32_e32 v11, v11, v13
	s_delay_alu instid0(VALU_DEP_2) | instskip(NEXT) | instid1(VALU_DEP_2)
	v_mul_hi_u32 v13, v8, v12
	v_mul_lo_u32 v14, v8, v11
	v_mul_hi_u32 v15, v8, v11
	s_waitcnt vmcnt(0) lgkmcnt(1)
	v_mul_hi_u32 v16, v9, v12
	v_mul_lo_u32 v12, v9, v12
	v_mul_hi_u32 v17, v9, v11
	v_mul_lo_u32 v11, v9, v11
	v_add_co_u32 v13, vcc_lo, v13, v14
	v_add_co_ci_u32_e32 v14, vcc_lo, 0, v15, vcc_lo
	s_delay_alu instid0(VALU_DEP_2) | instskip(NEXT) | instid1(VALU_DEP_2)
	v_add_co_u32 v12, vcc_lo, v13, v12
	v_add_co_ci_u32_e32 v12, vcc_lo, v14, v16, vcc_lo
	v_add_co_ci_u32_e32 v13, vcc_lo, 0, v17, vcc_lo
	v_ashrrev_i32_e32 v16, 31, v10
	s_delay_alu instid0(VALU_DEP_3) | instskip(NEXT) | instid1(VALU_DEP_3)
	v_add_co_u32 v11, vcc_lo, v12, v11
	v_add_co_ci_u32_e32 v12, vcc_lo, 0, v13, vcc_lo
	s_delay_alu instid0(VALU_DEP_2) | instskip(NEXT) | instid1(VALU_DEP_2)
	v_add_co_u32 v8, vcc_lo, v8, v11
	v_add_co_ci_u32_e32 v9, vcc_lo, v9, v12, vcc_lo
	s_delay_alu instid0(VALU_DEP_2) | instskip(SKIP_1) | instid1(VALU_DEP_3)
	v_mul_hi_u32 v11, s13, v8
	v_mul_lo_u32 v13, s39, v8
	v_mul_lo_u32 v12, s13, v9
	s_delay_alu instid0(VALU_DEP_1) | instskip(SKIP_1) | instid1(VALU_DEP_2)
	v_add_nc_u32_e32 v11, v11, v12
	v_mul_lo_u32 v12, s13, v8
	v_add_nc_u32_e32 v11, v11, v13
	s_delay_alu instid0(VALU_DEP_2) | instskip(NEXT) | instid1(VALU_DEP_2)
	v_mul_hi_u32 v13, v8, v12
	v_mul_lo_u32 v14, v8, v11
	v_mul_hi_u32 v15, v8, v11
	v_mul_hi_u32 v17, v9, v12
	v_mul_lo_u32 v12, v9, v12
	v_mul_hi_u32 v18, v9, v11
	v_mul_lo_u32 v11, v9, v11
	v_add_co_u32 v13, vcc_lo, v13, v14
	v_add_co_ci_u32_e32 v14, vcc_lo, 0, v15, vcc_lo
	s_delay_alu instid0(VALU_DEP_2) | instskip(NEXT) | instid1(VALU_DEP_2)
	v_add_co_u32 v12, vcc_lo, v13, v12
	v_add_co_ci_u32_e32 v12, vcc_lo, v14, v17, vcc_lo
	v_add_co_ci_u32_e32 v13, vcc_lo, 0, v18, vcc_lo
	v_add_co_u32 v2, vcc_lo, v2, v16
	v_add_co_ci_u32_e32 v10, vcc_lo, v10, v16, vcc_lo
	s_delay_alu instid0(VALU_DEP_4) | instskip(NEXT) | instid1(VALU_DEP_4)
	v_add_co_u32 v11, vcc_lo, v12, v11
	v_add_co_ci_u32_e32 v12, vcc_lo, 0, v13, vcc_lo
	s_delay_alu instid0(VALU_DEP_4) | instskip(NEXT) | instid1(VALU_DEP_3)
	v_xor_b32_e32 v2, v2, v16
	v_add_co_u32 v13, vcc_lo, v8, v11
	s_delay_alu instid0(VALU_DEP_3) | instskip(SKIP_1) | instid1(VALU_DEP_3)
	v_add_co_ci_u32_e32 v14, vcc_lo, v9, v12, vcc_lo
	v_xor_b32_e32 v15, v10, v16
	v_mul_hi_u32 v17, v2, v13
	s_delay_alu instid0(VALU_DEP_3) | instskip(NEXT) | instid1(VALU_DEP_3)
	v_mad_u64_u32 v[8:9], null, v2, v14, 0
	v_mad_u64_u32 v[10:11], null, v15, v13, 0
	;; [unrolled: 1-line block ×3, first 2 shown]
	s_delay_alu instid0(VALU_DEP_3) | instskip(NEXT) | instid1(VALU_DEP_4)
	v_add_co_u32 v8, vcc_lo, v17, v8
	v_add_co_ci_u32_e32 v9, vcc_lo, 0, v9, vcc_lo
	s_delay_alu instid0(VALU_DEP_2) | instskip(NEXT) | instid1(VALU_DEP_2)
	v_add_co_u32 v8, vcc_lo, v8, v10
	v_add_co_ci_u32_e32 v8, vcc_lo, v9, v11, vcc_lo
	v_add_co_ci_u32_e32 v9, vcc_lo, 0, v13, vcc_lo
	s_delay_alu instid0(VALU_DEP_2) | instskip(NEXT) | instid1(VALU_DEP_2)
	v_add_co_u32 v10, vcc_lo, v8, v12
	v_add_co_ci_u32_e32 v11, vcc_lo, 0, v9, vcc_lo
	s_delay_alu instid0(VALU_DEP_2) | instskip(SKIP_1) | instid1(VALU_DEP_3)
	v_mul_lo_u32 v12, s17, v10
	v_mad_u64_u32 v[8:9], null, s16, v10, 0
	v_mul_lo_u32 v13, s16, v11
	s_delay_alu instid0(VALU_DEP_2) | instskip(NEXT) | instid1(VALU_DEP_2)
	v_sub_co_u32 v2, vcc_lo, v2, v8
	v_add3_u32 v9, v9, v13, v12
	s_delay_alu instid0(VALU_DEP_1) | instskip(NEXT) | instid1(VALU_DEP_1)
	v_sub_nc_u32_e32 v12, v15, v9
	v_subrev_co_ci_u32_e64 v8, s13, s17, v12, vcc_lo
	v_add_co_u32 v12, s13, v10, 2
	s_delay_alu instid0(VALU_DEP_1) | instskip(SKIP_3) | instid1(VALU_DEP_3)
	v_add_co_ci_u32_e64 v13, s13, 0, v11, s13
	v_sub_co_u32 v14, s13, v2, s16
	v_sub_co_ci_u32_e32 v9, vcc_lo, v15, v9, vcc_lo
	v_subrev_co_ci_u32_e64 v8, s13, 0, v8, s13
	v_cmp_le_u32_e32 vcc_lo, s16, v14
	s_delay_alu instid0(VALU_DEP_3) | instskip(SKIP_1) | instid1(VALU_DEP_4)
	v_cmp_eq_u32_e64 s13, s17, v9
	v_cndmask_b32_e64 v14, 0, -1, vcc_lo
	v_cmp_le_u32_e32 vcc_lo, s17, v8
	v_cndmask_b32_e64 v15, 0, -1, vcc_lo
	v_cmp_le_u32_e32 vcc_lo, s16, v2
	;; [unrolled: 2-line block ×3, first 2 shown]
	v_cndmask_b32_e64 v17, 0, -1, vcc_lo
	v_cmp_eq_u32_e32 vcc_lo, s17, v8
	s_delay_alu instid0(VALU_DEP_2) | instskip(SKIP_3) | instid1(VALU_DEP_3)
	v_cndmask_b32_e64 v2, v17, v2, s13
	v_cndmask_b32_e32 v8, v15, v14, vcc_lo
	v_add_co_u32 v14, vcc_lo, v10, 1
	v_add_co_ci_u32_e32 v15, vcc_lo, 0, v11, vcc_lo
	v_cmp_ne_u32_e32 vcc_lo, 0, v8
	s_delay_alu instid0(VALU_DEP_2) | instskip(SKIP_2) | instid1(VALU_DEP_3)
	v_dual_cndmask_b32 v8, v15, v13 :: v_dual_cndmask_b32 v9, v14, v12
	v_cmp_ne_u32_e32 vcc_lo, 0, v2
	v_xor_b32_e32 v2, s14, v16
	v_dual_cndmask_b32 v8, v11, v8 :: v_dual_cndmask_b32 v9, v10, v9
	v_xor_b32_e32 v10, s15, v16
	s_delay_alu instid0(VALU_DEP_2) | instskip(NEXT) | instid1(VALU_DEP_2)
	v_xor_b32_e32 v9, v9, v2
	v_xor_b32_e32 v11, v8, v10
	s_delay_alu instid0(VALU_DEP_2) | instskip(NEXT) | instid1(VALU_DEP_2)
	v_sub_co_u32 v8, vcc_lo, v9, v2
	v_sub_co_ci_u32_e32 v9, vcc_lo, v11, v10, vcc_lo
                                        ; implicit-def: $vgpr2
.LBB4_54:                               ;   in Loop: Header=BB4_51 Depth=1
	s_and_not1_saveexec_b32 s13, s38
	s_cbranch_execz .LBB4_56
; %bb.55:                               ;   in Loop: Header=BB4_51 Depth=1
	v_cvt_f32_u32_e32 v8, s19
	s_delay_alu instid0(VALU_DEP_1) | instskip(SKIP_2) | instid1(VALU_DEP_1)
	v_rcp_iflag_f32_e32 v8, v8
	s_waitcnt_depctr 0xfff
	v_mul_f32_e32 v8, 0x4f7ffffe, v8
	v_cvt_u32_f32_e32 v8, v8
	s_delay_alu instid0(VALU_DEP_1) | instskip(NEXT) | instid1(VALU_DEP_1)
	v_mul_lo_u32 v9, s35, v8
	v_mul_hi_u32 v9, v8, v9
	s_delay_alu instid0(VALU_DEP_1) | instskip(NEXT) | instid1(VALU_DEP_1)
	v_add_nc_u32_e32 v8, v8, v9
	v_mul_hi_u32 v8, v2, v8
	s_delay_alu instid0(VALU_DEP_1) | instskip(NEXT) | instid1(VALU_DEP_1)
	v_mul_lo_u32 v9, v8, s19
	v_sub_nc_u32_e32 v2, v2, v9
	s_delay_alu instid0(VALU_DEP_1) | instskip(SKIP_1) | instid1(VALU_DEP_2)
	v_subrev_nc_u32_e32 v10, s19, v2
	v_cmp_le_u32_e32 vcc_lo, s19, v2
	v_dual_cndmask_b32 v2, v2, v10 :: v_dual_add_nc_u32 v9, 1, v8
	s_delay_alu instid0(VALU_DEP_1) | instskip(NEXT) | instid1(VALU_DEP_2)
	v_cndmask_b32_e32 v8, v8, v9, vcc_lo
	v_cmp_le_u32_e32 vcc_lo, s19, v2
	s_delay_alu instid0(VALU_DEP_2) | instskip(NEXT) | instid1(VALU_DEP_1)
	v_add_nc_u32_e32 v9, 1, v8
	v_cndmask_b32_e32 v2, v8, v9, vcc_lo
	s_delay_alu instid0(VALU_DEP_1)
	v_dual_mov_b32 v9, v3 :: v_dual_mov_b32 v8, v2
.LBB4_56:                               ;   in Loop: Header=BB4_51 Depth=1
	s_or_b32 exec_lo, exec_lo, s13
	s_delay_alu instid0(VALU_DEP_1) | instskip(NEXT) | instid1(VALU_DEP_2)
	v_add_co_u32 v2, vcc_lo, v8, 15
	v_add_co_ci_u32_e32 v65, vcc_lo, 0, v9, vcc_lo
	s_delay_alu instid0(VALU_DEP_2)
	v_and_b32_e32 v64, -16, v2
.LBB4_57:                               ;   in Loop: Header=BB4_51 Depth=1
	s_or_b32 exec_lo, exec_lo, s37
	s_delay_alu instid0(VALU_DEP_2) | instskip(NEXT) | instid1(VALU_DEP_2)
	v_mul_lo_u32 v2, v65, s26
	v_mul_lo_u32 v8, v64, s27
	v_mad_u64_u32 v[10:11], null, v64, s26, 0
	s_mov_b32 s16, 0
	v_mov_b32_e32 v17, 0
	s_delay_alu instid0(VALU_DEP_2) | instskip(NEXT) | instid1(VALU_DEP_3)
	v_add3_u32 v11, v11, v8, v2
	v_sub_co_u32 v8, vcc_lo, v66, v10
	s_delay_alu instid0(VALU_DEP_2) | instskip(NEXT) | instid1(VALU_DEP_1)
	v_sub_co_ci_u32_e32 v9, vcc_lo, v67, v11, vcc_lo
	v_cmp_lt_i64_e32 vcc_lo, v[64:65], v[8:9]
	v_cndmask_b32_e32 v8, v8, v64, vcc_lo
	v_add_co_u32 v135, vcc_lo, v54, v24
	v_add_co_ci_u32_e32 v144, vcc_lo, v55, v25, vcc_lo
	s_waitcnt vmcnt(0) lgkmcnt(1)
	s_delay_alu instid0(VALU_DEP_3) | instskip(NEXT) | instid1(VALU_DEP_1)
	v_max_i32_e32 v16, 0, v8
	v_add_nc_u32_e32 v2, 31, v16
	s_delay_alu instid0(VALU_DEP_1) | instskip(NEXT) | instid1(VALU_DEP_1)
	v_lshrrev_b32_e32 v2, 1, v2
	v_and_b32_e32 v9, 0x3ffffff0, v2
	v_cmp_lt_i32_e32 vcc_lo, 0, v8
	v_mov_b32_e32 v2, 0
	s_delay_alu instid0(VALU_DEP_3) | instskip(SKIP_1) | instid1(SALU_CYCLE_1)
	v_max_i32_e32 v8, s28, v9
	s_and_b32 s13, s30, vcc_lo
	s_and_saveexec_b32 s15, s13
	s_cbranch_execz .LBB4_220
; %bb.58:                               ;   in Loop: Header=BB4_51 Depth=1
	v_mov_b32_e32 v17, 0
	s_mov_b32 s37, 1
	s_mov_b32 s17, -1
.LBB4_59:                               ;   Parent Loop BB4_51 Depth=1
                                        ; =>  This Loop Header: Depth=2
                                        ;       Child Loop BB4_68 Depth 3
                                        ;       Child Loop BB4_95 Depth 3
	;; [unrolled: 1-line block ×9, first 2 shown]
	s_and_saveexec_b32 s13, s0
	s_cbranch_execz .LBB4_62
; %bb.60:                               ;   in Loop: Header=BB4_59 Depth=2
	s_cbranch_execz .LBB4_61
; %bb.10740:
	s_getpc_b64 s[48:49]
.Lpost_getpc147:
	s_add_u32 s48, s48, (.LBB4_10213-.Lpost_getpc147)&4294967295
	s_addc_u32 s49, s49, (.LBB4_10213-.Lpost_getpc147)>>32
	s_setpc_b64 s[48:49]
.LBB4_61:                               ;   in Loop: Header=BB4_59 Depth=2
	ds_load_b64 v[12:13], v0
	s_waitcnt lgkmcnt(0)
	v_add_co_u32 v2, vcc_lo, v12, v135
	v_add_co_ci_u32_e32 v9, vcc_lo, v13, v144, vcc_lo
	v_ashrrev_i32_e32 v13, 31, v17
	s_delay_alu instid0(VALU_DEP_3) | instskip(NEXT) | instid1(VALU_DEP_3)
	v_add_co_u32 v2, vcc_lo, v2, v10
	v_add_co_ci_u32_e32 v9, vcc_lo, v9, v11, vcc_lo
	s_delay_alu instid0(VALU_DEP_2) | instskip(NEXT) | instid1(VALU_DEP_2)
	v_add_co_u32 v12, vcc_lo, v2, v17
	v_add_co_ci_u32_e32 v13, vcc_lo, v9, v13, vcc_lo
	v_mov_b32_e32 v2, v3
	ds_store_b64 v0, v[12:13]
	ds_store_b64 v0, v[2:3]
.LBB4_62:                               ;   in Loop: Header=BB4_59 Depth=2
	s_or_b32 exec_lo, exec_lo, s13
	v_and_b32_e32 v2, 8, v30
	s_mov_b32 s14, -1
	s_mov_b32 s13, exec_lo
	s_delay_alu instid0(VALU_DEP_1)
	v_cmpx_ne_u32_e32 0, v2
	s_cbranch_execz .LBB4_76
; %bb.63:                               ;   in Loop: Header=BB4_59 Depth=2
	v_add_co_u32 v14, vcc_lo, v50, 8
	v_add_co_ci_u32_e32 v15, vcc_lo, 0, v51, vcc_lo
	v_add_co_u32 v12, vcc_lo, v34, 2
	v_add_co_ci_u32_e32 v13, vcc_lo, 0, v35, vcc_lo
	v_mov_b32_e32 v2, 1
	s_mov_b32 s14, exec_lo
	s_delay_alu instid0(VALU_DEP_2)
	v_cmpx_lt_u64_e64 v[14:15], v[12:13]
	s_cbranch_execz .LBB4_75
; %bb.64:                               ;   in Loop: Header=BB4_59 Depth=2
	v_mov_b32_e32 v2, 0
	s_mov_b32 s38, 0
                                        ; implicit-def: $sgpr39
	s_branch .LBB4_68
.LBB4_65:                               ;   in Loop: Header=BB4_68 Depth=3
	s_or_b32 exec_lo, exec_lo, s43
	v_mov_b32_e32 v9, 0
	s_or_not1_b32 s42, s42, exec_lo
.LBB4_66:                               ;   in Loop: Header=BB4_68 Depth=3
	s_or_b32 exec_lo, exec_lo, s41
	s_delay_alu instid0(VALU_DEP_1) | instskip(SKIP_2) | instid1(SALU_CYCLE_1)
	v_mov_b32_e32 v2, v9
	s_and_not1_b32 vcc_lo, s39, exec_lo
	s_and_b32 s39, s42, exec_lo
	s_or_b32 s39, vcc_lo, s39
.LBB4_67:                               ;   in Loop: Header=BB4_68 Depth=3
	s_or_b32 exec_lo, exec_lo, s40
	s_waitcnt vmcnt(0) lgkmcnt(0)
	v_add_co_u32 v14, vcc_lo, v50, 8
	v_add_co_ci_u32_e32 v15, vcc_lo, 0, v51, vcc_lo
	s_xor_b32 s40, s39, -1
	s_delay_alu instid0(VALU_DEP_1) | instskip(SKIP_1) | instid1(SALU_CYCLE_1)
	v_cmp_ge_u64_e32 vcc_lo, v[14:15], v[12:13]
	s_or_b32 vcc_lo, s40, vcc_lo
	s_and_b32 vcc_lo, exec_lo, vcc_lo
	s_delay_alu instid0(SALU_CYCLE_1) | instskip(NEXT) | instid1(SALU_CYCLE_1)
	s_or_b32 s38, vcc_lo, s38
	s_and_not1_b32 exec_lo, exec_lo, s38
	s_cbranch_execz .LBB4_74
.LBB4_68:                               ;   Parent Loop BB4_51 Depth=1
                                        ;     Parent Loop BB4_59 Depth=2
                                        ; =>    This Inner Loop Header: Depth=3
	s_sleep 1
	flat_load_b64 v[50:51], v[32:33] glc
	v_and_b32_e32 v9, 64, v30
	s_and_not1_b32 s39, s39, exec_lo
	s_mov_b32 s40, exec_lo
	s_delay_alu instid0(VALU_DEP_1)
	v_cmpx_eq_u32_e32 0, v9
	s_cbranch_execz .LBB4_67
; %bb.69:                               ;   in Loop: Header=BB4_68 Depth=3
	v_add_nc_u32_e32 v9, 1, v2
	s_mov_b32 s42, -1
	s_mov_b32 s41, exec_lo
	v_cmpx_lt_i32_e32 0x270e, v2
	s_cbranch_execz .LBB4_66
; %bb.70:                               ;   in Loop: Header=BB4_68 Depth=3
	s_cbranch_execz .LBB4_71
; %bb.10742:
	s_getpc_b64 s[48:49]
.Lpost_getpc148:
	s_add_u32 s48, s48, (.LBB4_10235-.Lpost_getpc148)&4294967295
	s_addc_u32 s49, s49, (.LBB4_10235-.Lpost_getpc148)>>32
	s_setpc_b64 s[48:49]
.LBB4_71:                               ;   in Loop: Header=BB4_68 Depth=3
	ds_load_b64 v[14:15], v0
	s_mov_b32 s43, exec_lo
	s_waitcnt vmcnt(0) lgkmcnt(0)
	s_waitcnt_vscnt null, 0x0
	flat_load_b32 v2, v[14:15] glc
	s_waitcnt vmcnt(0) lgkmcnt(0)
	buffer_gl1_inv
	buffer_gl0_inv
	v_cmpx_ne_u32_e32 0, v2
	s_cbranch_execz .LBB4_65
; %bb.72:                               ;   in Loop: Header=BB4_68 Depth=3
	ds_store_b32 v0, v2
	s_cbranch_execz .LBB4_73
; %bb.10744:
	s_getpc_b64 s[48:49]
.Lpost_getpc149:
	s_add_u32 s48, s48, (.LBB4_10254-.Lpost_getpc149)&4294967295
	s_addc_u32 s49, s49, (.LBB4_10254-.Lpost_getpc149)>>32
	s_setpc_b64 s[48:49]
.LBB4_73:                               ;   in Loop: Header=BB4_68 Depth=3
	v_or_b32_e32 v30, 64, v30
	s_xor_b32 s42, exec_lo, -1
	s_branch .LBB4_65
.LBB4_74:                               ;   in Loop: Header=BB4_59 Depth=2
	s_or_b32 exec_lo, exec_lo, s38
	v_and_b32_e32 v2, 8, v30
.LBB4_75:                               ;   in Loop: Header=BB4_59 Depth=2
	s_or_b32 exec_lo, exec_lo, s14
	s_delay_alu instid0(VALU_DEP_1)
	v_cmp_eq_u32_e32 vcc_lo, 0, v2
	;;#ASMSTART
	s_wakeup
	;;#ASMEND
	s_or_not1_b32 s14, vcc_lo, exec_lo
.LBB4_76:                               ;   in Loop: Header=BB4_59 Depth=2
	s_or_b32 exec_lo, exec_lo, s13
	v_sub_nc_u32_e32 v2, v16, v17
	s_xor_b32 s13, s14, -1
	s_delay_alu instid0(VALU_DEP_1)
	v_min_i32_e32 v8, v8, v2
	s_and_saveexec_b32 s14, s13
	s_cbranch_execz .LBB4_86
; %bb.77:                               ;   in Loop: Header=BB4_59 Depth=2
	v_and_b32_e32 v2, 0x100, v30
	s_mov_b32 s13, -1
                                        ; implicit-def: $vgpr12_vgpr13
	s_delay_alu instid0(VALU_DEP_1)
	v_cmp_ne_u32_e32 vcc_lo, 0, v2
	v_and_b32_e32 v2, 7, v34
	s_and_saveexec_b32 s38, vcc_lo
	s_cbranch_execz .LBB4_81
; %bb.78:                               ;   in Loop: Header=BB4_59 Depth=2
	s_delay_alu instid0(VALU_DEP_1)
	v_mad_u64_u32 v[14:15], null, v2, 24, v[6:7]
	v_ashrrev_i32_e32 v9, 31, v8
	flat_load_b32 v12, v[14:15]
	flat_store_b64 v[14:15], v[8:9] offset:8
	s_waitcnt vmcnt(0) lgkmcnt(1)
	v_cmp_ne_u32_e32 vcc_lo, 1, v12
	v_cmp_eq_u32_e64 s13, 1, v12
                                        ; implicit-def: $vgpr12_vgpr13
	s_delay_alu instid0(VALU_DEP_1)
	s_and_saveexec_b32 s39, s13
	s_cbranch_execz .LBB4_80
; %bb.79:                               ;   in Loop: Header=BB4_59 Depth=2
	flat_load_b32 v12, v[14:15] offset:4 glc
	s_waitcnt vmcnt(0) lgkmcnt(0)
	v_ashrrev_i32_e32 v13, 31, v12
.LBB4_80:                               ;   in Loop: Header=BB4_59 Depth=2
	s_or_b32 exec_lo, exec_lo, s39
	s_delay_alu instid0(SALU_CYCLE_1)
	s_or_not1_b32 s13, vcc_lo, exec_lo
.LBB4_81:                               ;   in Loop: Header=BB4_59 Depth=2
	s_or_b32 exec_lo, exec_lo, s38
	s_and_saveexec_b32 vcc_lo, s13
; %bb.82:                               ;   in Loop: Header=BB4_59 Depth=2
	v_mad_i64_i32 v[12:13], null, v2, v86, 0
; %bb.83:                               ;   in Loop: Header=BB4_59 Depth=2
	s_or_b32 exec_lo, exec_lo, vcc_lo
	s_delay_alu instid0(VALU_DEP_1) | instskip(SKIP_1) | instid1(VALU_DEP_3)
	v_add_co_u32 v12, vcc_lo, v36, v12
	v_and_b32_e32 v2, 0x2000, v30
	v_add_co_ci_u32_e32 v13, vcc_lo, v37, v13, vcc_lo
	s_mov_b32 s13, exec_lo
	ds_store_b64 v0, v[12:13] offset:784
	v_cmpx_ne_u32_e32 0, v2
	s_cbranch_execz .LBB4_85
; %bb.84:                               ;   in Loop: Header=BB4_59 Depth=2
	ds_load_b64 v[12:13], v0 offset:584
	s_waitcnt lgkmcnt(0)
	v_add_co_u32 v12, vcc_lo, v12, 1
	v_add_co_ci_u32_e32 v13, vcc_lo, 0, v13, vcc_lo
	ds_store_b64 v0, v[12:13] offset:584
.LBB4_85:                               ;   in Loop: Header=BB4_59 Depth=2
	s_or_b32 exec_lo, exec_lo, s13
	v_add_co_u32 v34, vcc_lo, v34, 2
	v_add_co_ci_u32_e32 v35, vcc_lo, 0, v35, vcc_lo
.LBB4_86:                               ;   in Loop: Header=BB4_59 Depth=2
	s_or_b32 exec_lo, exec_lo, s14
	s_and_saveexec_b32 s13, s3
	s_cbranch_execz .LBB4_108
; %bb.87:                               ;   in Loop: Header=BB4_59 Depth=2
	s_and_saveexec_b32 s14, s4
	s_delay_alu instid0(SALU_CYCLE_1)
	s_xor_b32 s14, exec_lo, s14
	s_cbranch_execz .LBB4_105
; %bb.88:                               ;   in Loop: Header=BB4_59 Depth=2
	s_and_saveexec_b32 s38, s1
	s_cbranch_execz .LBB4_104
; %bb.89:                               ;   in Loop: Header=BB4_59 Depth=2
	s_mov_b32 s40, exec_lo
	s_mov_b32 s39, exec_lo
	v_mbcnt_lo_u32_b32 v2, s40, 0
	s_waitcnt lgkmcnt(0)
	s_waitcnt_vscnt null, 0x0
	buffer_gl1_inv
	buffer_gl0_inv
	v_cmpx_eq_u32_e32 0, v2
	s_cbranch_execz .LBB4_91
; %bb.90:                               ;   in Loop: Header=BB4_59 Depth=2
	s_bcnt1_i32_b32 vcc_lo, s40
	s_delay_alu instid0(SALU_CYCLE_1)
	v_mov_b32_e32 v2, vcc_lo
	ds_add_u64 v0, v[2:3]
	s_cbranch_execz .LBB4_91
; %bb.10746:
	s_getpc_b64 s[48:49]
.Lpost_getpc150:
	s_add_u32 s48, s48, (.LBB4_10280-.Lpost_getpc150)&4294967295
	s_addc_u32 s49, s49, (.LBB4_10280-.Lpost_getpc150)>>32
	s_setpc_b64 s[48:49]
.LBB4_91:                               ;   in Loop: Header=BB4_59 Depth=2
	s_or_b32 exec_lo, exec_lo, s39
	s_cbranch_execz .LBB4_92
; %bb.10748:
	s_getpc_b64 s[48:49]
.Lpost_getpc151:
	s_add_u32 s48, s48, (.LBB4_10260-.Lpost_getpc151)&4294967295
	s_addc_u32 s49, s49, (.LBB4_10260-.Lpost_getpc151)>>32
	s_setpc_b64 s[48:49]
.LBB4_92:                               ;   in Loop: Header=BB4_59 Depth=2
	ds_load_b64 v[12:13], v0
	v_add_co_u32 v48, vcc_lo, v48, v97
	v_add_co_ci_u32_e32 v49, vcc_lo, 0, v49, vcc_lo
	s_mov_b32 s39, exec_lo
	s_waitcnt lgkmcnt(0)
	s_delay_alu instid0(VALU_DEP_1)
	v_cmpx_lt_u64_e64 v[12:13], v[48:49]
	s_cbranch_execz .LBB4_103
; %bb.93:                               ;   in Loop: Header=BB4_59 Depth=2
	s_mov_b32 s40, 0
	s_mov_b32 s43, 0
                                        ; implicit-def: $sgpr41
                                        ; implicit-def: $sgpr42
	s_branch .LBB4_95
.LBB4_94:                               ;   in Loop: Header=BB4_95 Depth=3
	s_or_b32 exec_lo, exec_lo, s45
	s_delay_alu instid0(SALU_CYCLE_1) | instskip(NEXT) | instid1(SALU_CYCLE_1)
	s_and_b32 vcc_lo, exec_lo, vcc_lo
	s_or_b32 s40, vcc_lo, s40
	s_and_not1_b32 vcc_lo, s41, exec_lo
	s_and_b32 s41, s42, exec_lo
	s_delay_alu instid0(SALU_CYCLE_1)
	s_or_b32 s41, vcc_lo, s41
	s_and_not1_b32 exec_lo, exec_lo, s40
	s_cbranch_execz .LBB4_101
.LBB4_95:                               ;   Parent Loop BB4_51 Depth=1
                                        ;     Parent Loop BB4_59 Depth=2
                                        ; =>    This Inner Loop Header: Depth=3
	s_add_i32 s43, s43, 1
                                        ; implicit-def: $sgpr45
	s_delay_alu instid0(SALU_CYCLE_1) | instskip(SKIP_1) | instid1(SALU_CYCLE_1)
	s_cmpk_lg_i32 s43, 0x2710
	s_cselect_b32 s44, -1, 0
	s_and_b32 vcc_lo, exec_lo, s44
	s_cbranch_vccz .LBB4_99
.LBB4_96:                               ;   in Loop: Header=BB4_95 Depth=3
	s_and_not1_b32 s42, s42, exec_lo
	s_and_b32 s45, s45, exec_lo
	s_mov_b32 vcc_lo, -1
	s_or_b32 s42, s42, s45
	s_and_saveexec_b32 s45, s44
	s_cbranch_execz .LBB4_94
; %bb.97:                               ;   in Loop: Header=BB4_95 Depth=3
	s_sleep 1
	s_cbranch_execz .LBB4_98
; %bb.10750:
	s_getpc_b64 s[48:49]
.Lpost_getpc152:
	s_add_u32 s48, s48, (.LBB4_10308-.Lpost_getpc152)&4294967295
	s_addc_u32 s49, s49, (.LBB4_10308-.Lpost_getpc152)>>32
	s_setpc_b64 s[48:49]
.LBB4_98:                               ;   in Loop: Header=BB4_95 Depth=3
	ds_load_b64 v[12:13], v0
	s_and_not1_b32 s42, s42, exec_lo
	s_waitcnt lgkmcnt(0)
	v_cmp_ge_u64_e32 vcc_lo, v[12:13], v[48:49]
	s_or_not1_b32 vcc_lo, vcc_lo, exec_lo
	s_branch .LBB4_94
.LBB4_99:                               ;   in Loop: Header=BB4_95 Depth=3
	s_cbranch_execz .LBB4_100
; %bb.10752:
	s_getpc_b64 s[48:49]
.Lpost_getpc153:
	s_add_u32 s48, s48, (.LBB4_10314-.Lpost_getpc153)&4294967295
	s_addc_u32 s49, s49, (.LBB4_10314-.Lpost_getpc153)>>32
	s_setpc_b64 s[48:49]
.LBB4_100:                              ;   in Loop: Header=BB4_95 Depth=3
	ds_load_b64 v[12:13], v0
	s_and_not1_b32 s44, s44, exec_lo
	s_mov_b32 s43, 0
	s_mov_b32 s45, -1
	s_waitcnt lgkmcnt(0)
	flat_load_b32 v2, v[12:13] glc
	s_waitcnt vmcnt(0) lgkmcnt(0)
	buffer_gl1_inv
	buffer_gl0_inv
	v_cmp_eq_u32_e32 vcc_lo, 0, v2
	s_and_b32 vcc_lo, vcc_lo, exec_lo
	s_delay_alu instid0(SALU_CYCLE_1)
	s_or_b32 s44, s44, vcc_lo
	s_branch .LBB4_96
.LBB4_101:                              ;   in Loop: Header=BB4_59 Depth=2
	s_or_b32 exec_lo, exec_lo, s40
	s_and_saveexec_b32 vcc_lo, s41
	s_delay_alu instid0(SALU_CYCLE_1)
	s_xor_b32 vcc_lo, exec_lo, vcc_lo
	s_cbranch_execz .LBB4_103
; %bb.102:                              ;   in Loop: Header=BB4_59 Depth=2
	ds_store_b32 v0, v134
	s_cbranch_execz .LBB4_103
; %bb.10754:
	s_getpc_b64 s[48:49]
.Lpost_getpc154:
	s_add_u32 s48, s48, (.LBB4_10524-.Lpost_getpc154)&4294967295
	s_addc_u32 s49, s49, (.LBB4_10524-.Lpost_getpc154)>>32
	s_setpc_b64 s[48:49]
.LBB4_103:                              ;   in Loop: Header=BB4_59 Depth=2
	s_or_b32 exec_lo, exec_lo, s39
	;;#ASMSTART
	s_wakeup
	;;#ASMEND
.LBB4_104:                              ;   in Loop: Header=BB4_59 Depth=2
	s_or_b32 exec_lo, exec_lo, s38
.LBB4_105:                              ;   in Loop: Header=BB4_59 Depth=2
	s_and_not1_saveexec_b32 s14, s14
	s_cbranch_execz .LBB4_107
; %bb.106:                              ;   in Loop: Header=BB4_59 Depth=2
	s_waitcnt lgkmcnt(0)
	s_waitcnt_vscnt null, 0x0
	buffer_gl1_inv
	buffer_gl0_inv
	s_barrier
.LBB4_107:                              ;   in Loop: Header=BB4_59 Depth=2
	s_or_b32 exec_lo, exec_lo, s14
.LBB4_108:                              ;   in Loop: Header=BB4_59 Depth=2
	s_delay_alu instid0(SALU_CYCLE_1)
	s_or_b32 exec_lo, exec_lo, s13
	s_cbranch_execz .LBB4_109
; %bb.10756:
	s_getpc_b64 s[48:49]
.Lpost_getpc155:
	s_add_u32 s48, s48, (.LBB4_10211-.Lpost_getpc155)&4294967295
	s_addc_u32 s49, s49, (.LBB4_10211-.Lpost_getpc155)>>32
	s_setpc_b64 s[48:49]
.LBB4_109:                              ;   in Loop: Header=BB4_59 Depth=2
	ds_load_b32 v12, v0
	v_and_b32_e32 v2, 0x4000, v30
	s_xor_b32 s13, s2, -1
	s_delay_alu instid0(VALU_DEP_1) | instskip(SKIP_1) | instid1(SALU_CYCLE_1)
	v_cmp_ne_u32_e32 vcc_lo, 0, v2
	s_and_b32 s14, s13, vcc_lo
	s_and_saveexec_b32 s13, s14
	s_cbranch_execz .LBB4_131
; %bb.110:                              ;   in Loop: Header=BB4_59 Depth=2
	s_and_saveexec_b32 s14, s4
	s_delay_alu instid0(SALU_CYCLE_1)
	s_xor_b32 s14, exec_lo, s14
	s_cbranch_execz .LBB4_128
; %bb.111:                              ;   in Loop: Header=BB4_59 Depth=2
	s_and_saveexec_b32 s38, s1
	s_cbranch_execz .LBB4_127
; %bb.112:                              ;   in Loop: Header=BB4_59 Depth=2
	s_mov_b32 s40, exec_lo
	s_mov_b32 s39, exec_lo
	v_mbcnt_lo_u32_b32 v2, s40, 0
	s_waitcnt lgkmcnt(0)
	s_waitcnt_vscnt null, 0x0
	buffer_gl1_inv
	buffer_gl0_inv
	v_cmpx_eq_u32_e32 0, v2
	s_cbranch_execz .LBB4_114
; %bb.113:                              ;   in Loop: Header=BB4_59 Depth=2
	s_bcnt1_i32_b32 vcc_lo, s40
	s_delay_alu instid0(SALU_CYCLE_1)
	v_mov_b32_e32 v2, vcc_lo
	ds_add_u64 v0, v[2:3]
	s_cbranch_execz .LBB4_114
; %bb.10758:
	s_getpc_b64 s[48:49]
.Lpost_getpc156:
	s_add_u32 s48, s48, (.LBB4_10306-.Lpost_getpc156)&4294967295
	s_addc_u32 s49, s49, (.LBB4_10306-.Lpost_getpc156)>>32
	s_setpc_b64 s[48:49]
.LBB4_114:                              ;   in Loop: Header=BB4_59 Depth=2
	s_or_b32 exec_lo, exec_lo, s39
	s_cbranch_execz .LBB4_115
; %bb.10760:
	s_getpc_b64 s[48:49]
.Lpost_getpc157:
	s_add_u32 s48, s48, (.LBB4_10294-.Lpost_getpc157)&4294967295
	s_addc_u32 s49, s49, (.LBB4_10294-.Lpost_getpc157)>>32
	s_setpc_b64 s[48:49]
.LBB4_115:                              ;   in Loop: Header=BB4_59 Depth=2
	ds_load_b64 v[13:14], v0
	v_add_co_u32 v48, vcc_lo, v48, v97
	v_add_co_ci_u32_e32 v49, vcc_lo, 0, v49, vcc_lo
	s_mov_b32 s39, exec_lo
	s_waitcnt lgkmcnt(0)
	s_delay_alu instid0(VALU_DEP_1)
	v_cmpx_lt_u64_e64 v[13:14], v[48:49]
	s_cbranch_execz .LBB4_126
; %bb.116:                              ;   in Loop: Header=BB4_59 Depth=2
	s_mov_b32 s40, 0
	s_mov_b32 s43, 0
                                        ; implicit-def: $sgpr41
                                        ; implicit-def: $sgpr42
	s_branch .LBB4_118
.LBB4_117:                              ;   in Loop: Header=BB4_118 Depth=3
	s_or_b32 exec_lo, exec_lo, s45
	s_delay_alu instid0(SALU_CYCLE_1) | instskip(NEXT) | instid1(SALU_CYCLE_1)
	s_and_b32 vcc_lo, exec_lo, vcc_lo
	s_or_b32 s40, vcc_lo, s40
	s_and_not1_b32 vcc_lo, s41, exec_lo
	s_and_b32 s41, s42, exec_lo
	s_delay_alu instid0(SALU_CYCLE_1)
	s_or_b32 s41, vcc_lo, s41
	s_and_not1_b32 exec_lo, exec_lo, s40
	s_cbranch_execz .LBB4_124
.LBB4_118:                              ;   Parent Loop BB4_51 Depth=1
                                        ;     Parent Loop BB4_59 Depth=2
                                        ; =>    This Inner Loop Header: Depth=3
	s_add_i32 s43, s43, 1
                                        ; implicit-def: $sgpr45
	s_delay_alu instid0(SALU_CYCLE_1) | instskip(SKIP_1) | instid1(SALU_CYCLE_1)
	s_cmpk_lg_i32 s43, 0x2710
	s_cselect_b32 s44, -1, 0
	s_and_b32 vcc_lo, exec_lo, s44
	s_cbranch_vccz .LBB4_122
.LBB4_119:                              ;   in Loop: Header=BB4_118 Depth=3
	s_and_not1_b32 s42, s42, exec_lo
	s_and_b32 s45, s45, exec_lo
	s_mov_b32 vcc_lo, -1
	s_or_b32 s42, s42, s45
	s_and_saveexec_b32 s45, s44
	s_cbranch_execz .LBB4_117
; %bb.120:                              ;   in Loop: Header=BB4_118 Depth=3
	s_sleep 1
	s_cbranch_execz .LBB4_121
; %bb.10762:
	s_getpc_b64 s[48:49]
.Lpost_getpc158:
	s_add_u32 s48, s48, (.LBB4_10348-.Lpost_getpc158)&4294967295
	s_addc_u32 s49, s49, (.LBB4_10348-.Lpost_getpc158)>>32
	s_setpc_b64 s[48:49]
.LBB4_121:                              ;   in Loop: Header=BB4_118 Depth=3
	ds_load_b64 v[13:14], v0
	s_and_not1_b32 s42, s42, exec_lo
	s_waitcnt lgkmcnt(0)
	v_cmp_ge_u64_e32 vcc_lo, v[13:14], v[48:49]
	s_or_not1_b32 vcc_lo, vcc_lo, exec_lo
	s_branch .LBB4_117
.LBB4_122:                              ;   in Loop: Header=BB4_118 Depth=3
	s_cbranch_execz .LBB4_123
; %bb.10764:
	s_getpc_b64 s[48:49]
.Lpost_getpc159:
	s_add_u32 s48, s48, (.LBB4_10366-.Lpost_getpc159)&4294967295
	s_addc_u32 s49, s49, (.LBB4_10366-.Lpost_getpc159)>>32
	s_setpc_b64 s[48:49]
.LBB4_123:                              ;   in Loop: Header=BB4_118 Depth=3
	ds_load_b64 v[13:14], v0
	s_and_not1_b32 s44, s44, exec_lo
	s_mov_b32 s43, 0
	s_mov_b32 s45, -1
	s_waitcnt lgkmcnt(0)
	flat_load_b32 v2, v[13:14] glc
	s_waitcnt vmcnt(0) lgkmcnt(0)
	buffer_gl1_inv
	buffer_gl0_inv
	v_cmp_eq_u32_e32 vcc_lo, 0, v2
	s_and_b32 vcc_lo, vcc_lo, exec_lo
	s_delay_alu instid0(SALU_CYCLE_1)
	s_or_b32 s44, s44, vcc_lo
	s_branch .LBB4_119
.LBB4_124:                              ;   in Loop: Header=BB4_59 Depth=2
	s_or_b32 exec_lo, exec_lo, s40
	s_and_saveexec_b32 vcc_lo, s41
	s_delay_alu instid0(SALU_CYCLE_1)
	s_xor_b32 vcc_lo, exec_lo, vcc_lo
	s_cbranch_execz .LBB4_126
; %bb.125:                              ;   in Loop: Header=BB4_59 Depth=2
	ds_store_b32 v0, v134
	s_cbranch_execz .LBB4_126
; %bb.10766:
	s_getpc_b64 s[48:49]
.Lpost_getpc160:
	s_add_u32 s48, s48, (.LBB4_10578-.Lpost_getpc160)&4294967295
	s_addc_u32 s49, s49, (.LBB4_10578-.Lpost_getpc160)>>32
	s_setpc_b64 s[48:49]
.LBB4_126:                              ;   in Loop: Header=BB4_59 Depth=2
	s_or_b32 exec_lo, exec_lo, s39
	;;#ASMSTART
	s_wakeup
	;;#ASMEND
.LBB4_127:                              ;   in Loop: Header=BB4_59 Depth=2
	s_or_b32 exec_lo, exec_lo, s38
.LBB4_128:                              ;   in Loop: Header=BB4_59 Depth=2
	s_and_not1_saveexec_b32 s14, s14
	s_cbranch_execz .LBB4_130
; %bb.129:                              ;   in Loop: Header=BB4_59 Depth=2
	s_waitcnt lgkmcnt(0)
	s_waitcnt_vscnt null, 0x0
	buffer_gl1_inv
	buffer_gl0_inv
	s_barrier
.LBB4_130:                              ;   in Loop: Header=BB4_59 Depth=2
	s_or_b32 exec_lo, exec_lo, s14
.LBB4_131:                              ;   in Loop: Header=BB4_59 Depth=2
	s_delay_alu instid0(SALU_CYCLE_1)
	s_or_b32 exec_lo, exec_lo, s13
	s_cbranch_execz .LBB4_132
; %bb.10768:
	s_getpc_b64 s[48:49]
.Lpost_getpc161:
	s_add_u32 s48, s48, (.LBB4_10237-.Lpost_getpc161)&4294967295
	s_addc_u32 s49, s49, (.LBB4_10237-.Lpost_getpc161)>>32
	s_setpc_b64 s[48:49]
.LBB4_132:                              ;   in Loop: Header=BB4_59 Depth=2
	ds_load_b64 v[13:14], v0
	v_mov_b32_e32 v9, 0
	s_waitcnt lgkmcnt(0)
	v_cmp_eq_u64_e32 vcc_lo, 0, v[13:14]
	s_or_b32 s13, vcc_lo, vcc_lo
	s_delay_alu instid0(SALU_CYCLE_1)
	s_and_b32 vcc_lo, exec_lo, s13
	s_cbranch_vccnz .LBB4_166
; %bb.133:                              ;   in Loop: Header=BB4_59 Depth=2
	s_mov_b32 s13, -1
	s_and_saveexec_b32 s14, s5
	s_cbranch_execz .LBB4_135
; %bb.134:                              ;   in Loop: Header=BB4_59 Depth=2
	ds_load_b32 v2, v0 offset:720
	s_waitcnt lgkmcnt(0)
	v_and_b32_e32 v2, 15, v2
	s_delay_alu instid0(VALU_DEP_1)
	v_cmp_eq_u32_e32 vcc_lo, 0, v2
	s_or_not1_b32 s13, vcc_lo, exec_lo
.LBB4_135:                              ;   in Loop: Header=BB4_59 Depth=2
	s_or_b32 exec_lo, exec_lo, s14
	s_and_saveexec_b32 s14, s6
	s_cbranch_execz .LBB4_137
; %bb.136:                              ;   in Loop: Header=BB4_59 Depth=2
	ds_load_b32 v2, v0 offset:784
	s_waitcnt lgkmcnt(0)
	v_and_b32_e32 v2, 15, v2
	s_delay_alu instid0(VALU_DEP_1) | instskip(SKIP_3) | instid1(SALU_CYCLE_1)
	v_cmp_eq_u32_e32 vcc_lo, 0, v2
	s_and_b32 vcc_lo, s13, vcc_lo
	s_and_not1_b32 s13, s13, exec_lo
	s_and_b32 vcc_lo, vcc_lo, exec_lo
	s_or_b32 s13, s13, vcc_lo
.LBB4_137:                              ;   in Loop: Header=BB4_59 Depth=2
	s_or_b32 exec_lo, exec_lo, s14
	v_cmp_eq_u32_e32 vcc_lo, 0, v12
	s_xor_b32 s13, s13, -1
	v_mov_b32_e32 v22, v99
	v_cndmask_b32_e64 v2, 0, 1, s13
	;;#ASMSTART
	;;#ASMEND
	v_cndmask_b32_e32 v9, 0, v8, vcc_lo
	s_delay_alu instid0(VALU_DEP_2) | instskip(SKIP_2) | instid1(VALU_DEP_3)
	v_cmp_ne_u32_e32 vcc_lo, 0, v2
	v_mov_b32_e32 v2, 0
	s_mov_b32 s13, -1
	v_dual_mov_b32 v19, v0 :: v_dual_mov_b32 v18, v9
	s_cbranch_vccnz .LBB4_153
; %bb.138:                              ;   in Loop: Header=BB4_59 Depth=2
	v_ashrrev_i32_e32 v2, 31, v9
	s_mov_b32 s14, exec_lo
	s_delay_alu instid0(VALU_DEP_1) | instskip(NEXT) | instid1(VALU_DEP_1)
	v_lshrrev_b32_e32 v2, 21, v2
	v_add_nc_u32_e32 v2, v9, v2
	s_delay_alu instid0(VALU_DEP_1) | instskip(NEXT) | instid1(VALU_DEP_1)
	v_ashrrev_i32_e32 v2, 11, v2
	v_sub_nc_u32_e32 v20, v2, v99
	s_delay_alu instid0(VALU_DEP_1)
	v_cmpx_lt_i32_e32 0, v20
	s_cbranch_execz .LBB4_143
; %bb.139:                              ;   in Loop: Header=BB4_59 Depth=2
	s_cbranch_execz .LBB4_140
; %bb.10770:
	s_getpc_b64 s[48:49]
.Lpost_getpc162:
	s_add_u32 s48, s48, (.LBB4_10318-.Lpost_getpc162)&4294967295
	s_addc_u32 s49, s49, (.LBB4_10318-.Lpost_getpc162)>>32
	s_setpc_b64 s[48:49]
.LBB4_140:                              ;   in Loop: Header=BB4_59 Depth=2
	ds_load_b64 v[12:13], v0
	s_mov_b32 s38, 0
	s_waitcnt lgkmcnt(0)
	v_dual_mov_b32 v15, v13 :: v_dual_mov_b32 v14, v12
	s_set_inst_prefetch_distance 0x1
.LBB4_141:                              ;   Parent Loop BB4_51 Depth=1
                                        ;     Parent Loop BB4_59 Depth=2
                                        ; =>    This Inner Loop Header: Depth=3
	s_delay_alu instid0(VALU_DEP_1) | instskip(NEXT) | instid1(VALU_DEP_2)
	v_add_co_u32 v18, vcc_lo, v102, v14
	v_add_co_ci_u32_e32 v19, vcc_lo, v112, v15, vcc_lo
	v_sub_nc_u32_e32 v20, v20, v97
	s_clause 0x3
	global_load_b128 v[68:71], v[18:19], off slc dlc
	global_load_b128 v[80:83], v[18:19], off offset:512 slc dlc
	global_load_b128 v[145:148], v[18:19], off offset:1024 slc dlc
	global_load_b128 v[160:163], v[18:19], off offset:1536 slc dlc
	v_add_co_u32 v18, vcc_lo, v102, v12
	v_add_co_ci_u32_e32 v19, vcc_lo, v112, v13, vcc_lo
	v_add_co_u32 v14, vcc_lo, v14, v113
	v_add_co_ci_u32_e32 v15, vcc_lo, v15, v114, vcc_lo
	v_add_co_u32 v12, vcc_lo, v12, v113
	v_cmp_gt_i32_e64 s13, 1, v20
	v_add_co_ci_u32_e32 v13, vcc_lo, v13, v114, vcc_lo
	s_waitcnt vmcnt(3)
	global_store_b128 v[18:19], v[68:71], off glc slc dlc
	s_waitcnt vmcnt(2)
	global_store_b128 v[18:19], v[80:83], off offset:512 glc slc dlc
	s_waitcnt vmcnt(1)
	global_store_b128 v[18:19], v[145:148], off offset:1024 glc slc dlc
	s_waitcnt vmcnt(0)
	global_store_b128 v[18:19], v[160:163], off offset:1536 glc slc dlc
	s_or_b32 s38, s13, s38
	s_delay_alu instid0(SALU_CYCLE_1)
	s_and_not1_b32 exec_lo, exec_lo, s38
	s_cbranch_execnz .LBB4_141
; %bb.142:                              ;   in Loop: Header=BB4_59 Depth=2
	s_set_inst_prefetch_distance 0x2
	s_or_b32 exec_lo, exec_lo, s38
.LBB4_143:                              ;   in Loop: Header=BB4_59 Depth=2
	s_delay_alu instid0(SALU_CYCLE_1) | instskip(SKIP_4) | instid1(VALU_DEP_2)
	s_or_b32 exec_lo, exec_lo, s14
	v_lshlrev_b32_e32 v14, 11, v2
	v_mov_b32_e32 v2, 0
	s_mov_b32 s13, 0
	s_mov_b32 s38, exec_lo
                                        ; implicit-def: $vgpr18
                                        ; implicit-def: $vgpr19
                                        ; implicit-def: $vgpr22
	v_cmpx_ne_u32_e64 v9, v14
	s_cbranch_execz .LBB4_152
; %bb.144:                              ;   in Loop: Header=BB4_59 Depth=2
	v_lshlrev_b32_e32 v2, 5, v20
	v_sub_nc_u32_e32 v13, v9, v14
	s_mov_b32 s39, exec_lo
	s_delay_alu instid0(VALU_DEP_2) | instskip(NEXT) | instid1(VALU_DEP_2)
	v_sub_nc_u32_e32 v2, v100, v2
	v_ashrrev_i32_e32 v15, 31, v13
	s_delay_alu instid0(VALU_DEP_2) | instskip(NEXT) | instid1(VALU_DEP_2)
	v_ashrrev_i32_e32 v12, 31, v2
	v_lshrrev_b32_e32 v15, 23, v15
	s_delay_alu instid0(VALU_DEP_2) | instskip(NEXT) | instid1(VALU_DEP_2)
	v_lshrrev_b32_e32 v12, 27, v12
	v_add_nc_u32_e32 v19, v13, v15
	s_delay_alu instid0(VALU_DEP_2) | instskip(NEXT) | instid1(VALU_DEP_2)
	v_add_nc_u32_e32 v12, v2, v12
	v_and_b32_e32 v15, 0xfffffe00, v19
	v_ashrrev_i32_e32 v19, 9, v19
	s_delay_alu instid0(VALU_DEP_3) | instskip(NEXT) | instid1(VALU_DEP_3)
	v_and_b32_e32 v18, 0xffffffe0, v12
	v_sub_nc_u32_e32 v21, v13, v15
	v_ashrrev_i32_e32 v12, 5, v12
	s_delay_alu instid0(VALU_DEP_3) | instskip(NEXT) | instid1(VALU_DEP_3)
	v_sub_nc_u32_e32 v20, v2, v18
	v_cmp_lt_i32_e32 vcc_lo, 15, v21
	s_delay_alu instid0(VALU_DEP_2) | instskip(SKIP_1) | instid1(VALU_DEP_2)
	v_lshlrev_b32_e32 v2, 4, v20
	v_add_co_ci_u32_e64 v19, s13, 0, v19, vcc_lo
	v_lshl_add_u32 v18, v12, 9, v2
	s_delay_alu instid0(VALU_DEP_2) | instskip(NEXT) | instid1(VALU_DEP_2)
	v_sub_nc_u32_e32 v23, v19, v12
	v_sub_nc_u32_e32 v2, v13, v18
	s_delay_alu instid0(VALU_DEP_1)
	v_cmpx_lt_i32_e32 15, v2
	s_cbranch_execz .LBB4_149
; %bb.145:                              ;   in Loop: Header=BB4_59 Depth=2
	s_cbranch_execz .LBB4_146
; %bb.10772:
	s_getpc_b64 s[48:49]
.Lpost_getpc163:
	s_add_u32 s48, s48, (.LBB4_10384-.Lpost_getpc163)&4294967295
	s_addc_u32 s49, s49, (.LBB4_10384-.Lpost_getpc163)>>32
	s_setpc_b64 s[48:49]
.LBB4_146:                              ;   in Loop: Header=BB4_59 Depth=2
	ds_load_b64 v[12:13], v0
	v_add_nc_u32_e32 v18, v18, v14
	s_mov_b32 s40, 0
	s_delay_alu instid0(VALU_DEP_1)
	v_ashrrev_i32_e32 v19, 31, v18
.LBB4_147:                              ;   Parent Loop BB4_51 Depth=1
                                        ;     Parent Loop BB4_59 Depth=2
                                        ; =>    This Inner Loop Header: Depth=3
	s_waitcnt lgkmcnt(0)
	v_add_co_u32 v80, s13, v12, v18
	s_delay_alu instid0(VALU_DEP_1)
	v_add_co_ci_u32_e64 v81, s13, v13, v19, s13
	v_sub_nc_u32_e32 v2, v2, v101
	v_add_co_u32 v18, s14, v18, v117
	global_load_b128 v[68:71], v[80:81], off slc dlc
	v_sub_nc_u32_e32 v23, v23, v97
	v_cmp_gt_i32_e64 s13, 16, v2
	v_add_co_ci_u32_e64 v19, s14, v19, v118, s14
	s_delay_alu instid0(VALU_DEP_2)
	s_or_b32 s40, s13, s40
	s_waitcnt vmcnt(0)
	global_store_b128 v[80:81], v[68:71], off glc slc dlc
	s_and_not1_b32 exec_lo, exec_lo, s40
	s_cbranch_execnz .LBB4_147
; %bb.148:                              ;   in Loop: Header=BB4_59 Depth=2
	s_or_b32 exec_lo, exec_lo, s40
.LBB4_149:                              ;   in Loop: Header=BB4_59 Depth=2
	s_delay_alu instid0(SALU_CYCLE_1) | instskip(SKIP_4) | instid1(VALU_DEP_2)
	s_or_b32 exec_lo, exec_lo, s39
	v_and_b32_e32 v12, 15, v9
	v_mov_b32_e32 v2, 0
	s_mov_b32 s14, 0
	s_mov_b32 s39, exec_lo
                                        ; implicit-def: $vgpr19
                                        ; implicit-def: $vgpr22
	v_cndmask_b32_e32 v18, v21, v12, vcc_lo
	s_delay_alu instid0(VALU_DEP_1)
	v_cmpx_ne_u32_e32 0, v18
; %bb.150:                              ;   in Loop: Header=BB4_59 Depth=2
	v_cmp_lt_i32_e64 s13, 0, v23
	v_sub_nc_u32_e32 v12, v21, v12
	s_mov_b32 s14, exec_lo
	s_delay_alu instid0(VALU_DEP_2) | instskip(NEXT) | instid1(VALU_DEP_1)
	v_cndmask_b32_e64 v2, 0, v97, s13
	v_sub_nc_u32_e32 v2, v2, v23
	s_delay_alu instid0(VALU_DEP_1) | instskip(NEXT) | instid1(VALU_DEP_1)
	v_lshl_add_u32 v19, v2, 5, v20
	v_ashrrev_i32_e32 v2, 31, v19
	s_delay_alu instid0(VALU_DEP_1) | instskip(NEXT) | instid1(VALU_DEP_1)
	v_lshrrev_b32_e32 v2, 27, v2
	v_dual_cndmask_b32 v12, 0, v12 :: v_dual_add_nc_u32 v13, v19, v2
	s_delay_alu instid0(VALU_DEP_1) | instskip(NEXT) | instid1(VALU_DEP_2)
	v_add3_u32 v2, v15, v14, v12
	v_ashrrev_i32_e32 v22, 5, v13
; %bb.151:                              ;   in Loop: Header=BB4_59 Depth=2
	s_or_b32 exec_lo, exec_lo, s39
	s_delay_alu instid0(SALU_CYCLE_1)
	s_and_b32 s13, s14, exec_lo
.LBB4_152:                              ;   in Loop: Header=BB4_59 Depth=2
	s_or_b32 exec_lo, exec_lo, s38
.LBB4_153:                              ;   in Loop: Header=BB4_59 Depth=2
	s_and_saveexec_b32 s14, s13
	s_cbranch_execz .LBB4_165
; %bb.154:                              ;   in Loop: Header=BB4_59 Depth=2
	s_delay_alu instid0(VALU_DEP_1) | instskip(SKIP_1) | instid1(VALU_DEP_1)
	v_ashrrev_i32_e32 v12, 31, v18
	s_mov_b32 s13, exec_lo
	v_lshrrev_b32_e32 v12, 23, v12
	s_delay_alu instid0(VALU_DEP_1) | instskip(NEXT) | instid1(VALU_DEP_1)
	v_add_nc_u32_e32 v12, v18, v12
	v_ashrrev_i32_e32 v21, 9, v12
	s_delay_alu instid0(VALU_DEP_1) | instskip(NEXT) | instid1(VALU_DEP_1)
	v_sub_nc_u32_e32 v20, v21, v22
	v_cmpx_lt_i32_e32 0, v20
	s_cbranch_execz .LBB4_159
; %bb.155:                              ;   in Loop: Header=BB4_59 Depth=2
	s_cbranch_execz .LBB4_156
; %bb.10774:
	s_getpc_b64 s[48:49]
.Lpost_getpc164:
	s_add_u32 s48, s48, (.LBB4_10312-.Lpost_getpc164)&4294967295
	s_addc_u32 s49, s49, (.LBB4_10312-.Lpost_getpc164)>>32
	s_setpc_b64 s[48:49]
.LBB4_156:                              ;   in Loop: Header=BB4_59 Depth=2
	v_ashrrev_i32_e32 v12, 31, v19
	s_mov_b32 s38, 0
	s_delay_alu instid0(VALU_DEP_1) | instskip(NEXT) | instid1(VALU_DEP_1)
	v_lshrrev_b32_e32 v12, 27, v12
	v_add_nc_u32_e32 v14, v19, v12
	ds_load_b64 v[12:13], v0
	v_lshlrev_b32_e32 v15, 9, v22
	v_and_b32_e32 v14, 0xffffffe0, v14
	s_delay_alu instid0(VALU_DEP_1) | instskip(NEXT) | instid1(VALU_DEP_1)
	v_sub_nc_u32_e32 v14, v19, v14
	v_add3_u32 v22, v2, v14, v15
	s_delay_alu instid0(VALU_DEP_1)
	v_ashrrev_i32_e32 v23, 31, v22
	s_waitcnt lgkmcnt(0)
	v_dual_mov_b32 v15, v13 :: v_dual_mov_b32 v14, v12
.LBB4_157:                              ;   Parent Loop BB4_51 Depth=1
                                        ;     Parent Loop BB4_59 Depth=2
                                        ; =>    This Inner Loop Header: Depth=3
	s_delay_alu instid0(VALU_DEP_1) | instskip(NEXT) | instid1(VALU_DEP_2)
	v_add_co_u32 v68, vcc_lo, v22, v14
	v_add_co_ci_u32_e32 v69, vcc_lo, v23, v15, vcc_lo
	v_sub_nc_u32_e32 v20, v20, v97
	s_clause 0xf
	flat_load_u8 v70, v[68:69] slc dlc
	flat_load_u8 v71, v[68:69] offset:32 slc dlc
	flat_load_u8 v80, v[68:69] offset:64 slc dlc
	;; [unrolled: 1-line block ×15, first 2 shown]
	v_add_co_u32 v68, vcc_lo, v22, v12
	v_add_co_ci_u32_e32 v69, vcc_lo, v23, v13, vcc_lo
	v_add_co_u32 v14, vcc_lo, v14, v117
	v_add_co_ci_u32_e32 v15, vcc_lo, v15, v118, vcc_lo
	;; [unrolled: 2-line block ×3, first 2 shown]
	v_cmp_gt_i32_e32 vcc_lo, 1, v20
	s_waitcnt vmcnt(15) lgkmcnt(15)
	flat_store_b8 v[68:69], v70 glc slc dlc
	s_waitcnt vmcnt(14) lgkmcnt(15)
	flat_store_b8 v[68:69], v71 offset:32 glc slc dlc
	s_waitcnt vmcnt(13) lgkmcnt(15)
	flat_store_b8 v[68:69], v80 offset:64 glc slc dlc
	;; [unrolled: 2-line block ×15, first 2 shown]
	s_or_b32 s38, vcc_lo, s38
	s_delay_alu instid0(SALU_CYCLE_1)
	s_and_not1_b32 exec_lo, exec_lo, s38
	s_cbranch_execnz .LBB4_157
; %bb.158:                              ;   in Loop: Header=BB4_59 Depth=2
	s_or_b32 exec_lo, exec_lo, s38
.LBB4_159:                              ;   in Loop: Header=BB4_59 Depth=2
	s_delay_alu instid0(SALU_CYCLE_1) | instskip(SKIP_2) | instid1(VALU_DEP_1)
	s_or_b32 exec_lo, exec_lo, s13
	v_lshlrev_b32_e32 v12, 9, v21
	s_mov_b32 s38, exec_lo
	v_cmpx_ne_u32_e64 v18, v12
	s_cbranch_execz .LBB4_164
; %bb.160:                              ;   in Loop: Header=BB4_59 Depth=2
	v_ashrrev_i32_e32 v13, 31, v19
	v_lshlrev_b32_e32 v14, 5, v20
	s_delay_alu instid0(VALU_DEP_2) | instskip(NEXT) | instid1(VALU_DEP_1)
	v_lshrrev_b32_e32 v13, 27, v13
	v_add_nc_u32_e32 v13, v19, v13
	s_delay_alu instid0(VALU_DEP_1) | instskip(NEXT) | instid1(VALU_DEP_1)
	v_and_b32_e32 v13, 0xffffffe0, v13
	v_sub_nc_u32_e32 v13, v19, v13
	s_delay_alu instid0(VALU_DEP_1) | instskip(NEXT) | instid1(VALU_DEP_1)
	v_sub_nc_u32_e32 v13, v13, v14
	v_add_nc_u32_e32 v15, v12, v13
	s_delay_alu instid0(VALU_DEP_1) | instskip(NEXT) | instid1(VALU_DEP_1)
	v_sub_nc_u32_e32 v14, v18, v15
	v_cmp_lt_i32_e32 vcc_lo, 0, v14
	s_and_b32 exec_lo, exec_lo, vcc_lo
	s_cbranch_execz .LBB4_164
; %bb.161:                              ;   in Loop: Header=BB4_59 Depth=2
	s_cbranch_execz .LBB4_162
; %bb.10776:
	s_getpc_b64 s[48:49]
.Lpost_getpc165:
	s_add_u32 s48, s48, (.LBB4_10376-.Lpost_getpc165)&4294967295
	s_addc_u32 s49, s49, (.LBB4_10376-.Lpost_getpc165)>>32
	s_setpc_b64 s[48:49]
.LBB4_162:                              ;   in Loop: Header=BB4_59 Depth=2
	ds_load_b64 v[12:13], v0
	v_add_nc_u32_e32 v2, v15, v2
	s_mov_b32 s39, 0
	s_delay_alu instid0(VALU_DEP_1)
	v_ashrrev_i32_e32 v15, 31, v2
.LBB4_163:                              ;   Parent Loop BB4_51 Depth=1
                                        ;     Parent Loop BB4_59 Depth=2
                                        ; =>    This Inner Loop Header: Depth=3
	s_waitcnt lgkmcnt(0)
	v_add_co_u32 v18, vcc_lo, v12, v2
	s_delay_alu instid0(VALU_DEP_2)
	v_add_co_ci_u32_e32 v19, vcc_lo, v13, v15, vcc_lo
	v_sub_nc_u32_e32 v14, v14, v98
	v_add_co_u32 v2, s13, v2, v128
	flat_load_u8 v20, v[18:19] slc dlc
	v_add_co_ci_u32_e64 v15, s13, v15, v129, s13
	v_cmp_gt_i32_e32 vcc_lo, 1, v14
	s_or_b32 s39, vcc_lo, s39
	s_waitcnt vmcnt(0) lgkmcnt(0)
	flat_store_b8 v[18:19], v20 glc slc dlc
	s_and_not1_b32 exec_lo, exec_lo, s39
	s_cbranch_execnz .LBB4_163
.LBB4_164:                              ;   in Loop: Header=BB4_59 Depth=2
	s_or_b32 exec_lo, exec_lo, s38
.LBB4_165:                              ;   in Loop: Header=BB4_59 Depth=2
	s_delay_alu instid0(SALU_CYCLE_1)
	s_or_b32 exec_lo, exec_lo, s14
.LBB4_166:                              ;   in Loop: Header=BB4_59 Depth=2
	s_and_saveexec_b32 s13, s3
	s_cbranch_execz .LBB4_188
; %bb.167:                              ;   in Loop: Header=BB4_59 Depth=2
	s_and_saveexec_b32 s14, s4
	s_delay_alu instid0(SALU_CYCLE_1)
	s_xor_b32 s14, exec_lo, s14
	s_cbranch_execz .LBB4_185
; %bb.168:                              ;   in Loop: Header=BB4_59 Depth=2
	s_and_saveexec_b32 s38, s1
	s_cbranch_execz .LBB4_184
; %bb.169:                              ;   in Loop: Header=BB4_59 Depth=2
	s_mov_b32 s40, exec_lo
	s_mov_b32 s39, exec_lo
	v_mbcnt_lo_u32_b32 v2, s40, 0
	s_waitcnt lgkmcnt(0)
	s_waitcnt_vscnt null, 0x0
	buffer_gl1_inv
	buffer_gl0_inv
	v_cmpx_eq_u32_e32 0, v2
	s_cbranch_execz .LBB4_171
; %bb.170:                              ;   in Loop: Header=BB4_59 Depth=2
	s_bcnt1_i32_b32 vcc_lo, s40
	s_delay_alu instid0(SALU_CYCLE_1)
	v_mov_b32_e32 v2, vcc_lo
	ds_add_u64 v0, v[2:3]
	s_cbranch_execz .LBB4_171
; %bb.10778:
	s_getpc_b64 s[48:49]
.Lpost_getpc166:
	s_add_u32 s48, s48, (.LBB4_10350-.Lpost_getpc166)&4294967295
	s_addc_u32 s49, s49, (.LBB4_10350-.Lpost_getpc166)>>32
	s_setpc_b64 s[48:49]
.LBB4_171:                              ;   in Loop: Header=BB4_59 Depth=2
	s_or_b32 exec_lo, exec_lo, s39
	s_cbranch_execz .LBB4_172
; %bb.10780:
	s_getpc_b64 s[48:49]
.Lpost_getpc167:
	s_add_u32 s48, s48, (.LBB4_10326-.Lpost_getpc167)&4294967295
	s_addc_u32 s49, s49, (.LBB4_10326-.Lpost_getpc167)>>32
	s_setpc_b64 s[48:49]
.LBB4_172:                              ;   in Loop: Header=BB4_59 Depth=2
	ds_load_b64 v[12:13], v0
	v_add_co_u32 v48, vcc_lo, v48, v97
	v_add_co_ci_u32_e32 v49, vcc_lo, 0, v49, vcc_lo
	s_mov_b32 s39, exec_lo
	s_waitcnt lgkmcnt(0)
	s_delay_alu instid0(VALU_DEP_1)
	v_cmpx_lt_u64_e64 v[12:13], v[48:49]
	s_cbranch_execz .LBB4_183
; %bb.173:                              ;   in Loop: Header=BB4_59 Depth=2
	s_mov_b32 s40, 0
	s_mov_b32 s43, 0
                                        ; implicit-def: $sgpr41
                                        ; implicit-def: $sgpr42
	s_branch .LBB4_175
.LBB4_174:                              ;   in Loop: Header=BB4_175 Depth=3
	s_or_b32 exec_lo, exec_lo, s45
	s_delay_alu instid0(SALU_CYCLE_1) | instskip(NEXT) | instid1(SALU_CYCLE_1)
	s_and_b32 vcc_lo, exec_lo, vcc_lo
	s_or_b32 s40, vcc_lo, s40
	s_and_not1_b32 vcc_lo, s41, exec_lo
	s_and_b32 s41, s42, exec_lo
	s_delay_alu instid0(SALU_CYCLE_1)
	s_or_b32 s41, vcc_lo, s41
	s_and_not1_b32 exec_lo, exec_lo, s40
	s_cbranch_execz .LBB4_181
.LBB4_175:                              ;   Parent Loop BB4_51 Depth=1
                                        ;     Parent Loop BB4_59 Depth=2
                                        ; =>    This Inner Loop Header: Depth=3
	s_add_i32 s43, s43, 1
                                        ; implicit-def: $sgpr45
	s_delay_alu instid0(SALU_CYCLE_1) | instskip(SKIP_1) | instid1(SALU_CYCLE_1)
	s_cmpk_lg_i32 s43, 0x2710
	s_cselect_b32 s44, -1, 0
	s_and_b32 vcc_lo, exec_lo, s44
	s_cbranch_vccz .LBB4_179
.LBB4_176:                              ;   in Loop: Header=BB4_175 Depth=3
	s_and_not1_b32 s42, s42, exec_lo
	s_and_b32 s45, s45, exec_lo
	s_mov_b32 vcc_lo, -1
	s_or_b32 s42, s42, s45
	s_and_saveexec_b32 s45, s44
	s_cbranch_execz .LBB4_174
; %bb.177:                              ;   in Loop: Header=BB4_175 Depth=3
	s_sleep 1
	s_cbranch_execz .LBB4_178
; %bb.10782:
	s_getpc_b64 s[48:49]
.Lpost_getpc168:
	s_add_u32 s48, s48, (.LBB4_10402-.Lpost_getpc168)&4294967295
	s_addc_u32 s49, s49, (.LBB4_10402-.Lpost_getpc168)>>32
	s_setpc_b64 s[48:49]
.LBB4_178:                              ;   in Loop: Header=BB4_175 Depth=3
	ds_load_b64 v[12:13], v0
	s_and_not1_b32 s42, s42, exec_lo
	s_waitcnt lgkmcnt(0)
	v_cmp_ge_u64_e32 vcc_lo, v[12:13], v[48:49]
	s_or_not1_b32 vcc_lo, vcc_lo, exec_lo
	s_branch .LBB4_174
.LBB4_179:                              ;   in Loop: Header=BB4_175 Depth=3
	s_cbranch_execz .LBB4_180
; %bb.10784:
	s_getpc_b64 s[48:49]
.Lpost_getpc169:
	s_add_u32 s48, s48, (.LBB4_10412-.Lpost_getpc169)&4294967295
	s_addc_u32 s49, s49, (.LBB4_10412-.Lpost_getpc169)>>32
	s_setpc_b64 s[48:49]
.LBB4_180:                              ;   in Loop: Header=BB4_175 Depth=3
	ds_load_b64 v[12:13], v0
	s_and_not1_b32 s44, s44, exec_lo
	s_mov_b32 s43, 0
	s_mov_b32 s45, -1
	s_waitcnt lgkmcnt(0)
	flat_load_b32 v2, v[12:13] glc
	s_waitcnt vmcnt(0) lgkmcnt(0)
	buffer_gl1_inv
	buffer_gl0_inv
	v_cmp_eq_u32_e32 vcc_lo, 0, v2
	s_and_b32 vcc_lo, vcc_lo, exec_lo
	s_delay_alu instid0(SALU_CYCLE_1)
	s_or_b32 s44, s44, vcc_lo
	s_branch .LBB4_176
.LBB4_181:                              ;   in Loop: Header=BB4_59 Depth=2
	s_or_b32 exec_lo, exec_lo, s40
	s_and_saveexec_b32 vcc_lo, s41
	s_delay_alu instid0(SALU_CYCLE_1)
	s_xor_b32 vcc_lo, exec_lo, vcc_lo
	s_cbranch_execz .LBB4_183
; %bb.182:                              ;   in Loop: Header=BB4_59 Depth=2
	ds_store_b32 v0, v134
	s_cbranch_execz .LBB4_183
; %bb.10786:
	s_getpc_b64 s[48:49]
.Lpost_getpc170:
	s_add_u32 s48, s48, (.LBB4_10626-.Lpost_getpc170)&4294967295
	s_addc_u32 s49, s49, (.LBB4_10626-.Lpost_getpc170)>>32
	s_setpc_b64 s[48:49]
.LBB4_183:                              ;   in Loop: Header=BB4_59 Depth=2
	s_or_b32 exec_lo, exec_lo, s39
	;;#ASMSTART
	s_wakeup
	;;#ASMEND
.LBB4_184:                              ;   in Loop: Header=BB4_59 Depth=2
	s_or_b32 exec_lo, exec_lo, s38
.LBB4_185:                              ;   in Loop: Header=BB4_59 Depth=2
	s_and_not1_saveexec_b32 s14, s14
	s_cbranch_execz .LBB4_187
; %bb.186:                              ;   in Loop: Header=BB4_59 Depth=2
	s_waitcnt lgkmcnt(0)
	s_waitcnt_vscnt null, 0x0
	buffer_gl1_inv
	buffer_gl0_inv
	s_barrier
.LBB4_187:                              ;   in Loop: Header=BB4_59 Depth=2
	s_or_b32 exec_lo, exec_lo, s14
.LBB4_188:                              ;   in Loop: Header=BB4_59 Depth=2
	s_delay_alu instid0(SALU_CYCLE_1) | instskip(SKIP_1) | instid1(SALU_CYCLE_1)
	s_or_b32 exec_lo, exec_lo, s13
                                        ; implicit-def: $vgpr2
	s_and_saveexec_b32 s13, s7
	s_xor_b32 s14, exec_lo, s13
	s_cbranch_execz .LBB4_192
; %bb.189:                              ;   in Loop: Header=BB4_59 Depth=2
	v_and_b32_e32 v2, 16, v30
	v_cmp_lt_i32_e32 vcc_lo, 0, v9
	s_delay_alu instid0(VALU_DEP_2) | instskip(SKIP_1) | instid1(VALU_DEP_2)
	v_cmp_ne_u32_e64 s13, 0, v2
	v_and_b32_e32 v2, 16, v30
	s_and_b32 vcc_lo, s13, vcc_lo
	s_delay_alu instid0(SALU_CYCLE_1)
	s_and_saveexec_b32 s13, vcc_lo
	s_cbranch_execz .LBB4_191
; %bb.190:                              ;   in Loop: Header=BB4_59 Depth=2
	v_mov_b32_e32 v2, 1
	s_waitcnt lgkmcnt(0)
	s_waitcnt_vscnt null, 0x0
	buffer_gl1_inv
	buffer_gl0_inv
.LBB4_191:                              ;   in Loop: Header=BB4_59 Depth=2
	s_or_b32 exec_lo, exec_lo, s13
.LBB4_192:                              ;   in Loop: Header=BB4_59 Depth=2
	s_and_not1_saveexec_b32 s13, s14
	s_cbranch_execz .LBB4_214
; %bb.193:                              ;   in Loop: Header=BB4_59 Depth=2
	s_and_saveexec_b32 s14, s4
	s_delay_alu instid0(SALU_CYCLE_1)
	s_xor_b32 s14, exec_lo, s14
	s_cbranch_execz .LBB4_211
; %bb.194:                              ;   in Loop: Header=BB4_59 Depth=2
	s_and_saveexec_b32 s38, s1
	s_cbranch_execz .LBB4_210
; %bb.195:                              ;   in Loop: Header=BB4_59 Depth=2
	s_mov_b32 s40, exec_lo
	s_mov_b32 s39, exec_lo
	v_mbcnt_lo_u32_b32 v2, s40, 0
	;;#ASMSTART
	s_waitcnt lgkmcnt(0) vmcnt(0)
	;;#ASMEND
	s_delay_alu instid0(VALU_DEP_1)
	v_cmpx_eq_u32_e32 0, v2
	s_cbranch_execz .LBB4_197
; %bb.196:                              ;   in Loop: Header=BB4_59 Depth=2
	s_bcnt1_i32_b32 vcc_lo, s40
	s_delay_alu instid0(SALU_CYCLE_1)
	v_mov_b32_e32 v2, vcc_lo
	ds_add_u64 v0, v[2:3]
	s_cbranch_execz .LBB4_197
; %bb.10788:
	s_getpc_b64 s[48:49]
.Lpost_getpc171:
	s_add_u32 s48, s48, (.LBB4_10358-.Lpost_getpc171)&4294967295
	s_addc_u32 s49, s49, (.LBB4_10358-.Lpost_getpc171)>>32
	s_setpc_b64 s[48:49]
.LBB4_197:                              ;   in Loop: Header=BB4_59 Depth=2
	s_or_b32 exec_lo, exec_lo, s39
	s_cbranch_execz .LBB4_198
; %bb.10790:
	s_getpc_b64 s[48:49]
.Lpost_getpc172:
	s_add_u32 s48, s48, (.LBB4_10332-.Lpost_getpc172)&4294967295
	s_addc_u32 s49, s49, (.LBB4_10332-.Lpost_getpc172)>>32
	s_setpc_b64 s[48:49]
.LBB4_198:                              ;   in Loop: Header=BB4_59 Depth=2
	ds_load_b64 v[12:13], v0
	v_add_co_u32 v48, vcc_lo, v48, v97
	v_add_co_ci_u32_e32 v49, vcc_lo, 0, v49, vcc_lo
	s_mov_b32 s39, exec_lo
	s_waitcnt lgkmcnt(0)
	s_delay_alu instid0(VALU_DEP_1)
	v_cmpx_lt_u64_e64 v[12:13], v[48:49]
	s_cbranch_execz .LBB4_209
; %bb.199:                              ;   in Loop: Header=BB4_59 Depth=2
	s_mov_b32 s40, 0
	s_mov_b32 s43, 0
                                        ; implicit-def: $sgpr41
                                        ; implicit-def: $sgpr42
	s_branch .LBB4_201
.LBB4_200:                              ;   in Loop: Header=BB4_201 Depth=3
	s_or_b32 exec_lo, exec_lo, s45
	s_delay_alu instid0(SALU_CYCLE_1) | instskip(NEXT) | instid1(SALU_CYCLE_1)
	s_and_b32 vcc_lo, exec_lo, vcc_lo
	s_or_b32 s40, vcc_lo, s40
	s_and_not1_b32 vcc_lo, s41, exec_lo
	s_and_b32 s41, s42, exec_lo
	s_delay_alu instid0(SALU_CYCLE_1)
	s_or_b32 s41, vcc_lo, s41
	s_and_not1_b32 exec_lo, exec_lo, s40
	s_cbranch_execz .LBB4_207
.LBB4_201:                              ;   Parent Loop BB4_51 Depth=1
                                        ;     Parent Loop BB4_59 Depth=2
                                        ; =>    This Inner Loop Header: Depth=3
	s_add_i32 s43, s43, 1
                                        ; implicit-def: $sgpr45
	s_delay_alu instid0(SALU_CYCLE_1) | instskip(SKIP_1) | instid1(SALU_CYCLE_1)
	s_cmpk_lg_i32 s43, 0x2710
	s_cselect_b32 s44, -1, 0
	s_and_b32 vcc_lo, exec_lo, s44
	s_cbranch_vccz .LBB4_205
.LBB4_202:                              ;   in Loop: Header=BB4_201 Depth=3
	s_and_not1_b32 s42, s42, exec_lo
	s_and_b32 s45, s45, exec_lo
	s_mov_b32 vcc_lo, -1
	s_or_b32 s42, s42, s45
	s_and_saveexec_b32 s45, s44
	s_cbranch_execz .LBB4_200
; %bb.203:                              ;   in Loop: Header=BB4_201 Depth=3
	s_sleep 1
	s_cbranch_execz .LBB4_204
; %bb.10792:
	s_getpc_b64 s[48:49]
.Lpost_getpc173:
	s_add_u32 s48, s48, (.LBB4_10406-.Lpost_getpc173)&4294967295
	s_addc_u32 s49, s49, (.LBB4_10406-.Lpost_getpc173)>>32
	s_setpc_b64 s[48:49]
.LBB4_204:                              ;   in Loop: Header=BB4_201 Depth=3
	ds_load_b64 v[12:13], v0
	s_and_not1_b32 s42, s42, exec_lo
	s_waitcnt lgkmcnt(0)
	v_cmp_ge_u64_e32 vcc_lo, v[12:13], v[48:49]
	s_or_not1_b32 vcc_lo, vcc_lo, exec_lo
	s_branch .LBB4_200
.LBB4_205:                              ;   in Loop: Header=BB4_201 Depth=3
	s_cbranch_execz .LBB4_206
; %bb.10794:
	s_getpc_b64 s[48:49]
.Lpost_getpc174:
	s_add_u32 s48, s48, (.LBB4_10424-.Lpost_getpc174)&4294967295
	s_addc_u32 s49, s49, (.LBB4_10424-.Lpost_getpc174)>>32
	s_setpc_b64 s[48:49]
.LBB4_206:                              ;   in Loop: Header=BB4_201 Depth=3
	ds_load_b64 v[12:13], v0
	s_and_not1_b32 s44, s44, exec_lo
	s_mov_b32 s43, 0
	s_mov_b32 s45, -1
	s_waitcnt lgkmcnt(0)
	s_waitcnt_vscnt null, 0x0
	flat_load_b32 v2, v[12:13] glc
	s_waitcnt vmcnt(0) lgkmcnt(0)
	buffer_gl1_inv
	buffer_gl0_inv
	v_cmp_eq_u32_e32 vcc_lo, 0, v2
	s_and_b32 vcc_lo, vcc_lo, exec_lo
	s_delay_alu instid0(SALU_CYCLE_1)
	s_or_b32 s44, s44, vcc_lo
	s_branch .LBB4_202
.LBB4_207:                              ;   in Loop: Header=BB4_59 Depth=2
	s_or_b32 exec_lo, exec_lo, s40
	s_and_saveexec_b32 vcc_lo, s41
	s_delay_alu instid0(SALU_CYCLE_1)
	s_xor_b32 vcc_lo, exec_lo, vcc_lo
	s_cbranch_execz .LBB4_209
; %bb.208:                              ;   in Loop: Header=BB4_59 Depth=2
	ds_store_b32 v0, v134
	s_cbranch_execz .LBB4_209
; %bb.10796:
	s_getpc_b64 s[48:49]
.Lpost_getpc175:
	s_add_u32 s48, s48, (.LBB4_10630-.Lpost_getpc175)&4294967295
	s_addc_u32 s49, s49, (.LBB4_10630-.Lpost_getpc175)>>32
	s_setpc_b64 s[48:49]
.LBB4_209:                              ;   in Loop: Header=BB4_59 Depth=2
	s_or_b32 exec_lo, exec_lo, s39
	;;#ASMSTART
	s_wakeup
	;;#ASMEND
.LBB4_210:                              ;   in Loop: Header=BB4_59 Depth=2
	s_or_b32 exec_lo, exec_lo, s38
.LBB4_211:                              ;   in Loop: Header=BB4_59 Depth=2
	s_and_not1_saveexec_b32 s14, s14
	s_cbranch_execz .LBB4_213
; %bb.212:                              ;   in Loop: Header=BB4_59 Depth=2
	;;#ASMSTART
	s_waitcnt lgkmcnt(0) vmcnt(0)
	;;#ASMEND
	s_waitcnt lgkmcnt(0)
	s_waitcnt_vscnt null, 0x0
	s_barrier
.LBB4_213:                              ;   in Loop: Header=BB4_59 Depth=2
	s_or_b32 exec_lo, exec_lo, s14
	v_and_b32_e32 v2, 16, v30
.LBB4_214:                              ;   in Loop: Header=BB4_59 Depth=2
	s_or_b32 exec_lo, exec_lo, s13
	s_delay_alu instid0(SALU_CYCLE_1) | instskip(NEXT) | instid1(VALU_DEP_1)
	s_mov_b32 s13, exec_lo
	v_cmpx_ne_u32_e32 0, v2
	s_cbranch_execz .LBB4_218
; %bb.215:                              ;   in Loop: Header=BB4_59 Depth=2
	s_and_saveexec_b32 s14, s11
	s_cbranch_execz .LBB4_217
; %bb.216:                              ;   in Loop: Header=BB4_59 Depth=2
	s_waitcnt lgkmcnt(0)
	s_waitcnt_vscnt null, 0x0
	flat_store_b32 v[38:39], v134
.LBB4_217:                              ;   in Loop: Header=BB4_59 Depth=2
	s_or_b32 exec_lo, exec_lo, s14
	v_add_co_u32 v34, vcc_lo, v34, 2
	v_add_co_ci_u32_e32 v35, vcc_lo, 0, v35, vcc_lo
	s_waitcnt lgkmcnt(0)
	s_waitcnt_vscnt null, 0x0
	flat_store_b64 v[32:33], v[34:35]
.LBB4_218:                              ;   in Loop: Header=BB4_59 Depth=2
	s_or_b32 exec_lo, exec_lo, s13
	v_dual_mov_b32 v2, s37 :: v_dual_add_nc_u32 v17, v8, v17
	s_xor_b32 s13, s17, -1
	s_mov_b32 s17, 0
	s_mov_b32 s37, 2
	s_delay_alu instid0(VALU_DEP_1) | instskip(SKIP_1) | instid1(SALU_CYCLE_1)
	v_cmp_ge_i32_e32 vcc_lo, v17, v16
	s_or_b32 s13, s13, vcc_lo
	s_and_b32 s13, exec_lo, s13
	s_delay_alu instid0(SALU_CYCLE_1) | instskip(NEXT) | instid1(SALU_CYCLE_1)
	s_or_b32 s16, s13, s16
	s_and_not1_b32 exec_lo, exec_lo, s16
	s_cbranch_execnz .LBB4_59
; %bb.219:                              ;   in Loop: Header=BB4_51 Depth=1
	s_or_b32 exec_lo, exec_lo, s16
.LBB4_220:                              ;   in Loop: Header=BB4_51 Depth=1
	s_delay_alu instid0(SALU_CYCLE_1) | instskip(NEXT) | instid1(SALU_CYCLE_1)
	s_or_b32 exec_lo, exec_lo, s15
	s_mov_b32 s14, exec_lo
	v_cmpx_gt_i32_e32 2, v2
	s_cbranch_execz .LBB4_301
; %bb.221:                              ;   in Loop: Header=BB4_51 Depth=1
	v_cmp_eq_u32_e64 s13, 0, v2
	s_mov_b32 s15, 0
.LBB4_222:                              ;   Parent Loop BB4_51 Depth=1
                                        ; =>  This Loop Header: Depth=2
                                        ;       Child Loop BB4_228 Depth 3
                                        ;       Child Loop BB4_255 Depth 3
	;; [unrolled: 1-line block ×3, first 2 shown]
	v_and_b32_e32 v2, 8, v30
	s_mov_b32 s17, -1
	s_mov_b32 s16, exec_lo
	s_delay_alu instid0(VALU_DEP_1)
	v_cmpx_ne_u32_e32 0, v2
	s_cbranch_execz .LBB4_236
; %bb.223:                              ;   in Loop: Header=BB4_222 Depth=2
	v_add_co_u32 v11, vcc_lo, v50, 8
	v_add_co_ci_u32_e32 v12, vcc_lo, 0, v51, vcc_lo
	v_add_co_u32 v9, vcc_lo, v34, 2
	v_add_co_ci_u32_e32 v10, vcc_lo, 0, v35, vcc_lo
	v_mov_b32_e32 v2, 1
	s_mov_b32 s17, exec_lo
	s_delay_alu instid0(VALU_DEP_2)
	v_cmpx_lt_u64_e64 v[11:12], v[9:10]
	s_cbranch_execz .LBB4_235
; %bb.224:                              ;   in Loop: Header=BB4_222 Depth=2
	v_mov_b32_e32 v2, 0
	s_mov_b32 s37, 0
                                        ; implicit-def: $sgpr38
	s_branch .LBB4_228
.LBB4_225:                              ;   in Loop: Header=BB4_228 Depth=3
	s_or_b32 exec_lo, exec_lo, s42
	v_mov_b32_e32 v11, 0
	s_or_not1_b32 s41, s41, exec_lo
.LBB4_226:                              ;   in Loop: Header=BB4_228 Depth=3
	s_or_b32 exec_lo, exec_lo, s40
	s_delay_alu instid0(VALU_DEP_1) | instskip(SKIP_2) | instid1(SALU_CYCLE_1)
	v_mov_b32_e32 v2, v11
	s_and_not1_b32 vcc_lo, s38, exec_lo
	s_and_b32 s38, s41, exec_lo
	s_or_b32 s38, vcc_lo, s38
.LBB4_227:                              ;   in Loop: Header=BB4_228 Depth=3
	s_or_b32 exec_lo, exec_lo, s39
	s_waitcnt vmcnt(0) lgkmcnt(0)
	v_add_co_u32 v11, vcc_lo, v50, 8
	v_add_co_ci_u32_e32 v12, vcc_lo, 0, v51, vcc_lo
	s_xor_b32 s39, s38, -1
	s_delay_alu instid0(VALU_DEP_1) | instskip(SKIP_1) | instid1(SALU_CYCLE_1)
	v_cmp_ge_u64_e32 vcc_lo, v[11:12], v[9:10]
	s_or_b32 vcc_lo, s39, vcc_lo
	s_and_b32 vcc_lo, exec_lo, vcc_lo
	s_delay_alu instid0(SALU_CYCLE_1) | instskip(NEXT) | instid1(SALU_CYCLE_1)
	s_or_b32 s37, vcc_lo, s37
	s_and_not1_b32 exec_lo, exec_lo, s37
	s_cbranch_execz .LBB4_234
.LBB4_228:                              ;   Parent Loop BB4_51 Depth=1
                                        ;     Parent Loop BB4_222 Depth=2
                                        ; =>    This Inner Loop Header: Depth=3
	s_sleep 1
	flat_load_b64 v[50:51], v[32:33] glc
	v_and_b32_e32 v11, 64, v30
	s_and_not1_b32 s38, s38, exec_lo
	s_mov_b32 s39, exec_lo
	s_delay_alu instid0(VALU_DEP_1)
	v_cmpx_eq_u32_e32 0, v11
	s_cbranch_execz .LBB4_227
; %bb.229:                              ;   in Loop: Header=BB4_228 Depth=3
	v_add_nc_u32_e32 v11, 1, v2
	s_mov_b32 s41, -1
	s_mov_b32 s40, exec_lo
	v_cmpx_lt_i32_e32 0x270e, v2
	s_cbranch_execz .LBB4_226
; %bb.230:                              ;   in Loop: Header=BB4_228 Depth=3
	s_cbranch_execz .LBB4_231
; %bb.10798:
	s_getpc_b64 s[48:49]
.Lpost_getpc176:
	s_add_u32 s48, s48, (.LBB4_10231-.Lpost_getpc176)&4294967295
	s_addc_u32 s49, s49, (.LBB4_10231-.Lpost_getpc176)>>32
	s_setpc_b64 s[48:49]
.LBB4_231:                              ;   in Loop: Header=BB4_228 Depth=3
	ds_load_b64 v[11:12], v0
	s_mov_b32 s42, exec_lo
	s_waitcnt vmcnt(0) lgkmcnt(0)
	s_waitcnt_vscnt null, 0x0
	flat_load_b32 v2, v[11:12] glc
	s_waitcnt vmcnt(0) lgkmcnt(0)
	buffer_gl1_inv
	buffer_gl0_inv
	v_cmpx_ne_u32_e32 0, v2
	s_cbranch_execz .LBB4_225
; %bb.232:                              ;   in Loop: Header=BB4_228 Depth=3
	ds_store_b32 v0, v2
	s_cbranch_execz .LBB4_233
; %bb.10800:
	s_getpc_b64 s[48:49]
.Lpost_getpc177:
	s_add_u32 s48, s48, (.LBB4_10243-.Lpost_getpc177)&4294967295
	s_addc_u32 s49, s49, (.LBB4_10243-.Lpost_getpc177)>>32
	s_setpc_b64 s[48:49]
.LBB4_233:                              ;   in Loop: Header=BB4_228 Depth=3
	v_or_b32_e32 v30, 64, v30
	s_xor_b32 s41, exec_lo, -1
	s_branch .LBB4_225
.LBB4_234:                              ;   in Loop: Header=BB4_222 Depth=2
	s_or_b32 exec_lo, exec_lo, s37
	v_and_b32_e32 v2, 8, v30
.LBB4_235:                              ;   in Loop: Header=BB4_222 Depth=2
	s_or_b32 exec_lo, exec_lo, s17
	s_delay_alu instid0(VALU_DEP_1)
	v_cmp_eq_u32_e32 vcc_lo, 0, v2
	;;#ASMSTART
	s_wakeup
	;;#ASMEND
	s_or_not1_b32 s17, vcc_lo, exec_lo
.LBB4_236:                              ;   in Loop: Header=BB4_222 Depth=2
	s_or_b32 exec_lo, exec_lo, s16
	v_sub_nc_u32_e32 v2, v16, v17
	s_xor_b32 s13, s13, -1
	s_delay_alu instid0(SALU_CYCLE_1) | instskip(NEXT) | instid1(SALU_CYCLE_1)
	s_and_b32 s13, exec_lo, s13
	s_or_b32 s15, s13, s15
	s_delay_alu instid0(VALU_DEP_1) | instskip(SKIP_1) | instid1(SALU_CYCLE_1)
	v_min_i32_e32 v8, v8, v2
	s_xor_b32 s13, s17, -1
	s_and_saveexec_b32 s16, s13
	s_cbranch_execz .LBB4_246
; %bb.237:                              ;   in Loop: Header=BB4_222 Depth=2
	v_and_b32_e32 v2, 0x100, v30
	s_mov_b32 s13, -1
                                        ; implicit-def: $vgpr9_vgpr10
	s_delay_alu instid0(VALU_DEP_1)
	v_cmp_ne_u32_e32 vcc_lo, 0, v2
	v_and_b32_e32 v2, 7, v34
	s_and_saveexec_b32 s17, vcc_lo
	s_cbranch_execz .LBB4_241
; %bb.238:                              ;   in Loop: Header=BB4_222 Depth=2
	s_delay_alu instid0(VALU_DEP_1)
	v_mad_u64_u32 v[11:12], null, v2, 24, v[6:7]
	v_ashrrev_i32_e32 v9, 31, v8
	flat_load_b32 v10, v[11:12]
	flat_store_b64 v[11:12], v[8:9] offset:8
	s_waitcnt vmcnt(0) lgkmcnt(1)
	v_cmp_ne_u32_e32 vcc_lo, 1, v10
	v_cmp_eq_u32_e64 s13, 1, v10
                                        ; implicit-def: $vgpr9_vgpr10
	s_delay_alu instid0(VALU_DEP_1)
	s_and_saveexec_b32 s37, s13
	s_cbranch_execz .LBB4_240
; %bb.239:                              ;   in Loop: Header=BB4_222 Depth=2
	flat_load_b32 v9, v[11:12] offset:4 glc
	s_waitcnt vmcnt(0) lgkmcnt(0)
	v_ashrrev_i32_e32 v10, 31, v9
.LBB4_240:                              ;   in Loop: Header=BB4_222 Depth=2
	s_or_b32 exec_lo, exec_lo, s37
	s_delay_alu instid0(SALU_CYCLE_1)
	s_or_not1_b32 s13, vcc_lo, exec_lo
.LBB4_241:                              ;   in Loop: Header=BB4_222 Depth=2
	s_or_b32 exec_lo, exec_lo, s17
	s_and_saveexec_b32 s17, s13
; %bb.242:                              ;   in Loop: Header=BB4_222 Depth=2
	v_mad_i64_i32 v[9:10], null, v2, v86, 0
; %bb.243:                              ;   in Loop: Header=BB4_222 Depth=2
	s_or_b32 exec_lo, exec_lo, s17
	s_delay_alu instid0(VALU_DEP_1) | instskip(SKIP_1) | instid1(VALU_DEP_3)
	v_add_co_u32 v9, vcc_lo, v36, v9
	v_and_b32_e32 v2, 0x2000, v30
	v_add_co_ci_u32_e32 v10, vcc_lo, v37, v10, vcc_lo
	s_mov_b32 s13, exec_lo
	ds_store_b64 v0, v[9:10] offset:784
	v_cmpx_ne_u32_e32 0, v2
	s_cbranch_execz .LBB4_245
; %bb.244:                              ;   in Loop: Header=BB4_222 Depth=2
	ds_load_b64 v[9:10], v0 offset:584
	s_waitcnt lgkmcnt(0)
	v_add_co_u32 v9, vcc_lo, v9, 1
	v_add_co_ci_u32_e32 v10, vcc_lo, 0, v10, vcc_lo
	ds_store_b64 v0, v[9:10] offset:584
.LBB4_245:                              ;   in Loop: Header=BB4_222 Depth=2
	s_or_b32 exec_lo, exec_lo, s13
	v_add_co_u32 v34, vcc_lo, v34, 2
	v_add_co_ci_u32_e32 v35, vcc_lo, 0, v35, vcc_lo
.LBB4_246:                              ;   in Loop: Header=BB4_222 Depth=2
	s_or_b32 exec_lo, exec_lo, s16
	s_and_saveexec_b32 s13, s3
	s_cbranch_execz .LBB4_268
; %bb.247:                              ;   in Loop: Header=BB4_222 Depth=2
	s_and_saveexec_b32 s16, s4
	s_delay_alu instid0(SALU_CYCLE_1)
	s_xor_b32 s16, exec_lo, s16
	s_cbranch_execz .LBB4_265
; %bb.248:                              ;   in Loop: Header=BB4_222 Depth=2
	s_and_saveexec_b32 s17, s1
	s_cbranch_execz .LBB4_264
; %bb.249:                              ;   in Loop: Header=BB4_222 Depth=2
	s_mov_b32 s38, exec_lo
	s_mov_b32 s37, exec_lo
	v_mbcnt_lo_u32_b32 v2, s38, 0
	s_waitcnt lgkmcnt(0)
	s_waitcnt_vscnt null, 0x0
	buffer_gl1_inv
	buffer_gl0_inv
	v_cmpx_eq_u32_e32 0, v2
	s_cbranch_execz .LBB4_251
; %bb.250:                              ;   in Loop: Header=BB4_222 Depth=2
	s_bcnt1_i32_b32 vcc_lo, s38
	s_delay_alu instid0(SALU_CYCLE_1)
	v_mov_b32_e32 v2, vcc_lo
	ds_add_u64 v0, v[2:3]
	s_cbranch_execz .LBB4_251
; %bb.10802:
	s_getpc_b64 s[48:49]
.Lpost_getpc178:
	s_add_u32 s48, s48, (.LBB4_10274-.Lpost_getpc178)&4294967295
	s_addc_u32 s49, s49, (.LBB4_10274-.Lpost_getpc178)>>32
	s_setpc_b64 s[48:49]
.LBB4_251:                              ;   in Loop: Header=BB4_222 Depth=2
	s_or_b32 exec_lo, exec_lo, s37
	s_cbranch_execz .LBB4_252
; %bb.10804:
	s_getpc_b64 s[48:49]
.Lpost_getpc179:
	s_add_u32 s48, s48, (.LBB4_10256-.Lpost_getpc179)&4294967295
	s_addc_u32 s49, s49, (.LBB4_10256-.Lpost_getpc179)>>32
	s_setpc_b64 s[48:49]
.LBB4_252:                              ;   in Loop: Header=BB4_222 Depth=2
	ds_load_b64 v[9:10], v0
	v_add_co_u32 v48, vcc_lo, v48, v97
	v_add_co_ci_u32_e32 v49, vcc_lo, 0, v49, vcc_lo
	s_mov_b32 s37, exec_lo
	s_waitcnt lgkmcnt(0)
	s_delay_alu instid0(VALU_DEP_1)
	v_cmpx_lt_u64_e64 v[9:10], v[48:49]
	s_cbranch_execz .LBB4_263
; %bb.253:                              ;   in Loop: Header=BB4_222 Depth=2
	s_mov_b32 s38, 0
	s_mov_b32 s41, 0
                                        ; implicit-def: $sgpr39
                                        ; implicit-def: $sgpr40
	s_branch .LBB4_255
.LBB4_254:                              ;   in Loop: Header=BB4_255 Depth=3
	s_or_b32 exec_lo, exec_lo, s43
	s_delay_alu instid0(SALU_CYCLE_1) | instskip(NEXT) | instid1(SALU_CYCLE_1)
	s_and_b32 vcc_lo, exec_lo, vcc_lo
	s_or_b32 s38, vcc_lo, s38
	s_and_not1_b32 vcc_lo, s39, exec_lo
	s_and_b32 s39, s40, exec_lo
	s_delay_alu instid0(SALU_CYCLE_1)
	s_or_b32 s39, vcc_lo, s39
	s_and_not1_b32 exec_lo, exec_lo, s38
	s_cbranch_execz .LBB4_261
.LBB4_255:                              ;   Parent Loop BB4_51 Depth=1
                                        ;     Parent Loop BB4_222 Depth=2
                                        ; =>    This Inner Loop Header: Depth=3
	s_add_i32 s41, s41, 1
                                        ; implicit-def: $sgpr43
	s_delay_alu instid0(SALU_CYCLE_1) | instskip(SKIP_1) | instid1(SALU_CYCLE_1)
	s_cmpk_lg_i32 s41, 0x2710
	s_cselect_b32 s42, -1, 0
	s_and_b32 vcc_lo, exec_lo, s42
	s_cbranch_vccz .LBB4_259
.LBB4_256:                              ;   in Loop: Header=BB4_255 Depth=3
	s_and_not1_b32 s40, s40, exec_lo
	s_and_b32 s43, s43, exec_lo
	s_mov_b32 vcc_lo, -1
	s_or_b32 s40, s40, s43
	s_and_saveexec_b32 s43, s42
	s_cbranch_execz .LBB4_254
; %bb.257:                              ;   in Loop: Header=BB4_255 Depth=3
	s_sleep 1
	s_cbranch_execz .LBB4_258
; %bb.10806:
	s_getpc_b64 s[48:49]
.Lpost_getpc180:
	s_add_u32 s48, s48, (.LBB4_10304-.Lpost_getpc180)&4294967295
	s_addc_u32 s49, s49, (.LBB4_10304-.Lpost_getpc180)>>32
	s_setpc_b64 s[48:49]
.LBB4_258:                              ;   in Loop: Header=BB4_255 Depth=3
	ds_load_b64 v[9:10], v0
	s_and_not1_b32 s40, s40, exec_lo
	s_waitcnt lgkmcnt(0)
	v_cmp_ge_u64_e32 vcc_lo, v[9:10], v[48:49]
	s_or_not1_b32 vcc_lo, vcc_lo, exec_lo
	s_branch .LBB4_254
.LBB4_259:                              ;   in Loop: Header=BB4_255 Depth=3
	s_cbranch_execz .LBB4_260
; %bb.10808:
	s_getpc_b64 s[48:49]
.Lpost_getpc181:
	s_add_u32 s48, s48, (.LBB4_10310-.Lpost_getpc181)&4294967295
	s_addc_u32 s49, s49, (.LBB4_10310-.Lpost_getpc181)>>32
	s_setpc_b64 s[48:49]
.LBB4_260:                              ;   in Loop: Header=BB4_255 Depth=3
	ds_load_b64 v[9:10], v0
	s_and_not1_b32 s42, s42, exec_lo
	s_mov_b32 s41, 0
	s_mov_b32 s43, -1
	s_waitcnt lgkmcnt(0)
	flat_load_b32 v2, v[9:10] glc
	s_waitcnt vmcnt(0) lgkmcnt(0)
	buffer_gl1_inv
	buffer_gl0_inv
	v_cmp_eq_u32_e32 vcc_lo, 0, v2
	s_and_b32 vcc_lo, vcc_lo, exec_lo
	s_delay_alu instid0(SALU_CYCLE_1)
	s_or_b32 s42, s42, vcc_lo
	s_branch .LBB4_256
.LBB4_261:                              ;   in Loop: Header=BB4_222 Depth=2
	s_or_b32 exec_lo, exec_lo, s38
	s_and_saveexec_b32 vcc_lo, s39
	s_delay_alu instid0(SALU_CYCLE_1)
	s_xor_b32 vcc_lo, exec_lo, vcc_lo
	s_cbranch_execz .LBB4_263
; %bb.262:                              ;   in Loop: Header=BB4_222 Depth=2
	ds_store_b32 v0, v134
	s_cbranch_execz .LBB4_263
; %bb.10810:
	s_getpc_b64 s[48:49]
.Lpost_getpc182:
	s_add_u32 s48, s48, (.LBB4_10518-.Lpost_getpc182)&4294967295
	s_addc_u32 s49, s49, (.LBB4_10518-.Lpost_getpc182)>>32
	s_setpc_b64 s[48:49]
.LBB4_263:                              ;   in Loop: Header=BB4_222 Depth=2
	s_or_b32 exec_lo, exec_lo, s37
	;;#ASMSTART
	s_wakeup
	;;#ASMEND
.LBB4_264:                              ;   in Loop: Header=BB4_222 Depth=2
	s_or_b32 exec_lo, exec_lo, s17
.LBB4_265:                              ;   in Loop: Header=BB4_222 Depth=2
	s_and_not1_saveexec_b32 s16, s16
	s_cbranch_execz .LBB4_267
; %bb.266:                              ;   in Loop: Header=BB4_222 Depth=2
	s_waitcnt lgkmcnt(0)
	s_waitcnt_vscnt null, 0x0
	buffer_gl1_inv
	buffer_gl0_inv
	s_barrier
.LBB4_267:                              ;   in Loop: Header=BB4_222 Depth=2
	s_or_b32 exec_lo, exec_lo, s16
.LBB4_268:                              ;   in Loop: Header=BB4_222 Depth=2
	s_delay_alu instid0(SALU_CYCLE_1) | instskip(SKIP_1) | instid1(SALU_CYCLE_1)
	s_or_b32 exec_lo, exec_lo, s13
                                        ; implicit-def: $vgpr2
	s_and_saveexec_b32 s13, s7
	s_xor_b32 s16, exec_lo, s13
	s_cbranch_execz .LBB4_273
; %bb.269:                              ;   in Loop: Header=BB4_222 Depth=2
	s_cbranch_execz .LBB4_270
; %bb.10812:
	s_getpc_b64 s[48:49]
.Lpost_getpc183:
	s_add_u32 s48, s48, (.LBB4_10229-.Lpost_getpc183)&4294967295
	s_addc_u32 s49, s49, (.LBB4_10229-.Lpost_getpc183)>>32
	s_setpc_b64 s[48:49]
.LBB4_270:                              ;   in Loop: Header=BB4_222 Depth=2
	ds_load_b32 v2, v0
	v_cmp_lt_i32_e32 vcc_lo, 0, v8
	s_waitcnt lgkmcnt(0)
	v_readfirstlane_b32 s13, v2
	v_and_b32_e32 v2, 16, v30
	s_delay_alu instid0(VALU_DEP_2) | instskip(NEXT) | instid1(VALU_DEP_1)
	s_cmp_eq_u32 s13, 0
	v_cmp_ne_u32_e64 s13, 0, v2
	s_cselect_b32 s17, -1, 0
	v_and_b32_e32 v2, 16, v30
	s_and_b32 s17, vcc_lo, s17
	s_delay_alu instid0(VALU_DEP_2) | instid1(SALU_CYCLE_1)
	s_and_b32 s17, s13, s17
	s_delay_alu instid0(SALU_CYCLE_1)
	s_and_saveexec_b32 s13, s17
	s_cbranch_execz .LBB4_272
; %bb.271:                              ;   in Loop: Header=BB4_222 Depth=2
	v_mov_b32_e32 v2, 1
	s_waitcnt_vscnt null, 0x0
	buffer_gl1_inv
	buffer_gl0_inv
.LBB4_272:                              ;   in Loop: Header=BB4_222 Depth=2
	s_or_b32 exec_lo, exec_lo, s13
.LBB4_273:                              ;   in Loop: Header=BB4_222 Depth=2
	s_and_not1_saveexec_b32 s13, s16
	s_cbranch_execz .LBB4_295
; %bb.274:                              ;   in Loop: Header=BB4_222 Depth=2
	s_and_saveexec_b32 s16, s4
	s_delay_alu instid0(SALU_CYCLE_1)
	s_xor_b32 s16, exec_lo, s16
	s_cbranch_execz .LBB4_292
; %bb.275:                              ;   in Loop: Header=BB4_222 Depth=2
	s_and_saveexec_b32 s17, s1
	s_cbranch_execz .LBB4_291
; %bb.276:                              ;   in Loop: Header=BB4_222 Depth=2
	s_mov_b32 s38, exec_lo
	s_mov_b32 s37, exec_lo
	v_mbcnt_lo_u32_b32 v2, s38, 0
	;;#ASMSTART
	s_waitcnt lgkmcnt(0) vmcnt(0)
	;;#ASMEND
	s_delay_alu instid0(VALU_DEP_1)
	v_cmpx_eq_u32_e32 0, v2
	s_cbranch_execz .LBB4_278
; %bb.277:                              ;   in Loop: Header=BB4_222 Depth=2
	s_bcnt1_i32_b32 vcc_lo, s38
	s_delay_alu instid0(SALU_CYCLE_1)
	v_mov_b32_e32 v2, vcc_lo
	ds_add_u64 v0, v[2:3]
	s_cbranch_execz .LBB4_278
; %bb.10814:
	s_getpc_b64 s[48:49]
.Lpost_getpc184:
	s_add_u32 s48, s48, (.LBB4_10292-.Lpost_getpc184)&4294967295
	s_addc_u32 s49, s49, (.LBB4_10292-.Lpost_getpc184)>>32
	s_setpc_b64 s[48:49]
.LBB4_278:                              ;   in Loop: Header=BB4_222 Depth=2
	s_or_b32 exec_lo, exec_lo, s37
	s_cbranch_execz .LBB4_279
; %bb.10816:
	s_getpc_b64 s[48:49]
.Lpost_getpc185:
	s_add_u32 s48, s48, (.LBB4_10270-.Lpost_getpc185)&4294967295
	s_addc_u32 s49, s49, (.LBB4_10270-.Lpost_getpc185)>>32
	s_setpc_b64 s[48:49]
.LBB4_279:                              ;   in Loop: Header=BB4_222 Depth=2
	ds_load_b64 v[9:10], v0
	v_add_co_u32 v48, vcc_lo, v48, v97
	v_add_co_ci_u32_e32 v49, vcc_lo, 0, v49, vcc_lo
	s_mov_b32 s37, exec_lo
	s_waitcnt lgkmcnt(0)
	s_delay_alu instid0(VALU_DEP_1)
	v_cmpx_lt_u64_e64 v[9:10], v[48:49]
	s_cbranch_execz .LBB4_290
; %bb.280:                              ;   in Loop: Header=BB4_222 Depth=2
	s_mov_b32 s38, 0
	s_mov_b32 s41, 0
                                        ; implicit-def: $sgpr39
                                        ; implicit-def: $sgpr40
	s_branch .LBB4_282
.LBB4_281:                              ;   in Loop: Header=BB4_282 Depth=3
	s_or_b32 exec_lo, exec_lo, s43
	s_delay_alu instid0(SALU_CYCLE_1) | instskip(NEXT) | instid1(SALU_CYCLE_1)
	s_and_b32 vcc_lo, exec_lo, vcc_lo
	s_or_b32 s38, vcc_lo, s38
	s_and_not1_b32 vcc_lo, s39, exec_lo
	s_and_b32 s39, s40, exec_lo
	s_delay_alu instid0(SALU_CYCLE_1)
	s_or_b32 s39, vcc_lo, s39
	s_and_not1_b32 exec_lo, exec_lo, s38
	s_cbranch_execz .LBB4_288
.LBB4_282:                              ;   Parent Loop BB4_51 Depth=1
                                        ;     Parent Loop BB4_222 Depth=2
                                        ; =>    This Inner Loop Header: Depth=3
	s_add_i32 s41, s41, 1
                                        ; implicit-def: $sgpr43
	s_delay_alu instid0(SALU_CYCLE_1) | instskip(SKIP_1) | instid1(SALU_CYCLE_1)
	s_cmpk_lg_i32 s41, 0x2710
	s_cselect_b32 s42, -1, 0
	s_and_b32 vcc_lo, exec_lo, s42
	s_cbranch_vccz .LBB4_286
.LBB4_283:                              ;   in Loop: Header=BB4_282 Depth=3
	s_and_not1_b32 s40, s40, exec_lo
	s_and_b32 s43, s43, exec_lo
	s_mov_b32 vcc_lo, -1
	s_or_b32 s40, s40, s43
	s_and_saveexec_b32 s43, s42
	s_cbranch_execz .LBB4_281
; %bb.284:                              ;   in Loop: Header=BB4_282 Depth=3
	s_sleep 1
	s_cbranch_execz .LBB4_285
; %bb.10818:
	s_getpc_b64 s[48:49]
.Lpost_getpc186:
	s_add_u32 s48, s48, (.LBB4_10316-.Lpost_getpc186)&4294967295
	s_addc_u32 s49, s49, (.LBB4_10316-.Lpost_getpc186)>>32
	s_setpc_b64 s[48:49]
.LBB4_285:                              ;   in Loop: Header=BB4_282 Depth=3
	ds_load_b64 v[9:10], v0
	s_and_not1_b32 s40, s40, exec_lo
	s_waitcnt lgkmcnt(0)
	v_cmp_ge_u64_e32 vcc_lo, v[9:10], v[48:49]
	s_or_not1_b32 vcc_lo, vcc_lo, exec_lo
	s_branch .LBB4_281
.LBB4_286:                              ;   in Loop: Header=BB4_282 Depth=3
	s_cbranch_execz .LBB4_287
; %bb.10820:
	s_getpc_b64 s[48:49]
.Lpost_getpc187:
	s_add_u32 s48, s48, (.LBB4_10328-.Lpost_getpc187)&4294967295
	s_addc_u32 s49, s49, (.LBB4_10328-.Lpost_getpc187)>>32
	s_setpc_b64 s[48:49]
.LBB4_287:                              ;   in Loop: Header=BB4_282 Depth=3
	ds_load_b64 v[9:10], v0
	s_and_not1_b32 s42, s42, exec_lo
	s_mov_b32 s41, 0
	s_mov_b32 s43, -1
	s_waitcnt lgkmcnt(0)
	s_waitcnt_vscnt null, 0x0
	flat_load_b32 v2, v[9:10] glc
	s_waitcnt vmcnt(0) lgkmcnt(0)
	buffer_gl1_inv
	buffer_gl0_inv
	v_cmp_eq_u32_e32 vcc_lo, 0, v2
	s_and_b32 vcc_lo, vcc_lo, exec_lo
	s_delay_alu instid0(SALU_CYCLE_1)
	s_or_b32 s42, s42, vcc_lo
	s_branch .LBB4_283
.LBB4_288:                              ;   in Loop: Header=BB4_222 Depth=2
	s_or_b32 exec_lo, exec_lo, s38
	s_and_saveexec_b32 vcc_lo, s39
	s_delay_alu instid0(SALU_CYCLE_1)
	s_xor_b32 vcc_lo, exec_lo, vcc_lo
	s_cbranch_execz .LBB4_290
; %bb.289:                              ;   in Loop: Header=BB4_222 Depth=2
	ds_store_b32 v0, v134
	s_cbranch_execz .LBB4_290
; %bb.10822:
	s_getpc_b64 s[48:49]
.Lpost_getpc188:
	s_add_u32 s48, s48, (.LBB4_10536-.Lpost_getpc188)&4294967295
	s_addc_u32 s49, s49, (.LBB4_10536-.Lpost_getpc188)>>32
	s_setpc_b64 s[48:49]
.LBB4_290:                              ;   in Loop: Header=BB4_222 Depth=2
	s_or_b32 exec_lo, exec_lo, s37
	;;#ASMSTART
	s_wakeup
	;;#ASMEND
.LBB4_291:                              ;   in Loop: Header=BB4_222 Depth=2
	s_or_b32 exec_lo, exec_lo, s17
.LBB4_292:                              ;   in Loop: Header=BB4_222 Depth=2
	s_and_not1_saveexec_b32 s16, s16
	s_cbranch_execz .LBB4_294
; %bb.293:                              ;   in Loop: Header=BB4_222 Depth=2
	;;#ASMSTART
	s_waitcnt lgkmcnt(0) vmcnt(0)
	;;#ASMEND
	s_waitcnt lgkmcnt(0)
	s_waitcnt_vscnt null, 0x0
	s_barrier
.LBB4_294:                              ;   in Loop: Header=BB4_222 Depth=2
	s_or_b32 exec_lo, exec_lo, s16
	v_and_b32_e32 v2, 16, v30
.LBB4_295:                              ;   in Loop: Header=BB4_222 Depth=2
	s_or_b32 exec_lo, exec_lo, s13
	s_delay_alu instid0(SALU_CYCLE_1) | instskip(NEXT) | instid1(VALU_DEP_1)
	s_mov_b32 s13, exec_lo
	v_cmpx_ne_u32_e32 0, v2
	s_cbranch_execz .LBB4_299
; %bb.296:                              ;   in Loop: Header=BB4_222 Depth=2
	s_and_saveexec_b32 s16, s11
	s_cbranch_execz .LBB4_298
; %bb.297:                              ;   in Loop: Header=BB4_222 Depth=2
	s_waitcnt lgkmcnt(0)
	s_waitcnt_vscnt null, 0x0
	flat_store_b32 v[38:39], v134
.LBB4_298:                              ;   in Loop: Header=BB4_222 Depth=2
	s_or_b32 exec_lo, exec_lo, s16
	v_add_co_u32 v34, vcc_lo, v34, 2
	v_add_co_ci_u32_e32 v35, vcc_lo, 0, v35, vcc_lo
	s_waitcnt lgkmcnt(0)
	s_waitcnt_vscnt null, 0x0
	flat_store_b64 v[32:33], v[34:35]
.LBB4_299:                              ;   in Loop: Header=BB4_222 Depth=2
	s_or_b32 exec_lo, exec_lo, s13
	v_add_nc_u32_e32 v17, v8, v17
	s_mov_b32 s13, 0
	s_and_not1_b32 exec_lo, exec_lo, s15
	s_cbranch_execnz .LBB4_222
; %bb.300:                              ;   in Loop: Header=BB4_51 Depth=1
	s_or_b32 exec_lo, exec_lo, s15
.LBB4_301:                              ;   in Loop: Header=BB4_51 Depth=1
	s_delay_alu instid0(SALU_CYCLE_1) | instskip(NEXT) | instid1(SALU_CYCLE_1)
	s_or_b32 exec_lo, exec_lo, s14
	s_and_not1_b32 vcc_lo, exec_lo, s29
                                        ; implicit-def: $vgpr56 : SGPR spill to VGPR lane
	s_cbranch_vccnz .LBB4_3482
; %bb.302:                              ;   in Loop: Header=BB4_51 Depth=1
	s_mov_b32 s15, 2
.LBB4_303:                              ;   Parent Loop BB4_51 Depth=1
                                        ; =>  This Loop Header: Depth=2
                                        ;       Child Loop BB4_305 Depth 3
                                        ;         Child Loop BB4_314 Depth 4
                                        ;         Child Loop BB4_344 Depth 4
	;; [unrolled: 1-line block ×9, first 2 shown]
                                        ;       Child Loop BB4_3397 Depth 3
                                        ;         Child Loop BB4_3403 Depth 4
                                        ;         Child Loop BB4_3435 Depth 4
                                        ;         Child Loop BB4_3457 Depth 4
	s_delay_alu instid0(SALU_CYCLE_1) | instskip(SKIP_4) | instid1(SALU_CYCLE_1)
	s_sub_i32 s13, s25, s15
	v_mov_b32_e32 v146, 0
	s_cmp_le_i32 s19, s13
	s_mov_b32 s17, 0
	s_cselect_b32 s14, s19, 0
	s_sub_i32 s13, s13, s14
	s_delay_alu instid0(SALU_CYCLE_1) | instskip(SKIP_3) | instid1(VALU_DEP_1)
	s_ashr_i32 s14, s13, 31
	v_mul_lo_u32 v2, v65, s13
	v_mad_u64_u32 v[70:71], null, v64, s13, 0
	v_mul_lo_u32 v8, v64, s14
	v_add3_u32 v71, v71, v8, v2
	s_delay_alu instid0(VALU_DEP_3) | instskip(NEXT) | instid1(VALU_DEP_2)
	v_sub_co_u32 v8, vcc_lo, v66, v70
	v_sub_co_ci_u32_e32 v9, vcc_lo, v67, v71, vcc_lo
	s_delay_alu instid0(VALU_DEP_1) | instskip(SKIP_1) | instid1(VALU_DEP_1)
	v_cmp_lt_i64_e32 vcc_lo, v[64:65], v[8:9]
	v_cndmask_b32_e32 v8, v8, v64, vcc_lo
	v_max_i32_e32 v145, 0, v8
	s_delay_alu instid0(VALU_DEP_1) | instskip(NEXT) | instid1(VALU_DEP_1)
	v_add_nc_u32_e32 v2, 31, v145
	v_lshrrev_b32_e32 v2, 1, v2
	s_delay_alu instid0(VALU_DEP_1) | instskip(SKIP_2) | instid1(VALU_DEP_3)
	v_and_b32_e32 v9, 0x3ffffff0, v2
	v_cmp_lt_i32_e32 vcc_lo, 0, v8
	v_mov_b32_e32 v2, 0
	v_max_i32_e32 v68, s28, v9
	s_and_b32 s13, s30, vcc_lo
	s_delay_alu instid0(SALU_CYCLE_1)
	s_and_saveexec_b32 s16, s13
	s_cbranch_execz .LBB4_3395
; %bb.304:                              ;   in Loop: Header=BB4_303 Depth=2
	v_mov_b32_e32 v146, 0
	s_mov_b32 s14, 1
	s_mov_b32 s37, -1
.LBB4_305:                              ;   Parent Loop BB4_51 Depth=1
                                        ;     Parent Loop BB4_303 Depth=2
                                        ; =>    This Loop Header: Depth=3
                                        ;         Child Loop BB4_314 Depth 4
                                        ;         Child Loop BB4_344 Depth 4
	;; [unrolled: 1-line block ×9, first 2 shown]
	s_and_saveexec_b32 s13, s0
	s_cbranch_execz .LBB4_308
; %bb.306:                              ;   in Loop: Header=BB4_305 Depth=3
	s_cbranch_execz .LBB4_307
; %bb.10824:
	s_getpc_b64 s[48:49]
.Lpost_getpc189:
	s_add_u32 s48, s48, (.LBB4_10239-.Lpost_getpc189)&4294967295
	s_addc_u32 s49, s49, (.LBB4_10239-.Lpost_getpc189)>>32
	s_setpc_b64 s[48:49]
.LBB4_307:                              ;   in Loop: Header=BB4_305 Depth=3
	ds_load_b64 v[8:9], v0
	s_waitcnt lgkmcnt(0)
	v_add_co_u32 v2, vcc_lo, v8, v135
	v_add_co_ci_u32_e32 v8, vcc_lo, v9, v144, vcc_lo
	v_ashrrev_i32_e32 v9, 31, v146
	s_delay_alu instid0(VALU_DEP_3) | instskip(NEXT) | instid1(VALU_DEP_3)
	v_add_co_u32 v2, vcc_lo, v2, v70
	v_add_co_ci_u32_e32 v10, vcc_lo, v8, v71, vcc_lo
	s_delay_alu instid0(VALU_DEP_2) | instskip(NEXT) | instid1(VALU_DEP_2)
	v_add_co_u32 v8, vcc_lo, v2, v146
	v_add_co_ci_u32_e32 v9, vcc_lo, v10, v9, vcc_lo
	v_mov_b32_e32 v2, v3
	ds_store_b64 v0, v[8:9]
	ds_store_b64 v0, v[2:3]
.LBB4_308:                              ;   in Loop: Header=BB4_305 Depth=3
	s_or_b32 exec_lo, exec_lo, s13
	v_and_b32_e32 v2, 12, v30
	s_mov_b32 s38, -1
	s_mov_b32 s13, exec_lo
	s_delay_alu instid0(VALU_DEP_1)
	v_cmpx_ne_u32_e32 0, v2
	v_writelane_b32 v56, s14, 9
	s_cbranch_execz .LBB4_322
; %bb.309:                              ;   in Loop: Header=BB4_305 Depth=3
	v_and_b32_e32 v2, 8, v30
	s_mov_b32 s14, s37
	s_delay_alu instid0(VALU_DEP_1) | instskip(SKIP_3) | instid1(VALU_DEP_1)
	v_add_co_u32 v10, vcc_lo, v50, v2
	v_add_co_ci_u32_e32 v11, vcc_lo, 0, v51, vcc_lo
	v_add_co_u32 v8, vcc_lo, v34, 2
	v_add_co_ci_u32_e32 v9, vcc_lo, 0, v35, vcc_lo
	v_cmp_lt_u64_e32 vcc_lo, v[10:11], v[8:9]
	v_mov_b32_e32 v10, 1
	s_and_saveexec_b32 s37, vcc_lo
	s_cbranch_execz .LBB4_321
; %bb.310:                              ;   in Loop: Header=BB4_305 Depth=3
	v_mov_b32_e32 v10, 0
	s_mov_b32 s38, 0
                                        ; implicit-def: $sgpr39
	s_branch .LBB4_314
.LBB4_311:                              ;   in Loop: Header=BB4_314 Depth=4
	s_or_b32 exec_lo, exec_lo, s43
	v_mov_b32_e32 v11, 0
	s_or_not1_b32 s42, s42, exec_lo
.LBB4_312:                              ;   in Loop: Header=BB4_314 Depth=4
	s_or_b32 exec_lo, exec_lo, s41
	s_delay_alu instid0(VALU_DEP_1) | instskip(SKIP_2) | instid1(SALU_CYCLE_1)
	v_mov_b32_e32 v10, v11
	s_and_not1_b32 vcc_lo, s39, exec_lo
	s_and_b32 s39, s42, exec_lo
	s_or_b32 s39, vcc_lo, s39
.LBB4_313:                              ;   in Loop: Header=BB4_314 Depth=4
	s_or_b32 exec_lo, exec_lo, s40
	s_waitcnt vmcnt(0) lgkmcnt(0)
	v_add_co_u32 v11, vcc_lo, v50, v2
	v_add_co_ci_u32_e32 v12, vcc_lo, 0, v51, vcc_lo
	s_xor_b32 s40, s39, -1
	s_delay_alu instid0(VALU_DEP_1) | instskip(SKIP_1) | instid1(SALU_CYCLE_1)
	v_cmp_ge_u64_e32 vcc_lo, v[11:12], v[8:9]
	s_or_b32 vcc_lo, s40, vcc_lo
	s_and_b32 vcc_lo, exec_lo, vcc_lo
	s_delay_alu instid0(SALU_CYCLE_1) | instskip(NEXT) | instid1(SALU_CYCLE_1)
	s_or_b32 s38, vcc_lo, s38
	s_and_not1_b32 exec_lo, exec_lo, s38
	s_cbranch_execz .LBB4_320
.LBB4_314:                              ;   Parent Loop BB4_51 Depth=1
                                        ;     Parent Loop BB4_303 Depth=2
                                        ;       Parent Loop BB4_305 Depth=3
                                        ; =>      This Inner Loop Header: Depth=4
	s_sleep 1
	flat_load_b64 v[50:51], v[32:33] glc
	v_and_b32_e32 v11, 64, v30
	s_and_not1_b32 s39, s39, exec_lo
	s_mov_b32 s40, exec_lo
	s_delay_alu instid0(VALU_DEP_1)
	v_cmpx_eq_u32_e32 0, v11
	s_cbranch_execz .LBB4_313
; %bb.315:                              ;   in Loop: Header=BB4_314 Depth=4
	v_add_nc_u32_e32 v11, 1, v10
	s_mov_b32 s42, -1
	s_mov_b32 s41, exec_lo
	v_cmpx_lt_i32_e32 0x270e, v10
	s_cbranch_execz .LBB4_312
; %bb.316:                              ;   in Loop: Header=BB4_314 Depth=4
	s_cbranch_execz .LBB4_317
; %bb.10826:
	s_getpc_b64 s[48:49]
.Lpost_getpc190:
	s_add_u32 s48, s48, (.LBB4_10272-.Lpost_getpc190)&4294967295
	s_addc_u32 s49, s49, (.LBB4_10272-.Lpost_getpc190)>>32
	s_setpc_b64 s[48:49]
.LBB4_317:                              ;   in Loop: Header=BB4_314 Depth=4
	ds_load_b64 v[10:11], v0
	s_mov_b32 s43, exec_lo
	s_waitcnt vmcnt(0) lgkmcnt(0)
	s_waitcnt_vscnt null, 0x0
	flat_load_b32 v10, v[10:11] glc
	s_waitcnt vmcnt(0) lgkmcnt(0)
	buffer_gl1_inv
	buffer_gl0_inv
	v_cmpx_ne_u32_e32 0, v10
	s_cbranch_execz .LBB4_311
; %bb.318:                              ;   in Loop: Header=BB4_314 Depth=4
	ds_store_b32 v0, v10
	s_cbranch_execz .LBB4_319
; %bb.10828:
	s_getpc_b64 s[48:49]
.Lpost_getpc191:
	s_add_u32 s48, s48, (.LBB4_10322-.Lpost_getpc191)&4294967295
	s_addc_u32 s49, s49, (.LBB4_10322-.Lpost_getpc191)>>32
	s_setpc_b64 s[48:49]
.LBB4_319:                              ;   in Loop: Header=BB4_314 Depth=4
	v_or_b32_e32 v30, 64, v30
	s_xor_b32 s42, exec_lo, -1
	s_branch .LBB4_311
.LBB4_320:                              ;   in Loop: Header=BB4_305 Depth=3
	s_or_b32 exec_lo, exec_lo, s38
	v_and_b32_e32 v10, 12, v30
.LBB4_321:                              ;   in Loop: Header=BB4_305 Depth=3
	s_or_b32 exec_lo, exec_lo, s37
	s_delay_alu instid0(VALU_DEP_1)
	v_cmp_eq_u32_e32 vcc_lo, 0, v10
	s_mov_b32 s37, s14
	;;#ASMSTART
	s_wakeup
	;;#ASMEND
	s_or_not1_b32 s38, vcc_lo, exec_lo
.LBB4_322:                              ;   in Loop: Header=BB4_305 Depth=3
	s_or_b32 exec_lo, exec_lo, s13
	v_sub_nc_u32_e32 v2, v145, v146
	s_xor_b32 s13, s38, -1
	s_delay_alu instid0(VALU_DEP_1)
	v_min_i32_e32 v68, v68, v2
	s_and_saveexec_b32 s14, s13
	s_cbranch_execz .LBB4_335
; %bb.323:                              ;   in Loop: Header=BB4_305 Depth=3
	v_and_b32_e32 v2, 0x108, v30
	s_delay_alu instid0(VALU_DEP_1) | instskip(SKIP_2) | instid1(SALU_CYCLE_1)
	v_cmp_ne_u32_e32 vcc_lo, 0x108, v2
	v_and_b32_e32 v2, 7, v34
	s_and_saveexec_b32 s13, vcc_lo
	s_xor_b32 s13, exec_lo, s13
	s_delay_alu instid0(SALU_CYCLE_1)
	s_and_not1_saveexec_b32 s13, s13
	s_cbranch_execz .LBB4_325
; %bb.324:                              ;   in Loop: Header=BB4_305 Depth=3
	v_mad_u64_u32 v[8:9], null, v2, 24, v[6:7]
	v_ashrrev_i32_e32 v69, 31, v68
	flat_store_b64 v[8:9], v[68:69] offset:8
.LBB4_325:                              ;   in Loop: Header=BB4_305 Depth=3
	s_or_b32 exec_lo, exec_lo, s13
	v_and_b32_e32 v8, 0x100, v30
	s_mov_b32 s13, -1
	s_delay_alu instid0(VALU_DEP_1)
	v_cmp_ne_u32_e32 vcc_lo, 0, v8
                                        ; implicit-def: $vgpr8_vgpr9
	s_and_saveexec_b32 s38, vcc_lo
	s_cbranch_execnz .LBB4_328
; %bb.326:                              ;   in Loop: Header=BB4_305 Depth=3
	s_or_b32 exec_lo, exec_lo, s38
	s_and_saveexec_b32 vcc_lo, s13
	s_cbranch_execnz .LBB4_331
.LBB4_327:                              ;   in Loop: Header=BB4_305 Depth=3
	s_or_b32 exec_lo, exec_lo, vcc_lo
	s_cbranch_execz .LBB4_332
; %bb.10830:
	s_getpc_b64 s[48:49]
.Lpost_getpc192:
	s_add_u32 s48, s48, (.LBB4_10266-.Lpost_getpc192)&4294967295
	s_addc_u32 s49, s49, (.LBB4_10266-.Lpost_getpc192)>>32
	s_setpc_b64 s[48:49]
.LBB4_328:                              ;   in Loop: Header=BB4_305 Depth=3
	v_mad_u64_u32 v[10:11], null, v2, 24, v[6:7]
	s_delay_alu instid0(VALU_DEP_1) | instskip(NEXT) | instid1(VALU_DEP_1)
	v_mov_b32_e32 v8, v11
	v_mad_u64_u32 v[11:12], null, v3, 24, v[8:9]
	flat_load_b32 v8, v[10:11]
	s_waitcnt vmcnt(0) lgkmcnt(0)
	v_cmp_ne_u32_e32 vcc_lo, 1, v8
	v_cmp_eq_u32_e64 s13, 1, v8
                                        ; implicit-def: $vgpr8_vgpr9
	s_delay_alu instid0(VALU_DEP_1)
	s_and_saveexec_b32 s39, s13
	s_cbranch_execz .LBB4_330
; %bb.329:                              ;   in Loop: Header=BB4_305 Depth=3
	flat_load_b32 v8, v[10:11] offset:4 glc
	s_waitcnt vmcnt(0) lgkmcnt(0)
	v_ashrrev_i32_e32 v9, 31, v8
.LBB4_330:                              ;   in Loop: Header=BB4_305 Depth=3
	s_or_b32 exec_lo, exec_lo, s39
	s_delay_alu instid0(SALU_CYCLE_1)
	s_or_not1_b32 s13, vcc_lo, exec_lo
	s_or_b32 exec_lo, exec_lo, s38
	s_and_saveexec_b32 vcc_lo, s13
	s_cbranch_execz .LBB4_327
.LBB4_331:                              ;   in Loop: Header=BB4_305 Depth=3
	v_mul_lo_u32 v10, v3, v86
	v_mul_lo_u32 v11, v2, v96
	v_mad_u64_u32 v[8:9], null, v2, v86, 0
	s_delay_alu instid0(VALU_DEP_1)
	v_add3_u32 v9, v9, v11, v10
	s_or_b32 exec_lo, exec_lo, vcc_lo
	s_cbranch_execz .LBB4_332
; %bb.10832:
	s_getpc_b64 s[48:49]
.Lpost_getpc193:
	s_add_u32 s48, s48, (.LBB4_10266-.Lpost_getpc193)&4294967295
	s_addc_u32 s49, s49, (.LBB4_10266-.Lpost_getpc193)>>32
	s_setpc_b64 s[48:49]
.LBB4_332:                              ;   in Loop: Header=BB4_305 Depth=3
	s_delay_alu instid0(VALU_DEP_2)
	v_add_co_u32 v8, vcc_lo, v36, v8
	v_and_b32_e32 v2, 0x2000, v30
	v_add_co_ci_u32_e32 v9, vcc_lo, v37, v9, vcc_lo
	s_mov_b32 s13, exec_lo
	ds_store_b64 v0, v[8:9]
	v_cmpx_ne_u32_e32 0, v2
	s_cbranch_execz .LBB4_334
; %bb.333:                              ;   in Loop: Header=BB4_305 Depth=3
	ds_load_b64 v[8:9], v0 offset:584
	s_waitcnt lgkmcnt(0)
	v_add_co_u32 v8, vcc_lo, v8, 1
	v_add_co_ci_u32_e32 v9, vcc_lo, 0, v9, vcc_lo
	ds_store_b64 v0, v[8:9] offset:584
.LBB4_334:                              ;   in Loop: Header=BB4_305 Depth=3
	s_or_b32 exec_lo, exec_lo, s13
	v_add_co_u32 v34, vcc_lo, v34, 2
	v_add_co_ci_u32_e32 v35, vcc_lo, 0, v35, vcc_lo
.LBB4_335:                              ;   in Loop: Header=BB4_305 Depth=3
	s_or_b32 exec_lo, exec_lo, s14
	v_writelane_b32 v56, s37, 10
	s_and_saveexec_b32 s13, s3
	s_cbranch_execz .LBB4_357
; %bb.336:                              ;   in Loop: Header=BB4_305 Depth=3
	s_and_saveexec_b32 s14, s4
	s_delay_alu instid0(SALU_CYCLE_1)
	s_xor_b32 s14, exec_lo, s14
	s_cbranch_execz .LBB4_354
; %bb.337:                              ;   in Loop: Header=BB4_305 Depth=3
	s_and_saveexec_b32 s37, s1
	s_cbranch_execz .LBB4_353
; %bb.338:                              ;   in Loop: Header=BB4_305 Depth=3
	s_mov_b32 s39, exec_lo
	s_mov_b32 s38, exec_lo
	v_mbcnt_lo_u32_b32 v2, s39, 0
	s_waitcnt vmcnt(0) lgkmcnt(0)
	s_waitcnt_vscnt null, 0x0
	buffer_gl1_inv
	buffer_gl0_inv
	v_cmpx_eq_u32_e32 0, v2
	s_cbranch_execz .LBB4_340
; %bb.339:                              ;   in Loop: Header=BB4_305 Depth=3
	s_bcnt1_i32_b32 vcc_lo, s39
	s_delay_alu instid0(SALU_CYCLE_1)
	v_mov_b32_e32 v2, vcc_lo
	ds_add_u64 v0, v[2:3]
	s_cbranch_execz .LBB4_340
; %bb.10834:
	s_getpc_b64 s[48:49]
.Lpost_getpc194:
	s_add_u32 s48, s48, (.LBB4_10378-.Lpost_getpc194)&4294967295
	s_addc_u32 s49, s49, (.LBB4_10378-.Lpost_getpc194)>>32
	s_setpc_b64 s[48:49]
.LBB4_340:                              ;   in Loop: Header=BB4_305 Depth=3
	s_or_b32 exec_lo, exec_lo, s38
	s_cbranch_execz .LBB4_341
; %bb.10836:
	s_getpc_b64 s[48:49]
.Lpost_getpc195:
	s_add_u32 s48, s48, (.LBB4_10344-.Lpost_getpc195)&4294967295
	s_addc_u32 s49, s49, (.LBB4_10344-.Lpost_getpc195)>>32
	s_setpc_b64 s[48:49]
.LBB4_341:                              ;   in Loop: Header=BB4_305 Depth=3
	ds_load_b64 v[8:9], v0
	v_add_co_u32 v48, vcc_lo, v48, v97
	v_add_co_ci_u32_e32 v49, vcc_lo, 0, v49, vcc_lo
	s_mov_b32 s38, exec_lo
	s_waitcnt lgkmcnt(0)
	s_delay_alu instid0(VALU_DEP_1)
	v_cmpx_lt_u64_e64 v[8:9], v[48:49]
	s_cbranch_execz .LBB4_352
; %bb.342:                              ;   in Loop: Header=BB4_305 Depth=3
	s_mov_b32 s39, 0
	s_mov_b32 s42, 0
                                        ; implicit-def: $sgpr40
                                        ; implicit-def: $sgpr41
	s_branch .LBB4_344
.LBB4_343:                              ;   in Loop: Header=BB4_344 Depth=4
	s_or_b32 exec_lo, exec_lo, s44
	s_delay_alu instid0(SALU_CYCLE_1) | instskip(NEXT) | instid1(SALU_CYCLE_1)
	s_and_b32 vcc_lo, exec_lo, vcc_lo
	s_or_b32 s39, vcc_lo, s39
	s_and_not1_b32 vcc_lo, s40, exec_lo
	s_and_b32 s40, s41, exec_lo
	s_delay_alu instid0(SALU_CYCLE_1)
	s_or_b32 s40, vcc_lo, s40
	s_and_not1_b32 exec_lo, exec_lo, s39
	s_cbranch_execz .LBB4_350
.LBB4_344:                              ;   Parent Loop BB4_51 Depth=1
                                        ;     Parent Loop BB4_303 Depth=2
                                        ;       Parent Loop BB4_305 Depth=3
                                        ; =>      This Inner Loop Header: Depth=4
	s_add_i32 s42, s42, 1
                                        ; implicit-def: $sgpr44
	s_delay_alu instid0(SALU_CYCLE_1) | instskip(SKIP_1) | instid1(SALU_CYCLE_1)
	s_cmpk_lg_i32 s42, 0x2710
	s_cselect_b32 s43, -1, 0
	s_and_b32 vcc_lo, exec_lo, s43
	s_cbranch_vccz .LBB4_348
.LBB4_345:                              ;   in Loop: Header=BB4_344 Depth=4
	s_and_not1_b32 s41, s41, exec_lo
	s_and_b32 s44, s44, exec_lo
	s_mov_b32 vcc_lo, -1
	s_or_b32 s41, s41, s44
	s_and_saveexec_b32 s44, s43
	s_cbranch_execz .LBB4_343
; %bb.346:                              ;   in Loop: Header=BB4_344 Depth=4
	s_sleep 1
	s_cbranch_execz .LBB4_347
; %bb.10838:
	s_getpc_b64 s[48:49]
.Lpost_getpc196:
	s_add_u32 s48, s48, (.LBB4_10426-.Lpost_getpc196)&4294967295
	s_addc_u32 s49, s49, (.LBB4_10426-.Lpost_getpc196)>>32
	s_setpc_b64 s[48:49]
.LBB4_347:                              ;   in Loop: Header=BB4_344 Depth=4
	ds_load_b64 v[8:9], v0
	s_and_not1_b32 s41, s41, exec_lo
	s_waitcnt lgkmcnt(0)
	v_cmp_ge_u64_e32 vcc_lo, v[8:9], v[48:49]
	s_or_not1_b32 vcc_lo, vcc_lo, exec_lo
	s_branch .LBB4_343
.LBB4_348:                              ;   in Loop: Header=BB4_344 Depth=4
	s_cbranch_execz .LBB4_349
; %bb.10840:
	s_getpc_b64 s[48:49]
.Lpost_getpc197:
	s_add_u32 s48, s48, (.LBB4_10434-.Lpost_getpc197)&4294967295
	s_addc_u32 s49, s49, (.LBB4_10434-.Lpost_getpc197)>>32
	s_setpc_b64 s[48:49]
.LBB4_349:                              ;   in Loop: Header=BB4_344 Depth=4
	ds_load_b64 v[8:9], v0
	s_and_not1_b32 s43, s43, exec_lo
	s_mov_b32 s42, 0
	s_mov_b32 s44, -1
	s_waitcnt lgkmcnt(0)
	flat_load_b32 v2, v[8:9] glc
	s_waitcnt vmcnt(0) lgkmcnt(0)
	buffer_gl1_inv
	buffer_gl0_inv
	v_cmp_eq_u32_e32 vcc_lo, 0, v2
	s_and_b32 vcc_lo, vcc_lo, exec_lo
	s_delay_alu instid0(SALU_CYCLE_1)
	s_or_b32 s43, s43, vcc_lo
	s_branch .LBB4_345
.LBB4_350:                              ;   in Loop: Header=BB4_305 Depth=3
	s_or_b32 exec_lo, exec_lo, s39
	s_and_saveexec_b32 vcc_lo, s40
	s_delay_alu instid0(SALU_CYCLE_1)
	s_xor_b32 vcc_lo, exec_lo, vcc_lo
	s_cbranch_execz .LBB4_352
; %bb.351:                              ;   in Loop: Header=BB4_305 Depth=3
	ds_store_b32 v0, v134
	s_cbranch_execz .LBB4_352
; %bb.10842:
	s_getpc_b64 s[48:49]
.Lpost_getpc198:
	s_add_u32 s48, s48, (.LBB4_10636-.Lpost_getpc198)&4294967295
	s_addc_u32 s49, s49, (.LBB4_10636-.Lpost_getpc198)>>32
	s_setpc_b64 s[48:49]
.LBB4_352:                              ;   in Loop: Header=BB4_305 Depth=3
	s_or_b32 exec_lo, exec_lo, s38
	;;#ASMSTART
	s_wakeup
	;;#ASMEND
.LBB4_353:                              ;   in Loop: Header=BB4_305 Depth=3
	s_or_b32 exec_lo, exec_lo, s37
.LBB4_354:                              ;   in Loop: Header=BB4_305 Depth=3
	s_and_not1_saveexec_b32 s14, s14
	s_cbranch_execz .LBB4_356
; %bb.355:                              ;   in Loop: Header=BB4_305 Depth=3
	s_waitcnt vmcnt(0) lgkmcnt(0)
	s_waitcnt_vscnt null, 0x0
	buffer_gl1_inv
	buffer_gl0_inv
	s_barrier
.LBB4_356:                              ;   in Loop: Header=BB4_305 Depth=3
	s_or_b32 exec_lo, exec_lo, s14
.LBB4_357:                              ;   in Loop: Header=BB4_305 Depth=3
	v_writelane_b32 v56, s31, 6
	v_writelane_b32 v56, s34, 5
	;; [unrolled: 1-line block ×4, first 2 shown]
	s_mov_b32 s30, s36
	s_or_b32 exec_lo, exec_lo, s13
	s_cbranch_execz .LBB4_358
; %bb.10844:
	s_getpc_b64 s[48:49]
.Lpost_getpc199:
	s_add_u32 s48, s48, (.LBB4_10245-.Lpost_getpc199)&4294967295
	s_addc_u32 s49, s49, (.LBB4_10245-.Lpost_getpc199)>>32
	s_setpc_b64 s[48:49]
.LBB4_358:                              ;   in Loop: Header=BB4_305 Depth=3
	ds_load_b32 v8, v0
	v_and_b32_e32 v2, 0x4000, v30
	s_xor_b32 s13, s2, -1
	s_delay_alu instid0(VALU_DEP_1) | instskip(SKIP_1) | instid1(SALU_CYCLE_1)
	v_cmp_ne_u32_e32 vcc_lo, 0, v2
	s_and_b32 s14, s13, vcc_lo
	s_and_saveexec_b32 s13, s14
	s_cbranch_execz .LBB4_380
; %bb.359:                              ;   in Loop: Header=BB4_305 Depth=3
	s_and_saveexec_b32 s14, s4
	s_delay_alu instid0(SALU_CYCLE_1)
	s_xor_b32 s14, exec_lo, s14
	s_cbranch_execz .LBB4_377
; %bb.360:                              ;   in Loop: Header=BB4_305 Depth=3
	s_and_saveexec_b32 s31, s1
	s_cbranch_execz .LBB4_376
; %bb.361:                              ;   in Loop: Header=BB4_305 Depth=3
	s_mov_b32 s35, exec_lo
	s_mov_b32 s34, exec_lo
	v_mbcnt_lo_u32_b32 v2, s35, 0
	s_waitcnt vmcnt(0) lgkmcnt(0)
	s_waitcnt_vscnt null, 0x0
	buffer_gl1_inv
	buffer_gl0_inv
	v_cmpx_eq_u32_e32 0, v2
	s_cbranch_execz .LBB4_363
; %bb.362:                              ;   in Loop: Header=BB4_305 Depth=3
	s_bcnt1_i32_b32 vcc_lo, s35
	s_delay_alu instid0(SALU_CYCLE_1)
	v_mov_b32_e32 v2, vcc_lo
	ds_add_u64 v0, v[2:3]
	s_cbranch_execz .LBB4_363
; %bb.10846:
	s_getpc_b64 s[48:49]
.Lpost_getpc200:
	s_add_u32 s48, s48, (.LBB4_10410-.Lpost_getpc200)&4294967295
	s_addc_u32 s49, s49, (.LBB4_10410-.Lpost_getpc200)>>32
	s_setpc_b64 s[48:49]
.LBB4_363:                              ;   in Loop: Header=BB4_305 Depth=3
	s_or_b32 exec_lo, exec_lo, s34
	s_cbranch_execz .LBB4_364
; %bb.10848:
	s_getpc_b64 s[48:49]
.Lpost_getpc201:
	s_add_u32 s48, s48, (.LBB4_10400-.Lpost_getpc201)&4294967295
	s_addc_u32 s49, s49, (.LBB4_10400-.Lpost_getpc201)>>32
	s_setpc_b64 s[48:49]
.LBB4_364:                              ;   in Loop: Header=BB4_305 Depth=3
	ds_load_b64 v[9:10], v0
	v_add_co_u32 v48, vcc_lo, v48, v97
	v_add_co_ci_u32_e32 v49, vcc_lo, 0, v49, vcc_lo
	s_mov_b32 s34, exec_lo
	s_waitcnt lgkmcnt(0)
	s_delay_alu instid0(VALU_DEP_1)
	v_cmpx_lt_u64_e64 v[9:10], v[48:49]
	s_cbranch_execz .LBB4_375
; %bb.365:                              ;   in Loop: Header=BB4_305 Depth=3
	s_mov_b32 s35, 0
	s_mov_b32 s38, 0
                                        ; implicit-def: $sgpr36
                                        ; implicit-def: $sgpr37
	s_branch .LBB4_367
.LBB4_366:                              ;   in Loop: Header=BB4_367 Depth=4
	s_or_b32 exec_lo, exec_lo, s40
	s_delay_alu instid0(SALU_CYCLE_1) | instskip(NEXT) | instid1(SALU_CYCLE_1)
	s_and_b32 vcc_lo, exec_lo, vcc_lo
	s_or_b32 s35, vcc_lo, s35
	s_and_not1_b32 vcc_lo, s36, exec_lo
	s_and_b32 s36, s37, exec_lo
	s_delay_alu instid0(SALU_CYCLE_1)
	s_or_b32 s36, vcc_lo, s36
	s_and_not1_b32 exec_lo, exec_lo, s35
	s_cbranch_execz .LBB4_373
.LBB4_367:                              ;   Parent Loop BB4_51 Depth=1
                                        ;     Parent Loop BB4_303 Depth=2
                                        ;       Parent Loop BB4_305 Depth=3
                                        ; =>      This Inner Loop Header: Depth=4
	s_add_i32 s38, s38, 1
                                        ; implicit-def: $sgpr40
	s_delay_alu instid0(SALU_CYCLE_1) | instskip(SKIP_1) | instid1(SALU_CYCLE_1)
	s_cmpk_lg_i32 s38, 0x2710
	s_cselect_b32 s39, -1, 0
	s_and_b32 vcc_lo, exec_lo, s39
	s_cbranch_vccz .LBB4_371
.LBB4_368:                              ;   in Loop: Header=BB4_367 Depth=4
	s_and_not1_b32 s37, s37, exec_lo
	s_and_b32 s40, s40, exec_lo
	s_mov_b32 vcc_lo, -1
	s_or_b32 s37, s37, s40
	s_and_saveexec_b32 s40, s39
	s_cbranch_execz .LBB4_366
; %bb.369:                              ;   in Loop: Header=BB4_367 Depth=4
	s_sleep 1
	s_cbranch_execz .LBB4_370
; %bb.10850:
	s_getpc_b64 s[48:49]
.Lpost_getpc202:
	s_add_u32 s48, s48, (.LBB4_10472-.Lpost_getpc202)&4294967295
	s_addc_u32 s49, s49, (.LBB4_10472-.Lpost_getpc202)>>32
	s_setpc_b64 s[48:49]
.LBB4_370:                              ;   in Loop: Header=BB4_367 Depth=4
	ds_load_b64 v[9:10], v0
	s_and_not1_b32 s37, s37, exec_lo
	s_waitcnt lgkmcnt(0)
	v_cmp_ge_u64_e32 vcc_lo, v[9:10], v[48:49]
	s_or_not1_b32 vcc_lo, vcc_lo, exec_lo
	s_branch .LBB4_366
.LBB4_371:                              ;   in Loop: Header=BB4_367 Depth=4
	s_cbranch_execz .LBB4_372
; %bb.10852:
	s_getpc_b64 s[48:49]
.Lpost_getpc203:
	s_add_u32 s48, s48, (.LBB4_10486-.Lpost_getpc203)&4294967295
	s_addc_u32 s49, s49, (.LBB4_10486-.Lpost_getpc203)>>32
	s_setpc_b64 s[48:49]
.LBB4_372:                              ;   in Loop: Header=BB4_367 Depth=4
	ds_load_b64 v[9:10], v0
	s_and_not1_b32 s39, s39, exec_lo
	s_mov_b32 s38, 0
	s_mov_b32 s40, -1
	s_waitcnt lgkmcnt(0)
	flat_load_b32 v2, v[9:10] glc
	s_waitcnt vmcnt(0) lgkmcnt(0)
	buffer_gl1_inv
	buffer_gl0_inv
	v_cmp_eq_u32_e32 vcc_lo, 0, v2
	s_and_b32 vcc_lo, vcc_lo, exec_lo
	s_delay_alu instid0(SALU_CYCLE_1)
	s_or_b32 s39, s39, vcc_lo
	s_branch .LBB4_368
.LBB4_373:                              ;   in Loop: Header=BB4_305 Depth=3
	s_or_b32 exec_lo, exec_lo, s35
	s_and_saveexec_b32 vcc_lo, s36
	s_delay_alu instid0(SALU_CYCLE_1)
	s_xor_b32 vcc_lo, exec_lo, vcc_lo
	s_cbranch_execz .LBB4_375
; %bb.374:                              ;   in Loop: Header=BB4_305 Depth=3
	ds_store_b32 v0, v134
	s_cbranch_execz .LBB4_375
; %bb.10854:
	s_getpc_b64 s[48:49]
.Lpost_getpc204:
	s_add_u32 s48, s48, (.LBB4_10668-.Lpost_getpc204)&4294967295
	s_addc_u32 s49, s49, (.LBB4_10668-.Lpost_getpc204)>>32
	s_setpc_b64 s[48:49]
.LBB4_375:                              ;   in Loop: Header=BB4_305 Depth=3
	s_or_b32 exec_lo, exec_lo, s34
	;;#ASMSTART
	s_wakeup
	;;#ASMEND
.LBB4_376:                              ;   in Loop: Header=BB4_305 Depth=3
	s_or_b32 exec_lo, exec_lo, s31
.LBB4_377:                              ;   in Loop: Header=BB4_305 Depth=3
	s_and_not1_saveexec_b32 s14, s14
	s_cbranch_execz .LBB4_379
; %bb.378:                              ;   in Loop: Header=BB4_305 Depth=3
	s_waitcnt vmcnt(0) lgkmcnt(0)
	s_waitcnt_vscnt null, 0x0
	buffer_gl1_inv
	buffer_gl0_inv
	s_barrier
.LBB4_379:                              ;   in Loop: Header=BB4_305 Depth=3
	s_or_b32 exec_lo, exec_lo, s14
.LBB4_380:                              ;   in Loop: Header=BB4_305 Depth=3
	s_delay_alu instid0(SALU_CYCLE_1)
	s_or_b32 exec_lo, exec_lo, s13
	s_cbranch_execz .LBB4_381
; %bb.10856:
	s_getpc_b64 s[48:49]
.Lpost_getpc205:
	s_add_u32 s48, s48, (.LBB4_10288-.Lpost_getpc205)&4294967295
	s_addc_u32 s49, s49, (.LBB4_10288-.Lpost_getpc205)>>32
	s_setpc_b64 s[48:49]
.LBB4_381:                              ;   in Loop: Header=BB4_305 Depth=3
	ds_load_b64 v[9:10], v0
	v_mov_b32_e32 v69, 0
	s_waitcnt lgkmcnt(0)
	v_cmp_eq_u64_e32 vcc_lo, 0, v[9:10]
	s_or_b32 s13, vcc_lo, vcc_lo
	s_delay_alu instid0(SALU_CYCLE_1)
	s_and_b32 vcc_lo, exec_lo, s13
	s_cbranch_vccnz .LBB4_3341
; %bb.382:                              ;   in Loop: Header=BB4_305 Depth=3
	s_cbranch_execz .LBB4_383
; %bb.10858:
	s_getpc_b64 s[48:49]
.Lpost_getpc206:
	s_add_u32 s48, s48, (.LBB4_10342-.Lpost_getpc206)&4294967295
	s_addc_u32 s49, s49, (.LBB4_10342-.Lpost_getpc206)>>32
	s_setpc_b64 s[48:49]
.LBB4_383:                              ;   in Loop: Header=BB4_305 Depth=3
	ds_load_b64 v[9:10], v0
	s_mov_b32 s13, -1
	s_waitcnt lgkmcnt(0)
	v_readfirstlane_b32 s31, v9
	s_and_saveexec_b32 s14, s12
	s_cbranch_execz .LBB4_385
; %bb.384:                              ;   in Loop: Header=BB4_305 Depth=3
	ds_load_b32 v2, v0 offset:720
	s_waitcnt lgkmcnt(0)
	v_and_b32_e32 v2, 15, v2
	s_delay_alu instid0(VALU_DEP_1)
	v_cmp_eq_u32_e32 vcc_lo, 0, v2
	s_or_not1_b32 s13, vcc_lo, exec_lo
.LBB4_385:                              ;   in Loop: Header=BB4_305 Depth=3
	s_or_b32 exec_lo, exec_lo, s14
	s_and_saveexec_b32 s14, s6
	s_cbranch_execz .LBB4_387
; %bb.386:                              ;   in Loop: Header=BB4_305 Depth=3
	ds_load_b32 v2, v0 offset:784
	s_waitcnt lgkmcnt(0)
	v_and_b32_e32 v2, 15, v2
	s_delay_alu instid0(VALU_DEP_1) | instskip(SKIP_3) | instid1(SALU_CYCLE_1)
	v_cmp_eq_u32_e32 vcc_lo, 0, v2
	s_and_b32 vcc_lo, s13, vcc_lo
	s_and_not1_b32 s13, s13, exec_lo
	s_and_b32 vcc_lo, vcc_lo, exec_lo
	s_or_b32 s13, s13, vcc_lo
.LBB4_387:                              ;   in Loop: Header=BB4_305 Depth=3
	s_or_b32 exec_lo, exec_lo, s14
	v_cmp_eq_u32_e32 vcc_lo, 0, v8
	s_xor_b32 s13, s13, -1
	v_mov_b32_e32 v8, v99
	v_cndmask_b32_e64 v2, 0, 1, s13
	;;#ASMSTART
	;;#ASMEND
	v_dual_cndmask_b32 v69, 0, v68 :: v_dual_mov_b32 v14, 0
	s_delay_alu instid0(VALU_DEP_2) | instskip(SKIP_2) | instid1(VALU_DEP_2)
	v_cmp_ne_u32_e32 vcc_lo, 0, v2
	s_mov_b32 s13, -1
	s_waitcnt vmcnt(0)
	v_dual_mov_b32 v16, v0 :: v_dual_mov_b32 v15, v69
	s_cbranch_vccnz .LBB4_2563
; %bb.388:                              ;   in Loop: Header=BB4_305 Depth=3
	v_ashrrev_i32_e32 v2, 31, v69
	s_mov_b32 s14, exec_lo
	s_delay_alu instid0(VALU_DEP_1) | instskip(NEXT) | instid1(VALU_DEP_1)
	v_lshrrev_b32_e32 v2, 22, v2
	v_add_nc_u32_e32 v2, v69, v2
	s_delay_alu instid0(VALU_DEP_1) | instskip(NEXT) | instid1(VALU_DEP_1)
	v_ashrrev_i32_e32 v147, 10, v2
	v_sub_nc_u32_e32 v2, v147, v99
	s_delay_alu instid0(VALU_DEP_1)
	v_cmpx_lt_i32_e32 0, v2
	s_cbranch_execz .LBB4_1833
; %bb.389:                              ;   in Loop: Header=BB4_305 Depth=3
	s_cbranch_execz .LBB4_390
; %bb.10860:
	s_getpc_b64 s[48:49]
.Lpost_getpc207:
	s_add_u32 s48, s48, (.LBB4_10484-.Lpost_getpc207)&4294967295
	s_addc_u32 s49, s49, (.LBB4_10484-.Lpost_getpc207)>>32
	s_setpc_b64 s[48:49]
.LBB4_390:                              ;   in Loop: Header=BB4_305 Depth=3
	ds_load_b128 v[8:11], v0
	ds_load_b64 v[12:13], v0
	s_bitcmp1_b32 s31, 0
	s_mov_b32 s34, 0
	s_cselect_b32 s35, -1, 0
	s_waitcnt lgkmcnt(1)
	v_add_co_u32 v80, vcc_lo, v8, v130
	v_add_co_ci_u32_e32 v81, vcc_lo, v9, v131, vcc_lo
	v_add_co_u32 v82, vcc_lo, v10, v130
	v_add_co_ci_u32_e32 v83, vcc_lo, v11, v131, vcc_lo
	s_waitcnt lgkmcnt(0)
	v_add_co_u32 v84, vcc_lo, v12, v130
	v_add_co_ci_u32_e32 v85, vcc_lo, v13, v131, vcc_lo
	s_branch .LBB4_394
.LBB4_391:                              ;   in Loop: Header=BB4_394 Depth=4
	s_or_b32 exec_lo, exec_lo, s13
	s_delay_alu instid0(VALU_DEP_1) | instskip(NEXT) | instid1(VALU_DEP_2)
	v_lshrrev_b32_e32 v15, 20, v15
	v_min_i32_e32 v181, 15, v11
	v_cmp_gt_i32_e32 vcc_lo, 16, v11
	v_lshrrev_b32_e32 v182, 24, v183
	s_delay_alu instid0(VALU_DEP_3) | instskip(NEXT) | instid1(VALU_DEP_2)
	v_lshlrev_b32_e32 v181, 3, v181
	v_dual_cndmask_b32 v15, 7, v15 :: v_dual_and_b32 v182, 0x80, v182
	s_delay_alu instid0(VALU_DEP_2) | instskip(NEXT) | instid1(VALU_DEP_2)
	v_and_b32_e32 v181, 0xf8, v181
	v_and_b32_e32 v183, 7, v15
	v_or_b32_e32 v11, v11, v15
	s_delay_alu instid0(VALU_DEP_2) | instskip(NEXT) | instid1(VALU_DEP_2)
	v_or3_b32 v181, v182, v181, v183
	v_cmp_ne_u32_e32 vcc_lo, 0, v11
	s_delay_alu instid0(VALU_DEP_2) | instskip(NEXT) | instid1(VALU_DEP_1)
	v_lshlrev_b32_e32 v15, 8, v181
	v_cndmask_b32_e32 v11, 0, v15, vcc_lo
.LBB4_392:                              ;   in Loop: Header=BB4_394 Depth=4
	s_or_b32 exec_lo, exec_lo, s37
.LBB4_393:                              ;   in Loop: Header=BB4_394 Depth=4
	s_delay_alu instid0(SALU_CYCLE_1)
	s_or_b32 exec_lo, exec_lo, s36
	v_lshlrev_b32_e32 v15, 8, v151
	v_lshlrev_b32_e32 v151, 24, v16
	;; [unrolled: 1-line block ×4, first 2 shown]
	v_or_b32_e32 v17, v17, v160
	v_perm_b32 v15, v15, v20, 0xc0c0500
	v_and_b32_e32 v20, 0xff, v162
	v_and_b32_e32 v150, 0xff, v150
	v_lshlrev_b32_e32 v18, 24, v18
	v_perm_b32 v21, v149, v21, 0xc0c0500
	v_perm_b32 v148, v16, v148, 0xc0c0500
	v_lshlrev_b32_e32 v20, 16, v20
	v_lshlrev_b32_e32 v150, 16, v150
	v_lshlrev_b32_e32 v149, 8, v163
	v_lshl_or_b32 v16, v17, 16, v15
	v_or_b32_e32 v19, v19, v164
	v_or3_b32 v17, v18, v20, v21
	v_lshlrev_b32_e32 v18, 8, v167
	v_or3_b32 v15, v151, v150, v148
	v_perm_b32 v20, v149, v22, 0xc0c0500
	v_and_b32_e32 v21, 0xff, v166
	v_and_b32_e32 v22, 0xff, v178
	v_perm_b32 v12, v18, v12, 0xc0c0500
	v_lshlrev_b32_e32 v18, 8, v165
	v_lshlrev_b32_e32 v148, 8, v177
	;; [unrolled: 1-line block ×3, first 2 shown]
	v_or_b32_e32 v9, v9, v176
	v_lshlrev_b32_e32 v8, 24, v8
	v_lshlrev_b32_e32 v21, 16, v21
	v_perm_b32 v23, v18, v23, 0xc0c0500
	v_lshlrev_b32_e32 v10, 24, v10
	v_lshlrev_b32_e32 v22, 16, v22
	v_perm_b32 v13, v148, v13, 0xc0c0500
	v_perm_b32 v14, v149, v14, 0xc0c0500
	v_or_b32_e32 v11, v11, v180
	v_add_co_u32 v80, vcc_lo, v80, v132
	v_lshl_or_b32 v18, v19, 16, v20
	v_sub_nc_u32_e32 v2, v2, v97
	v_lshl_or_b32 v9, v9, 16, v12
	v_or3_b32 v8, v8, v21, v23
	v_or3_b32 v10, v10, v22, v13
	v_lshl_or_b32 v11, v11, 16, v14
	v_add_co_ci_u32_e32 v81, vcc_lo, v81, v133, vcc_lo
	v_add_co_u32 v82, vcc_lo, v82, v132
	v_add_co_ci_u32_e32 v83, vcc_lo, v83, v133, vcc_lo
	s_clause 0x1
	global_store_b128 v[84:85], v[15:18], off glc slc dlc
	global_store_b128 v[84:85], v[8:11], off offset:512 glc slc dlc
	v_cmp_gt_i32_e32 vcc_lo, 1, v2
	v_add_co_u32 v84, s13, v84, v132
	s_delay_alu instid0(VALU_DEP_1) | instskip(SKIP_1) | instid1(SALU_CYCLE_1)
	v_add_co_ci_u32_e64 v85, s13, v85, v133, s13
	s_or_b32 s34, vcc_lo, s34
	s_and_not1_b32 exec_lo, exec_lo, s34
	s_cbranch_execz .LBB4_1832
.LBB4_394:                              ;   Parent Loop BB4_51 Depth=1
                                        ;     Parent Loop BB4_303 Depth=2
                                        ;       Parent Loop BB4_305 Depth=3
                                        ; =>      This Inner Loop Header: Depth=4
	s_clause 0x1
	global_load_b128 v[20:23], v[80:81], off slc dlc
	global_load_b128 v[12:15], v[80:81], off offset:512 slc dlc
	s_clause 0x1
	global_load_b128 v[16:19], v[82:83], off slc dlc
	global_load_b128 v[8:11], v[82:83], off offset:512 slc dlc
	s_and_b32 vcc_lo, exec_lo, s35
	s_waitcnt vmcnt(3)
	v_and_b32_e32 v148, 0xff, v20
	s_delay_alu instid0(VALU_DEP_1)
	v_cmp_lt_i16_e64 s13, 0x7f, v148
	s_cbranch_vccz .LBB4_404
; %bb.395:                              ;   in Loop: Header=BB4_394 Depth=4
	s_mov_b32 s36, 0
                                        ; implicit-def: $sgpr37
	s_delay_alu instid0(VALU_DEP_1) | instskip(NEXT) | instid1(SALU_CYCLE_1)
	s_and_saveexec_b32 vcc_lo, s13
	s_xor_b32 s13, exec_lo, vcc_lo
	s_cbranch_execnz .LBB4_1320
; %bb.396:                              ;   in Loop: Header=BB4_394 Depth=4
	s_or_saveexec_b32 s13, s13
	v_mov_b32_e32 v149, s37
	s_xor_b32 exec_lo, exec_lo, s13
	s_cbranch_execnz .LBB4_1323
.LBB4_397:                              ;   in Loop: Header=BB4_394 Depth=4
	s_or_b32 exec_lo, exec_lo, s13
	s_and_saveexec_b32 s13, s36
	s_cbranch_execz .LBB4_399
.LBB4_398:                              ;   in Loop: Header=BB4_394 Depth=4
	v_bfe_u32 v160, v20, 3, 4
	v_lshlrev_b32_e32 v161, 24, v20
	s_delay_alu instid0(VALU_DEP_2) | instskip(SKIP_1) | instid1(VALU_DEP_1)
	v_cmp_eq_u32_e32 vcc_lo, 0, v160
	v_and_b32_e32 v149, 7, v20
	v_clz_i32_u32_e32 v150, v149
	s_delay_alu instid0(VALU_DEP_1) | instskip(NEXT) | instid1(VALU_DEP_1)
	v_min_u32_e32 v150, 32, v150
	v_subrev_nc_u32_e32 v151, 28, v150
	v_sub_nc_u32_e32 v150, 29, v150
	s_delay_alu instid0(VALU_DEP_1) | instskip(NEXT) | instid1(VALU_DEP_1)
	v_dual_cndmask_b32 v150, v160, v150 :: v_dual_lshlrev_b32 v151, v151, v20
	v_and_b32_e32 v151, 7, v151
	s_delay_alu instid0(VALU_DEP_2) | instskip(NEXT) | instid1(VALU_DEP_2)
	v_lshl_add_u32 v150, v150, 23, 0x3b800000
	v_cndmask_b32_e32 v149, v149, v151, vcc_lo
	v_and_b32_e32 v151, 0x80000000, v161
	s_delay_alu instid0(VALU_DEP_2) | instskip(NEXT) | instid1(VALU_DEP_1)
	v_lshlrev_b32_e32 v149, 20, v149
	v_or3_b32 v149, v151, v150, v149
.LBB4_399:                              ;   in Loop: Header=BB4_394 Depth=4
	s_or_b32 exec_lo, exec_lo, s13
	s_waitcnt vmcnt(1)
	v_and_b32_e32 v151, 0xff, v16
	s_mov_b32 s13, 0
	s_mov_b32 s37, exec_lo
                                        ; implicit-def: $sgpr36
	s_delay_alu instid0(VALU_DEP_1)
	v_cmpx_lt_i16_e64 0x7f, v151
	s_xor_b32 s37, exec_lo, s37
	s_cbranch_execnz .LBB4_1324
; %bb.400:                              ;   in Loop: Header=BB4_394 Depth=4
	s_or_saveexec_b32 s37, s37
	v_mov_b32_e32 v150, s36
	s_xor_b32 exec_lo, exec_lo, s37
	s_cbranch_execnz .LBB4_1327
.LBB4_401:                              ;   in Loop: Header=BB4_394 Depth=4
	s_or_b32 exec_lo, exec_lo, s37
	s_and_saveexec_b32 s36, s13
	s_cbranch_execz .LBB4_403
.LBB4_402:                              ;   in Loop: Header=BB4_394 Depth=4
	v_bfe_u32 v161, v16, 3, 4
	v_lshlrev_b32_e32 v162, 24, v16
	s_delay_alu instid0(VALU_DEP_2) | instskip(SKIP_1) | instid1(VALU_DEP_1)
	v_cmp_eq_u32_e32 vcc_lo, 0, v161
	v_and_b32_e32 v150, 7, v16
	v_clz_i32_u32_e32 v151, v150
	s_delay_alu instid0(VALU_DEP_1) | instskip(NEXT) | instid1(VALU_DEP_1)
	v_min_u32_e32 v151, 32, v151
	v_subrev_nc_u32_e32 v160, 28, v151
	v_sub_nc_u32_e32 v151, 29, v151
	s_delay_alu instid0(VALU_DEP_1) | instskip(NEXT) | instid1(VALU_DEP_1)
	v_dual_cndmask_b32 v151, v161, v151 :: v_dual_lshlrev_b32 v160, v160, v16
	v_and_b32_e32 v160, 7, v160
	s_delay_alu instid0(VALU_DEP_2) | instskip(NEXT) | instid1(VALU_DEP_2)
	v_lshl_add_u32 v151, v151, 23, 0x3b800000
	v_cndmask_b32_e32 v150, v150, v160, vcc_lo
	v_and_b32_e32 v160, 0x80000000, v162
	s_delay_alu instid0(VALU_DEP_2) | instskip(NEXT) | instid1(VALU_DEP_1)
	v_lshlrev_b32_e32 v150, 20, v150
	v_or3_b32 v150, v160, v151, v150
.LBB4_403:                              ;   in Loop: Header=BB4_394 Depth=4
	s_or_b32 exec_lo, exec_lo, s36
	s_delay_alu instid0(VALU_DEP_1) | instskip(SKIP_1) | instid1(VALU_DEP_1)
	v_dual_max_f32 v150, v150, v150 :: v_dual_max_f32 v149, v149, v149
	s_mov_b32 s13, 0
	v_max_f32_e32 v149, v149, v150
	s_branch .LBB4_405
.LBB4_404:                              ;   in Loop: Header=BB4_394 Depth=4
	s_mov_b32 s13, -1
                                        ; implicit-def: $vgpr149
.LBB4_405:                              ;   in Loop: Header=BB4_394 Depth=4
	s_delay_alu instid0(SALU_CYCLE_1)
	s_and_b32 vcc_lo, exec_lo, s13
	s_cbranch_vccz .LBB4_415
; %bb.406:                              ;   in Loop: Header=BB4_394 Depth=4
	s_mov_b32 s13, 0
	s_mov_b32 s37, exec_lo
                                        ; implicit-def: $sgpr36
	v_cmpx_lt_i16_e64 0x7f, v148
	s_xor_b32 s37, exec_lo, s37
	s_cbranch_execnz .LBB4_1328
; %bb.407:                              ;   in Loop: Header=BB4_394 Depth=4
	s_or_saveexec_b32 s37, s37
	v_mov_b32_e32 v149, s36
	s_xor_b32 exec_lo, exec_lo, s37
	s_cbranch_execnz .LBB4_1331
.LBB4_408:                              ;   in Loop: Header=BB4_394 Depth=4
	s_or_b32 exec_lo, exec_lo, s37
	s_and_saveexec_b32 s36, s13
	s_cbranch_execz .LBB4_410
.LBB4_409:                              ;   in Loop: Header=BB4_394 Depth=4
	v_bfe_u32 v151, v20, 3, 4
	v_lshlrev_b32_e32 v160, 24, v20
	s_delay_alu instid0(VALU_DEP_2) | instskip(SKIP_1) | instid1(VALU_DEP_1)
	v_cmp_eq_u32_e32 vcc_lo, 0, v151
	v_and_b32_e32 v148, 7, v20
	v_clz_i32_u32_e32 v149, v148
	s_delay_alu instid0(VALU_DEP_1) | instskip(NEXT) | instid1(VALU_DEP_1)
	v_min_u32_e32 v149, 32, v149
	v_subrev_nc_u32_e32 v150, 28, v149
	v_sub_nc_u32_e32 v149, 29, v149
	s_delay_alu instid0(VALU_DEP_1) | instskip(NEXT) | instid1(VALU_DEP_1)
	v_dual_cndmask_b32 v149, v151, v149 :: v_dual_lshlrev_b32 v150, v150, v20
	v_and_b32_e32 v150, 7, v150
	s_delay_alu instid0(VALU_DEP_2) | instskip(NEXT) | instid1(VALU_DEP_2)
	v_lshl_add_u32 v149, v149, 23, 0x3b800000
	v_cndmask_b32_e32 v148, v148, v150, vcc_lo
	v_and_b32_e32 v150, 0x80000000, v160
	s_delay_alu instid0(VALU_DEP_2) | instskip(NEXT) | instid1(VALU_DEP_1)
	v_lshlrev_b32_e32 v148, 20, v148
	v_or3_b32 v149, v150, v149, v148
.LBB4_410:                              ;   in Loop: Header=BB4_394 Depth=4
	s_or_b32 exec_lo, exec_lo, s36
	s_waitcnt vmcnt(1)
	v_and_b32_e32 v150, 0xff, v16
	s_mov_b32 s13, 0
	s_mov_b32 s37, exec_lo
                                        ; implicit-def: $sgpr36
	s_delay_alu instid0(VALU_DEP_1)
	v_cmpx_lt_i16_e64 0x7f, v150
	s_xor_b32 s37, exec_lo, s37
	s_cbranch_execnz .LBB4_1332
; %bb.411:                              ;   in Loop: Header=BB4_394 Depth=4
	s_or_saveexec_b32 s37, s37
	v_mov_b32_e32 v148, s36
	s_xor_b32 exec_lo, exec_lo, s37
	s_cbranch_execnz .LBB4_1335
.LBB4_412:                              ;   in Loop: Header=BB4_394 Depth=4
	s_or_b32 exec_lo, exec_lo, s37
	s_and_saveexec_b32 s36, s13
	s_cbranch_execz .LBB4_414
.LBB4_413:                              ;   in Loop: Header=BB4_394 Depth=4
	v_and_b32_e32 v148, 7, v16
	v_bfe_u32 v160, v16, 3, 4
	s_delay_alu instid0(VALU_DEP_2) | instskip(NEXT) | instid1(VALU_DEP_2)
	v_clz_i32_u32_e32 v150, v148
	v_cmp_eq_u32_e32 vcc_lo, 0, v160
	s_delay_alu instid0(VALU_DEP_2) | instskip(NEXT) | instid1(VALU_DEP_1)
	v_min_u32_e32 v150, 32, v150
	v_subrev_nc_u32_e32 v151, 28, v150
	v_sub_nc_u32_e32 v150, 29, v150
	s_delay_alu instid0(VALU_DEP_1) | instskip(NEXT) | instid1(VALU_DEP_1)
	v_dual_cndmask_b32 v150, v160, v150 :: v_dual_lshlrev_b32 v151, v151, v16
	v_and_b32_e32 v151, 7, v151
	v_lshlrev_b32_e32 v161, 24, v16
	s_delay_alu instid0(VALU_DEP_3) | instskip(NEXT) | instid1(VALU_DEP_2)
	v_lshl_add_u32 v150, v150, 23, 0x3b800000
	v_dual_cndmask_b32 v148, v148, v151 :: v_dual_and_b32 v151, 0x80000000, v161
	s_delay_alu instid0(VALU_DEP_1) | instskip(NEXT) | instid1(VALU_DEP_1)
	v_lshlrev_b32_e32 v148, 20, v148
	v_or3_b32 v148, v151, v150, v148
.LBB4_414:                              ;   in Loop: Header=BB4_394 Depth=4
	s_or_b32 exec_lo, exec_lo, s36
	s_delay_alu instid0(VALU_DEP_1) | instskip(NEXT) | instid1(VALU_DEP_1)
	v_dual_max_f32 v148, v148, v148 :: v_dual_max_f32 v149, v149, v149
	v_min_f32_e32 v149, v149, v148
.LBB4_415:                              ;   in Loop: Header=BB4_394 Depth=4
	s_delay_alu instid0(VALU_DEP_1) | instskip(NEXT) | instid1(VALU_DEP_1)
	v_and_b32_e32 v148, 0x7f800000, v149
	v_cmp_ne_u32_e32 vcc_lo, 0x7f800000, v148
	v_mov_b32_e32 v148, 0x80
	s_and_saveexec_b32 s36, vcc_lo
	s_cbranch_execz .LBB4_423
; %bb.416:                              ;   in Loop: Header=BB4_394 Depth=4
	v_mov_b32_e32 v148, 0
	s_mov_b32 s37, exec_lo
	v_cmpx_ne_u32_e32 0, v149
	s_cbranch_execz .LBB4_422
; %bb.417:                              ;   in Loop: Header=BB4_394 Depth=4
	v_bfe_u32 v148, v149, 23, 8
	s_delay_alu instid0(VALU_DEP_1) | instskip(SKIP_1) | instid1(VALU_DEP_2)
	v_sub_nc_u32_e32 v151, 0x78, v148
	v_cmp_gt_u32_e32 vcc_lo, 0x79, v148
	v_dual_cndmask_b32 v151, 0, v151 :: v_dual_and_b32 v150, 0x7fffff, v149
	s_delay_alu instid0(VALU_DEP_1) | instskip(SKIP_2) | instid1(VALU_DEP_4)
	v_or_b32_e32 v160, 0x800000, v150
	v_cmp_eq_u32_e32 vcc_lo, 0, v148
	v_add_nc_u32_e32 v148, 0xffffff89, v148
	v_cndmask_b32_e64 v151, v151, 0x77, vcc_lo
	s_delay_alu instid0(VALU_DEP_2) | instskip(SKIP_1) | instid1(VALU_DEP_3)
	v_cndmask_b32_e64 v148, v148, 0xffffff8a, vcc_lo
	v_cndmask_b32_e32 v150, v160, v150, vcc_lo
	v_lshl_add_u32 v160, 0x100000, v151, -1
	v_lshlrev_b32_e64 v163, v151, 0x80000
	s_delay_alu instid0(VALU_DEP_3) | instskip(SKIP_1) | instid1(VALU_DEP_4)
	v_lshrrev_b32_e32 v161, v151, v150
	v_add_nc_u32_e32 v151, v151, v148
	v_and_b32_e32 v150, v160, v150
	s_delay_alu instid0(VALU_DEP_3) | instskip(NEXT) | instid1(VALU_DEP_2)
	v_bfe_u32 v162, v161, 20, 1
	v_cmp_eq_u32_e64 s13, v150, v163
	s_delay_alu instid0(VALU_DEP_2) | instskip(NEXT) | instid1(VALU_DEP_1)
	v_add_nc_u32_e32 v160, -1, v162
	v_cndmask_b32_e64 v150, 0, v160, s13
	v_lshrrev_b32_e32 v160, 23, v161
	s_mov_b32 s13, exec_lo
	s_delay_alu instid0(VALU_DEP_2) | instskip(NEXT) | instid1(VALU_DEP_2)
	v_add_nc_u32_e32 v150, v150, v161
	v_xor_b32_e32 v160, 1, v160
	s_delay_alu instid0(VALU_DEP_2) | instskip(NEXT) | instid1(VALU_DEP_1)
	v_and_b32_e32 v148, 0xfffff, v150
	v_add_nc_u32_e32 v150, v148, v161
                                        ; implicit-def: $vgpr148
	s_delay_alu instid0(VALU_DEP_3)
	v_cmpx_ne_u32_e64 v151, v160
	s_xor_b32 s13, exec_lo, s13
; %bb.418:                              ;   in Loop: Header=BB4_394 Depth=4
	s_delay_alu instid0(VALU_DEP_2) | instskip(SKIP_2) | instid1(VALU_DEP_2)
	v_cmp_lt_u32_e32 vcc_lo, 0xffffff, v150
	v_sub_nc_u32_e32 v148, v151, v160
	v_cndmask_b32_e64 v151, 0, 1, vcc_lo
	v_add_co_ci_u32_e32 v148, vcc_lo, 0, v148, vcc_lo
	s_delay_alu instid0(VALU_DEP_2)
	v_lshrrev_b32_e32 v150, v151, v150
; %bb.419:                              ;   in Loop: Header=BB4_394 Depth=4
	s_and_not1_saveexec_b32 s13, s13
; %bb.420:                              ;   in Loop: Header=BB4_394 Depth=4
	s_delay_alu instid0(VALU_DEP_1)
	v_bfe_u32 v148, v150, 23, 1
; %bb.421:                              ;   in Loop: Header=BB4_394 Depth=4
	s_or_b32 exec_lo, exec_lo, s13
	v_lshrrev_b32_e32 v150, 20, v150
	s_delay_alu instid0(VALU_DEP_2) | instskip(SKIP_2) | instid1(VALU_DEP_2)
	v_cmp_gt_i32_e32 vcc_lo, 16, v148
	v_lshrrev_b32_e32 v149, 24, v149
	v_min_i32_e32 v151, 15, v148
	v_dual_cndmask_b32 v150, 7, v150 :: v_dual_and_b32 v149, 0x80, v149
	s_delay_alu instid0(VALU_DEP_1) | instskip(SKIP_1) | instid1(VALU_DEP_2)
	v_or_b32_e32 v148, v148, v150
	v_and_b32_e32 v160, 7, v150
	v_cmp_ne_u32_e32 vcc_lo, 0, v148
	v_lshlrev_b32_e32 v151, 3, v151
	s_delay_alu instid0(VALU_DEP_1) | instskip(NEXT) | instid1(VALU_DEP_1)
	v_or3_b32 v149, v151, v149, v160
	v_cndmask_b32_e32 v148, 0, v149, vcc_lo
.LBB4_422:                              ;   in Loop: Header=BB4_394 Depth=4
	s_or_b32 exec_lo, exec_lo, s37
.LBB4_423:                              ;   in Loop: Header=BB4_394 Depth=4
	s_delay_alu instid0(SALU_CYCLE_1) | instskip(SKIP_4) | instid1(VALU_DEP_2)
	s_or_b32 exec_lo, exec_lo, s36
	v_lshrrev_b16 v150, 8, v20
	s_waitcnt vmcnt(1)
	v_lshrrev_b16 v149, 8, v16
	s_and_b32 vcc_lo, exec_lo, s35
	v_cmp_lt_i16_e64 s13, 0x7f, v150
	s_cbranch_vccz .LBB4_433
; %bb.424:                              ;   in Loop: Header=BB4_394 Depth=4
	s_mov_b32 s36, 0
                                        ; implicit-def: $sgpr37
	s_delay_alu instid0(VALU_DEP_1) | instskip(NEXT) | instid1(SALU_CYCLE_1)
	s_and_saveexec_b32 vcc_lo, s13
	s_xor_b32 s13, exec_lo, vcc_lo
	s_cbranch_execnz .LBB4_1336
; %bb.425:                              ;   in Loop: Header=BB4_394 Depth=4
	s_or_saveexec_b32 s13, s13
	v_mov_b32_e32 v151, s37
	s_xor_b32 exec_lo, exec_lo, s13
	s_cbranch_execnz .LBB4_1339
.LBB4_426:                              ;   in Loop: Header=BB4_394 Depth=4
	s_or_b32 exec_lo, exec_lo, s13
	s_and_saveexec_b32 s13, s36
	s_cbranch_execz .LBB4_428
.LBB4_427:                              ;   in Loop: Header=BB4_394 Depth=4
	v_and_b32_e32 v151, 0xffff, v150
	s_delay_alu instid0(VALU_DEP_1) | instskip(NEXT) | instid1(VALU_DEP_1)
	v_and_b32_e32 v160, 7, v151
	v_clz_i32_u32_e32 v161, v160
	s_delay_alu instid0(VALU_DEP_1) | instskip(NEXT) | instid1(VALU_DEP_1)
	v_min_u32_e32 v161, 32, v161
	v_subrev_nc_u32_e32 v162, 28, v161
	v_sub_nc_u32_e32 v161, 29, v161
	s_delay_alu instid0(VALU_DEP_2) | instskip(SKIP_1) | instid1(VALU_DEP_2)
	v_lshlrev_b32_e32 v162, v162, v151
	v_bfe_u32 v151, v151, 3, 4
	v_and_b32_e32 v162, 7, v162
	s_delay_alu instid0(VALU_DEP_2) | instskip(SKIP_1) | instid1(VALU_DEP_3)
	v_cmp_eq_u32_e32 vcc_lo, 0, v151
	v_cndmask_b32_e32 v151, v151, v161, vcc_lo
	v_dual_cndmask_b32 v160, v160, v162 :: v_dual_lshlrev_b32 v163, 16, v20
	s_delay_alu instid0(VALU_DEP_2) | instskip(NEXT) | instid1(VALU_DEP_2)
	v_lshl_add_u32 v151, v151, 23, 0x3b800000
	v_and_b32_e32 v161, 0x80000000, v163
	s_delay_alu instid0(VALU_DEP_3) | instskip(NEXT) | instid1(VALU_DEP_1)
	v_lshlrev_b32_e32 v160, 20, v160
	v_or3_b32 v151, v161, v151, v160
.LBB4_428:                              ;   in Loop: Header=BB4_394 Depth=4
	s_or_b32 exec_lo, exec_lo, s13
	s_mov_b32 s13, 0
	s_mov_b32 s37, exec_lo
                                        ; implicit-def: $sgpr36
	v_cmpx_lt_i16_e64 0x7f, v149
	s_xor_b32 s37, exec_lo, s37
	s_cbranch_execnz .LBB4_1340
; %bb.429:                              ;   in Loop: Header=BB4_394 Depth=4
	s_or_saveexec_b32 s37, s37
	v_mov_b32_e32 v160, s36
	s_xor_b32 exec_lo, exec_lo, s37
	s_cbranch_execnz .LBB4_1343
.LBB4_430:                              ;   in Loop: Header=BB4_394 Depth=4
	s_or_b32 exec_lo, exec_lo, s37
	s_and_saveexec_b32 s36, s13
	s_cbranch_execz .LBB4_432
.LBB4_431:                              ;   in Loop: Header=BB4_394 Depth=4
	v_and_b32_e32 v160, 0xffff, v149
	v_lshlrev_b32_e32 v164, 16, v16
	s_delay_alu instid0(VALU_DEP_2) | instskip(NEXT) | instid1(VALU_DEP_1)
	v_and_b32_e32 v161, 7, v160
	v_clz_i32_u32_e32 v162, v161
	s_delay_alu instid0(VALU_DEP_1) | instskip(NEXT) | instid1(VALU_DEP_1)
	v_min_u32_e32 v162, 32, v162
	v_subrev_nc_u32_e32 v163, 28, v162
	v_sub_nc_u32_e32 v162, 29, v162
	s_delay_alu instid0(VALU_DEP_2) | instskip(SKIP_1) | instid1(VALU_DEP_2)
	v_lshlrev_b32_e32 v163, v163, v160
	v_bfe_u32 v160, v160, 3, 4
	v_and_b32_e32 v163, 7, v163
	s_delay_alu instid0(VALU_DEP_2) | instskip(NEXT) | instid1(VALU_DEP_2)
	v_cmp_eq_u32_e32 vcc_lo, 0, v160
	v_dual_cndmask_b32 v160, v160, v162 :: v_dual_cndmask_b32 v161, v161, v163
	v_and_b32_e32 v162, 0x80000000, v164
	s_delay_alu instid0(VALU_DEP_2) | instskip(NEXT) | instid1(VALU_DEP_3)
	v_lshl_add_u32 v160, v160, 23, 0x3b800000
	v_lshlrev_b32_e32 v161, 20, v161
	s_delay_alu instid0(VALU_DEP_1)
	v_or3_b32 v160, v162, v160, v161
.LBB4_432:                              ;   in Loop: Header=BB4_394 Depth=4
	s_or_b32 exec_lo, exec_lo, s36
	s_delay_alu instid0(VALU_DEP_1) | instskip(SKIP_1) | instid1(VALU_DEP_1)
	v_dual_max_f32 v160, v160, v160 :: v_dual_max_f32 v151, v151, v151
	s_mov_b32 s13, 0
	v_max_f32_e32 v151, v151, v160
	s_branch .LBB4_434
.LBB4_433:                              ;   in Loop: Header=BB4_394 Depth=4
	s_mov_b32 s13, -1
                                        ; implicit-def: $vgpr151
.LBB4_434:                              ;   in Loop: Header=BB4_394 Depth=4
	s_delay_alu instid0(SALU_CYCLE_1)
	s_and_b32 vcc_lo, exec_lo, s13
	s_cbranch_vccz .LBB4_444
; %bb.435:                              ;   in Loop: Header=BB4_394 Depth=4
	s_mov_b32 s13, 0
	s_mov_b32 s37, exec_lo
                                        ; implicit-def: $sgpr36
	v_cmpx_lt_i16_e64 0x7f, v150
	s_xor_b32 s37, exec_lo, s37
	s_cbranch_execnz .LBB4_1344
; %bb.436:                              ;   in Loop: Header=BB4_394 Depth=4
	s_or_saveexec_b32 s37, s37
	v_mov_b32_e32 v151, s36
	s_xor_b32 exec_lo, exec_lo, s37
	s_cbranch_execnz .LBB4_1347
.LBB4_437:                              ;   in Loop: Header=BB4_394 Depth=4
	s_or_b32 exec_lo, exec_lo, s37
	s_and_saveexec_b32 s36, s13
	s_cbranch_execz .LBB4_439
.LBB4_438:                              ;   in Loop: Header=BB4_394 Depth=4
	v_and_b32_e32 v150, 0xffff, v150
	v_lshlrev_b32_e32 v162, 16, v20
	s_delay_alu instid0(VALU_DEP_2) | instskip(NEXT) | instid1(VALU_DEP_1)
	v_and_b32_e32 v151, 7, v150
	v_clz_i32_u32_e32 v160, v151
	s_delay_alu instid0(VALU_DEP_1) | instskip(NEXT) | instid1(VALU_DEP_1)
	v_min_u32_e32 v160, 32, v160
	v_subrev_nc_u32_e32 v161, 28, v160
	v_sub_nc_u32_e32 v160, 29, v160
	s_delay_alu instid0(VALU_DEP_2) | instskip(SKIP_1) | instid1(VALU_DEP_2)
	v_lshlrev_b32_e32 v161, v161, v150
	v_bfe_u32 v150, v150, 3, 4
	v_and_b32_e32 v161, 7, v161
	s_delay_alu instid0(VALU_DEP_2) | instskip(NEXT) | instid1(VALU_DEP_2)
	v_cmp_eq_u32_e32 vcc_lo, 0, v150
	v_dual_cndmask_b32 v150, v150, v160 :: v_dual_cndmask_b32 v151, v151, v161
	v_and_b32_e32 v160, 0x80000000, v162
	s_delay_alu instid0(VALU_DEP_2) | instskip(NEXT) | instid1(VALU_DEP_3)
	v_lshl_add_u32 v150, v150, 23, 0x3b800000
	v_lshlrev_b32_e32 v151, 20, v151
	s_delay_alu instid0(VALU_DEP_1)
	v_or3_b32 v151, v160, v150, v151
.LBB4_439:                              ;   in Loop: Header=BB4_394 Depth=4
	s_or_b32 exec_lo, exec_lo, s36
	s_mov_b32 s13, 0
	s_mov_b32 s37, exec_lo
                                        ; implicit-def: $sgpr36
	v_cmpx_lt_i16_e64 0x7f, v149
	s_xor_b32 s37, exec_lo, s37
	s_cbranch_execnz .LBB4_1348
; %bb.440:                              ;   in Loop: Header=BB4_394 Depth=4
	s_or_saveexec_b32 s37, s37
	v_mov_b32_e32 v150, s36
	s_xor_b32 exec_lo, exec_lo, s37
	s_cbranch_execnz .LBB4_1351
.LBB4_441:                              ;   in Loop: Header=BB4_394 Depth=4
	s_or_b32 exec_lo, exec_lo, s37
	s_and_saveexec_b32 s36, s13
	s_cbranch_execz .LBB4_443
.LBB4_442:                              ;   in Loop: Header=BB4_394 Depth=4
	v_and_b32_e32 v149, 0xffff, v149
	v_lshlrev_b32_e32 v162, 16, v16
	s_delay_alu instid0(VALU_DEP_2) | instskip(NEXT) | instid1(VALU_DEP_1)
	v_and_b32_e32 v150, 7, v149
	v_clz_i32_u32_e32 v160, v150
	s_delay_alu instid0(VALU_DEP_1) | instskip(NEXT) | instid1(VALU_DEP_1)
	v_min_u32_e32 v160, 32, v160
	v_subrev_nc_u32_e32 v161, 28, v160
	v_sub_nc_u32_e32 v160, 29, v160
	s_delay_alu instid0(VALU_DEP_2) | instskip(SKIP_1) | instid1(VALU_DEP_2)
	v_lshlrev_b32_e32 v161, v161, v149
	v_bfe_u32 v149, v149, 3, 4
	v_and_b32_e32 v161, 7, v161
	s_delay_alu instid0(VALU_DEP_2) | instskip(NEXT) | instid1(VALU_DEP_2)
	v_cmp_eq_u32_e32 vcc_lo, 0, v149
	v_dual_cndmask_b32 v149, v149, v160 :: v_dual_cndmask_b32 v150, v150, v161
	v_and_b32_e32 v160, 0x80000000, v162
	s_delay_alu instid0(VALU_DEP_2) | instskip(NEXT) | instid1(VALU_DEP_3)
	v_lshl_add_u32 v149, v149, 23, 0x3b800000
	v_lshlrev_b32_e32 v150, 20, v150
	s_delay_alu instid0(VALU_DEP_1)
	v_or3_b32 v150, v160, v149, v150
.LBB4_443:                              ;   in Loop: Header=BB4_394 Depth=4
	s_or_b32 exec_lo, exec_lo, s36
	s_delay_alu instid0(VALU_DEP_1) | instskip(NEXT) | instid1(VALU_DEP_1)
	v_dual_max_f32 v149, v150, v150 :: v_dual_max_f32 v150, v151, v151
	v_min_f32_e32 v151, v150, v149
.LBB4_444:                              ;   in Loop: Header=BB4_394 Depth=4
	s_delay_alu instid0(VALU_DEP_1) | instskip(NEXT) | instid1(VALU_DEP_1)
	v_and_b32_e32 v149, 0x7f800000, v151
	v_cmp_ne_u32_e32 vcc_lo, 0x7f800000, v149
	v_mov_b32_e32 v149, 0x80
	s_and_saveexec_b32 s36, vcc_lo
	s_cbranch_execz .LBB4_452
; %bb.445:                              ;   in Loop: Header=BB4_394 Depth=4
	v_mov_b32_e32 v149, 0
	s_mov_b32 s37, exec_lo
	v_cmpx_ne_u32_e32 0, v151
	s_cbranch_execz .LBB4_451
; %bb.446:                              ;   in Loop: Header=BB4_394 Depth=4
	v_bfe_u32 v149, v151, 23, 8
	v_and_b32_e32 v150, 0x7fffff, v151
	s_delay_alu instid0(VALU_DEP_2) | instskip(SKIP_1) | instid1(VALU_DEP_3)
	v_sub_nc_u32_e32 v160, 0x78, v149
	v_cmp_gt_u32_e32 vcc_lo, 0x79, v149
	v_or_b32_e32 v161, 0x800000, v150
	s_delay_alu instid0(VALU_DEP_3) | instskip(SKIP_2) | instid1(VALU_DEP_3)
	v_cndmask_b32_e32 v160, 0, v160, vcc_lo
	v_cmp_eq_u32_e32 vcc_lo, 0, v149
	v_add_nc_u32_e32 v149, 0xffffff89, v149
	v_cndmask_b32_e64 v160, v160, 0x77, vcc_lo
	v_cndmask_b32_e32 v150, v161, v150, vcc_lo
	s_delay_alu instid0(VALU_DEP_3) | instskip(NEXT) | instid1(VALU_DEP_3)
	v_cndmask_b32_e64 v149, v149, 0xffffff8a, vcc_lo
	v_lshl_add_u32 v161, 0x100000, v160, -1
	s_delay_alu instid0(VALU_DEP_3) | instskip(SKIP_1) | instid1(VALU_DEP_4)
	v_lshrrev_b32_e32 v162, v160, v150
	v_lshlrev_b32_e64 v164, v160, 0x80000
	v_add_nc_u32_e32 v160, v160, v149
	s_delay_alu instid0(VALU_DEP_4) | instskip(NEXT) | instid1(VALU_DEP_4)
	v_and_b32_e32 v150, v161, v150
	v_bfe_u32 v163, v162, 20, 1
	s_delay_alu instid0(VALU_DEP_2) | instskip(NEXT) | instid1(VALU_DEP_2)
	v_cmp_eq_u32_e64 s13, v150, v164
	v_add_nc_u32_e32 v161, -1, v163
	s_delay_alu instid0(VALU_DEP_1) | instskip(SKIP_2) | instid1(VALU_DEP_2)
	v_cndmask_b32_e64 v150, 0, v161, s13
	v_lshrrev_b32_e32 v161, 23, v162
	s_mov_b32 s13, exec_lo
	v_add_nc_u32_e32 v150, v150, v162
	s_delay_alu instid0(VALU_DEP_2) | instskip(NEXT) | instid1(VALU_DEP_2)
	v_xor_b32_e32 v161, 1, v161
	v_and_b32_e32 v149, 0xfffff, v150
	s_delay_alu instid0(VALU_DEP_1) | instskip(NEXT) | instid1(VALU_DEP_3)
	v_add_nc_u32_e32 v150, v149, v162
                                        ; implicit-def: $vgpr149
	v_cmpx_ne_u32_e64 v160, v161
	s_xor_b32 s13, exec_lo, s13
; %bb.447:                              ;   in Loop: Header=BB4_394 Depth=4
	s_delay_alu instid0(VALU_DEP_2) | instskip(SKIP_2) | instid1(VALU_DEP_2)
	v_cmp_lt_u32_e32 vcc_lo, 0xffffff, v150
	v_sub_nc_u32_e32 v149, v160, v161
	v_cndmask_b32_e64 v160, 0, 1, vcc_lo
	v_add_co_ci_u32_e32 v149, vcc_lo, 0, v149, vcc_lo
	s_delay_alu instid0(VALU_DEP_2)
	v_lshrrev_b32_e32 v150, v160, v150
; %bb.448:                              ;   in Loop: Header=BB4_394 Depth=4
	s_and_not1_saveexec_b32 s13, s13
; %bb.449:                              ;   in Loop: Header=BB4_394 Depth=4
	s_delay_alu instid0(VALU_DEP_1)
	v_bfe_u32 v149, v150, 23, 1
; %bb.450:                              ;   in Loop: Header=BB4_394 Depth=4
	s_or_b32 exec_lo, exec_lo, s13
	v_lshrrev_b32_e32 v150, 20, v150
	s_delay_alu instid0(VALU_DEP_2) | instskip(SKIP_2) | instid1(VALU_DEP_2)
	v_cmp_gt_i32_e32 vcc_lo, 16, v149
	v_lshrrev_b32_e32 v151, 24, v151
	v_min_i32_e32 v160, 15, v149
	v_dual_cndmask_b32 v150, 7, v150 :: v_dual_and_b32 v151, 0x80, v151
	s_delay_alu instid0(VALU_DEP_1) | instskip(SKIP_1) | instid1(VALU_DEP_2)
	v_or_b32_e32 v149, v149, v150
	v_and_b32_e32 v161, 7, v150
	v_cmp_ne_u32_e32 vcc_lo, 0, v149
	v_lshlrev_b32_e32 v160, 3, v160
	s_delay_alu instid0(VALU_DEP_1) | instskip(NEXT) | instid1(VALU_DEP_1)
	v_or3_b32 v150, v160, v151, v161
	v_cndmask_b32_e32 v149, 0, v150, vcc_lo
.LBB4_451:                              ;   in Loop: Header=BB4_394 Depth=4
	s_or_b32 exec_lo, exec_lo, s37
.LBB4_452:                              ;   in Loop: Header=BB4_394 Depth=4
	s_delay_alu instid0(SALU_CYCLE_1) | instskip(SKIP_3) | instid1(VALU_DEP_2)
	s_or_b32 exec_lo, exec_lo, s36
	v_lshrrev_b32_e32 v151, 16, v20
	v_lshrrev_b32_e32 v150, 16, v16
	s_and_b32 vcc_lo, exec_lo, s35
	v_and_b32_e32 v160, 0xff, v151
	s_delay_alu instid0(VALU_DEP_1)
	v_cmp_lt_i16_e64 s13, 0x7f, v160
	s_cbranch_vccz .LBB4_462
; %bb.453:                              ;   in Loop: Header=BB4_394 Depth=4
	s_mov_b32 s36, 0
                                        ; implicit-def: $sgpr37
	s_delay_alu instid0(VALU_DEP_1) | instskip(NEXT) | instid1(SALU_CYCLE_1)
	s_and_saveexec_b32 vcc_lo, s13
	s_xor_b32 s13, exec_lo, vcc_lo
	s_cbranch_execnz .LBB4_1352
; %bb.454:                              ;   in Loop: Header=BB4_394 Depth=4
	s_or_saveexec_b32 s13, s13
	v_mov_b32_e32 v161, s37
	s_xor_b32 exec_lo, exec_lo, s13
	s_cbranch_execnz .LBB4_1355
.LBB4_455:                              ;   in Loop: Header=BB4_394 Depth=4
	s_or_b32 exec_lo, exec_lo, s13
	s_and_saveexec_b32 s13, s36
	s_cbranch_execz .LBB4_457
.LBB4_456:                              ;   in Loop: Header=BB4_394 Depth=4
	v_bfe_u32 v161, v20, 16, 3
	v_bfe_u32 v164, v20, 19, 4
	v_lshlrev_b32_e32 v165, 24, v151
	s_delay_alu instid0(VALU_DEP_3) | instskip(NEXT) | instid1(VALU_DEP_3)
	v_clz_i32_u32_e32 v162, v161
	v_cmp_eq_u32_e32 vcc_lo, 0, v164
	s_delay_alu instid0(VALU_DEP_2) | instskip(NEXT) | instid1(VALU_DEP_1)
	v_min_u32_e32 v162, 32, v162
	v_subrev_nc_u32_e32 v163, 28, v162
	v_sub_nc_u32_e32 v162, 29, v162
	s_delay_alu instid0(VALU_DEP_1) | instskip(NEXT) | instid1(VALU_DEP_1)
	v_dual_cndmask_b32 v162, v164, v162 :: v_dual_lshlrev_b32 v163, v163, v151
	v_and_b32_e32 v163, 7, v163
	s_delay_alu instid0(VALU_DEP_2) | instskip(NEXT) | instid1(VALU_DEP_2)
	v_lshl_add_u32 v162, v162, 23, 0x3b800000
	v_cndmask_b32_e32 v161, v161, v163, vcc_lo
	v_and_b32_e32 v163, 0x80000000, v165
	s_delay_alu instid0(VALU_DEP_2) | instskip(NEXT) | instid1(VALU_DEP_1)
	v_lshlrev_b32_e32 v161, 20, v161
	v_or3_b32 v161, v163, v162, v161
.LBB4_457:                              ;   in Loop: Header=BB4_394 Depth=4
	s_or_b32 exec_lo, exec_lo, s13
	v_and_b32_e32 v163, 0xff, v150
	s_mov_b32 s13, 0
	s_mov_b32 s37, exec_lo
                                        ; implicit-def: $sgpr36
	s_delay_alu instid0(VALU_DEP_1)
	v_cmpx_lt_i16_e64 0x7f, v163
	s_xor_b32 s37, exec_lo, s37
	s_cbranch_execnz .LBB4_1356
; %bb.458:                              ;   in Loop: Header=BB4_394 Depth=4
	s_or_saveexec_b32 s37, s37
	v_mov_b32_e32 v162, s36
	s_xor_b32 exec_lo, exec_lo, s37
	s_cbranch_execnz .LBB4_1359
.LBB4_459:                              ;   in Loop: Header=BB4_394 Depth=4
	s_or_b32 exec_lo, exec_lo, s37
	s_and_saveexec_b32 s36, s13
	s_cbranch_execz .LBB4_461
.LBB4_460:                              ;   in Loop: Header=BB4_394 Depth=4
	v_bfe_u32 v162, v16, 16, 3
	v_bfe_u32 v165, v16, 19, 4
	v_lshlrev_b32_e32 v166, 24, v150
	s_delay_alu instid0(VALU_DEP_3) | instskip(NEXT) | instid1(VALU_DEP_3)
	v_clz_i32_u32_e32 v163, v162
	v_cmp_eq_u32_e32 vcc_lo, 0, v165
	s_delay_alu instid0(VALU_DEP_2) | instskip(NEXT) | instid1(VALU_DEP_1)
	v_min_u32_e32 v163, 32, v163
	v_subrev_nc_u32_e32 v164, 28, v163
	v_sub_nc_u32_e32 v163, 29, v163
	s_delay_alu instid0(VALU_DEP_1) | instskip(NEXT) | instid1(VALU_DEP_1)
	v_dual_cndmask_b32 v163, v165, v163 :: v_dual_lshlrev_b32 v164, v164, v150
	v_and_b32_e32 v164, 7, v164
	s_delay_alu instid0(VALU_DEP_2) | instskip(NEXT) | instid1(VALU_DEP_2)
	v_lshl_add_u32 v163, v163, 23, 0x3b800000
	v_cndmask_b32_e32 v162, v162, v164, vcc_lo
	v_and_b32_e32 v164, 0x80000000, v166
	s_delay_alu instid0(VALU_DEP_2) | instskip(NEXT) | instid1(VALU_DEP_1)
	v_lshlrev_b32_e32 v162, 20, v162
	v_or3_b32 v162, v164, v163, v162
.LBB4_461:                              ;   in Loop: Header=BB4_394 Depth=4
	s_or_b32 exec_lo, exec_lo, s36
	s_delay_alu instid0(VALU_DEP_1) | instskip(SKIP_1) | instid1(VALU_DEP_1)
	v_dual_max_f32 v162, v162, v162 :: v_dual_max_f32 v161, v161, v161
	s_mov_b32 s13, 0
	v_max_f32_e32 v161, v161, v162
	s_branch .LBB4_463
.LBB4_462:                              ;   in Loop: Header=BB4_394 Depth=4
	s_mov_b32 s13, -1
                                        ; implicit-def: $vgpr161
.LBB4_463:                              ;   in Loop: Header=BB4_394 Depth=4
	s_delay_alu instid0(SALU_CYCLE_1)
	s_and_b32 vcc_lo, exec_lo, s13
	s_cbranch_vccz .LBB4_473
; %bb.464:                              ;   in Loop: Header=BB4_394 Depth=4
	s_mov_b32 s13, 0
	s_mov_b32 s37, exec_lo
                                        ; implicit-def: $sgpr36
	v_cmpx_lt_i16_e64 0x7f, v160
	s_xor_b32 s37, exec_lo, s37
	s_cbranch_execnz .LBB4_1360
; %bb.465:                              ;   in Loop: Header=BB4_394 Depth=4
	s_or_saveexec_b32 s37, s37
	v_mov_b32_e32 v161, s36
	s_xor_b32 exec_lo, exec_lo, s37
	s_cbranch_execnz .LBB4_1363
.LBB4_466:                              ;   in Loop: Header=BB4_394 Depth=4
	s_or_b32 exec_lo, exec_lo, s37
	s_and_saveexec_b32 s36, s13
	s_cbranch_execz .LBB4_468
.LBB4_467:                              ;   in Loop: Header=BB4_394 Depth=4
	v_bfe_u32 v160, v20, 16, 3
	v_bfe_u32 v163, v20, 19, 4
	s_delay_alu instid0(VALU_DEP_2) | instskip(NEXT) | instid1(VALU_DEP_2)
	v_clz_i32_u32_e32 v161, v160
	v_cmp_eq_u32_e32 vcc_lo, 0, v163
	s_delay_alu instid0(VALU_DEP_2) | instskip(NEXT) | instid1(VALU_DEP_1)
	v_min_u32_e32 v161, 32, v161
	v_subrev_nc_u32_e32 v162, 28, v161
	v_sub_nc_u32_e32 v161, 29, v161
	s_delay_alu instid0(VALU_DEP_1) | instskip(NEXT) | instid1(VALU_DEP_1)
	v_dual_cndmask_b32 v161, v163, v161 :: v_dual_lshlrev_b32 v162, v162, v151
	v_and_b32_e32 v162, 7, v162
	v_lshlrev_b32_e32 v151, 24, v151
	s_delay_alu instid0(VALU_DEP_3) | instskip(NEXT) | instid1(VALU_DEP_2)
	v_lshl_add_u32 v161, v161, 23, 0x3b800000
	v_dual_cndmask_b32 v160, v160, v162 :: v_dual_and_b32 v151, 0x80000000, v151
	s_delay_alu instid0(VALU_DEP_1) | instskip(NEXT) | instid1(VALU_DEP_1)
	v_lshlrev_b32_e32 v160, 20, v160
	v_or3_b32 v161, v151, v161, v160
.LBB4_468:                              ;   in Loop: Header=BB4_394 Depth=4
	s_or_b32 exec_lo, exec_lo, s36
	v_and_b32_e32 v160, 0xff, v150
	s_mov_b32 s13, 0
	s_mov_b32 s37, exec_lo
                                        ; implicit-def: $sgpr36
	s_delay_alu instid0(VALU_DEP_1)
	v_cmpx_lt_i16_e64 0x7f, v160
	s_xor_b32 s37, exec_lo, s37
	s_cbranch_execnz .LBB4_1364
; %bb.469:                              ;   in Loop: Header=BB4_394 Depth=4
	s_or_saveexec_b32 s37, s37
	v_mov_b32_e32 v151, s36
	s_xor_b32 exec_lo, exec_lo, s37
	s_cbranch_execnz .LBB4_1367
.LBB4_470:                              ;   in Loop: Header=BB4_394 Depth=4
	s_or_b32 exec_lo, exec_lo, s37
	s_and_saveexec_b32 s36, s13
	s_cbranch_execz .LBB4_472
.LBB4_471:                              ;   in Loop: Header=BB4_394 Depth=4
	v_bfe_u32 v151, v16, 16, 3
	v_bfe_u32 v163, v16, 19, 4
	s_delay_alu instid0(VALU_DEP_2) | instskip(NEXT) | instid1(VALU_DEP_2)
	v_clz_i32_u32_e32 v160, v151
	v_cmp_eq_u32_e32 vcc_lo, 0, v163
	s_delay_alu instid0(VALU_DEP_2) | instskip(NEXT) | instid1(VALU_DEP_1)
	v_min_u32_e32 v160, 32, v160
	v_subrev_nc_u32_e32 v162, 28, v160
	v_sub_nc_u32_e32 v160, 29, v160
	s_delay_alu instid0(VALU_DEP_2) | instskip(SKIP_1) | instid1(VALU_DEP_2)
	v_lshlrev_b32_e32 v162, v162, v150
	v_lshlrev_b32_e32 v150, 24, v150
	v_and_b32_e32 v162, 7, v162
	s_delay_alu instid0(VALU_DEP_2) | instskip(NEXT) | instid1(VALU_DEP_2)
	v_and_b32_e32 v150, 0x80000000, v150
	v_cndmask_b32_e32 v151, v151, v162, vcc_lo
	s_delay_alu instid0(VALU_DEP_1) | instskip(NEXT) | instid1(VALU_DEP_1)
	v_dual_cndmask_b32 v160, v163, v160 :: v_dual_lshlrev_b32 v151, 20, v151
	v_lshl_add_u32 v160, v160, 23, 0x3b800000
	s_delay_alu instid0(VALU_DEP_1)
	v_or3_b32 v151, v150, v160, v151
.LBB4_472:                              ;   in Loop: Header=BB4_394 Depth=4
	s_or_b32 exec_lo, exec_lo, s36
	s_delay_alu instid0(VALU_DEP_1) | instskip(NEXT) | instid1(VALU_DEP_1)
	v_dual_max_f32 v150, v151, v151 :: v_dual_max_f32 v151, v161, v161
	v_min_f32_e32 v161, v151, v150
.LBB4_473:                              ;   in Loop: Header=BB4_394 Depth=4
	s_delay_alu instid0(VALU_DEP_1) | instskip(NEXT) | instid1(VALU_DEP_1)
	v_and_b32_e32 v150, 0x7f800000, v161
	v_cmp_ne_u32_e32 vcc_lo, 0x7f800000, v150
	v_mov_b32_e32 v150, 0x80
	s_and_saveexec_b32 s36, vcc_lo
	s_cbranch_execz .LBB4_481
; %bb.474:                              ;   in Loop: Header=BB4_394 Depth=4
	v_mov_b32_e32 v150, 0
	s_mov_b32 s37, exec_lo
	v_cmpx_ne_u32_e32 0, v161
	s_cbranch_execz .LBB4_480
; %bb.475:                              ;   in Loop: Header=BB4_394 Depth=4
	v_bfe_u32 v150, v161, 23, 8
	s_delay_alu instid0(VALU_DEP_1) | instskip(SKIP_1) | instid1(VALU_DEP_2)
	v_sub_nc_u32_e32 v160, 0x78, v150
	v_cmp_gt_u32_e32 vcc_lo, 0x79, v150
	v_dual_cndmask_b32 v160, 0, v160 :: v_dual_and_b32 v151, 0x7fffff, v161
	s_delay_alu instid0(VALU_DEP_1) | instskip(SKIP_2) | instid1(VALU_DEP_4)
	v_or_b32_e32 v162, 0x800000, v151
	v_cmp_eq_u32_e32 vcc_lo, 0, v150
	v_add_nc_u32_e32 v150, 0xffffff89, v150
	v_cndmask_b32_e64 v160, v160, 0x77, vcc_lo
	s_delay_alu instid0(VALU_DEP_4) | instskip(NEXT) | instid1(VALU_DEP_3)
	v_cndmask_b32_e32 v151, v162, v151, vcc_lo
	v_cndmask_b32_e64 v150, v150, 0xffffff8a, vcc_lo
	s_delay_alu instid0(VALU_DEP_3) | instskip(NEXT) | instid1(VALU_DEP_3)
	v_lshl_add_u32 v162, 0x100000, v160, -1
	v_lshrrev_b32_e32 v163, v160, v151
	v_lshlrev_b32_e64 v165, v160, 0x80000
	s_delay_alu instid0(VALU_DEP_4) | instskip(NEXT) | instid1(VALU_DEP_4)
	v_add_nc_u32_e32 v160, v160, v150
	v_and_b32_e32 v151, v162, v151
	s_delay_alu instid0(VALU_DEP_4) | instskip(NEXT) | instid1(VALU_DEP_2)
	v_bfe_u32 v164, v163, 20, 1
	v_cmp_eq_u32_e64 s13, v151, v165
	s_delay_alu instid0(VALU_DEP_2) | instskip(NEXT) | instid1(VALU_DEP_1)
	v_add_nc_u32_e32 v162, -1, v164
	v_cndmask_b32_e64 v151, 0, v162, s13
	v_lshrrev_b32_e32 v162, 23, v163
	s_mov_b32 s13, exec_lo
	s_delay_alu instid0(VALU_DEP_2) | instskip(NEXT) | instid1(VALU_DEP_2)
	v_add_nc_u32_e32 v151, v151, v163
	v_xor_b32_e32 v162, 1, v162
	s_delay_alu instid0(VALU_DEP_2) | instskip(NEXT) | instid1(VALU_DEP_1)
	v_and_b32_e32 v150, 0xfffff, v151
	v_add_nc_u32_e32 v151, v150, v163
                                        ; implicit-def: $vgpr150
	s_delay_alu instid0(VALU_DEP_3)
	v_cmpx_ne_u32_e64 v160, v162
	s_xor_b32 s13, exec_lo, s13
; %bb.476:                              ;   in Loop: Header=BB4_394 Depth=4
	s_delay_alu instid0(VALU_DEP_2) | instskip(SKIP_2) | instid1(VALU_DEP_2)
	v_cmp_lt_u32_e32 vcc_lo, 0xffffff, v151
	v_sub_nc_u32_e32 v150, v160, v162
	v_cndmask_b32_e64 v160, 0, 1, vcc_lo
	v_add_co_ci_u32_e32 v150, vcc_lo, 0, v150, vcc_lo
	s_delay_alu instid0(VALU_DEP_2)
	v_lshrrev_b32_e32 v151, v160, v151
; %bb.477:                              ;   in Loop: Header=BB4_394 Depth=4
	s_and_not1_saveexec_b32 s13, s13
; %bb.478:                              ;   in Loop: Header=BB4_394 Depth=4
	s_delay_alu instid0(VALU_DEP_1)
	v_bfe_u32 v150, v151, 23, 1
; %bb.479:                              ;   in Loop: Header=BB4_394 Depth=4
	s_or_b32 exec_lo, exec_lo, s13
	v_lshrrev_b32_e32 v151, 20, v151
	s_delay_alu instid0(VALU_DEP_2) | instskip(SKIP_2) | instid1(VALU_DEP_2)
	v_cmp_gt_i32_e32 vcc_lo, 16, v150
	v_lshrrev_b32_e32 v160, 24, v161
	v_min_i32_e32 v161, 15, v150
	v_dual_cndmask_b32 v151, 7, v151 :: v_dual_and_b32 v160, 0x80, v160
	s_delay_alu instid0(VALU_DEP_1) | instskip(SKIP_1) | instid1(VALU_DEP_2)
	v_or_b32_e32 v150, v150, v151
	v_and_b32_e32 v162, 7, v151
	v_cmp_ne_u32_e32 vcc_lo, 0, v150
	v_lshlrev_b32_e32 v161, 3, v161
	s_delay_alu instid0(VALU_DEP_1) | instskip(NEXT) | instid1(VALU_DEP_1)
	v_or3_b32 v151, v161, v160, v162
	v_cndmask_b32_e32 v150, 0, v151, vcc_lo
.LBB4_480:                              ;   in Loop: Header=BB4_394 Depth=4
	s_or_b32 exec_lo, exec_lo, s37
.LBB4_481:                              ;   in Loop: Header=BB4_394 Depth=4
	s_delay_alu instid0(SALU_CYCLE_1) | instskip(SKIP_3) | instid1(VALU_DEP_2)
	s_or_b32 exec_lo, exec_lo, s36
	v_lshrrev_b32_e32 v160, 24, v20
	v_lshrrev_b32_e32 v151, 24, v16
	s_and_b32 vcc_lo, exec_lo, s35
	v_cmp_lt_i16_e64 s13, 0x7f, v160
	s_cbranch_vccz .LBB4_491
; %bb.482:                              ;   in Loop: Header=BB4_394 Depth=4
	s_mov_b32 s36, 0
                                        ; implicit-def: $sgpr37
	s_delay_alu instid0(VALU_DEP_1) | instskip(NEXT) | instid1(SALU_CYCLE_1)
	s_and_saveexec_b32 vcc_lo, s13
	s_xor_b32 s13, exec_lo, vcc_lo
	s_cbranch_execnz .LBB4_1368
; %bb.483:                              ;   in Loop: Header=BB4_394 Depth=4
	s_or_saveexec_b32 s13, s13
	v_mov_b32_e32 v161, s37
	s_xor_b32 exec_lo, exec_lo, s13
	s_cbranch_execnz .LBB4_1371
.LBB4_484:                              ;   in Loop: Header=BB4_394 Depth=4
	s_or_b32 exec_lo, exec_lo, s13
	s_and_saveexec_b32 s13, s36
	s_cbranch_execz .LBB4_486
.LBB4_485:                              ;   in Loop: Header=BB4_394 Depth=4
	v_bfe_u32 v161, v20, 24, 3
	v_bfe_u32 v164, v20, 27, 4
	s_delay_alu instid0(VALU_DEP_2) | instskip(NEXT) | instid1(VALU_DEP_2)
	v_clz_i32_u32_e32 v162, v161
	v_cmp_eq_u32_e32 vcc_lo, 0, v164
	s_delay_alu instid0(VALU_DEP_2) | instskip(NEXT) | instid1(VALU_DEP_1)
	v_min_u32_e32 v162, 32, v162
	v_subrev_nc_u32_e32 v163, 28, v162
	v_sub_nc_u32_e32 v162, 29, v162
	s_delay_alu instid0(VALU_DEP_1) | instskip(NEXT) | instid1(VALU_DEP_1)
	v_dual_cndmask_b32 v162, v164, v162 :: v_dual_lshlrev_b32 v163, v163, v160
	v_and_b32_e32 v163, 7, v163
	s_delay_alu instid0(VALU_DEP_2) | instskip(NEXT) | instid1(VALU_DEP_2)
	v_lshl_add_u32 v162, v162, 23, 0x3b800000
	v_cndmask_b32_e32 v161, v161, v163, vcc_lo
	v_and_b32_e32 v163, 0x80000000, v20
	s_delay_alu instid0(VALU_DEP_2) | instskip(NEXT) | instid1(VALU_DEP_1)
	v_lshlrev_b32_e32 v161, 20, v161
	v_or3_b32 v161, v163, v162, v161
.LBB4_486:                              ;   in Loop: Header=BB4_394 Depth=4
	s_or_b32 exec_lo, exec_lo, s13
	s_mov_b32 s13, 0
	s_mov_b32 s37, exec_lo
                                        ; implicit-def: $sgpr36
	v_cmpx_lt_i16_e64 0x7f, v151
	s_xor_b32 s37, exec_lo, s37
	s_cbranch_execnz .LBB4_1372
; %bb.487:                              ;   in Loop: Header=BB4_394 Depth=4
	s_or_saveexec_b32 s37, s37
	v_mov_b32_e32 v162, s36
	s_xor_b32 exec_lo, exec_lo, s37
	s_cbranch_execnz .LBB4_1375
.LBB4_488:                              ;   in Loop: Header=BB4_394 Depth=4
	s_or_b32 exec_lo, exec_lo, s37
	s_and_saveexec_b32 s36, s13
	s_cbranch_execz .LBB4_490
.LBB4_489:                              ;   in Loop: Header=BB4_394 Depth=4
	v_bfe_u32 v162, v16, 24, 3
	v_bfe_u32 v165, v16, 27, 4
	s_delay_alu instid0(VALU_DEP_2) | instskip(NEXT) | instid1(VALU_DEP_2)
	v_clz_i32_u32_e32 v163, v162
	v_cmp_eq_u32_e32 vcc_lo, 0, v165
	s_delay_alu instid0(VALU_DEP_2) | instskip(NEXT) | instid1(VALU_DEP_1)
	v_min_u32_e32 v163, 32, v163
	v_subrev_nc_u32_e32 v164, 28, v163
	v_sub_nc_u32_e32 v163, 29, v163
	s_delay_alu instid0(VALU_DEP_2) | instskip(NEXT) | instid1(VALU_DEP_1)
	v_lshlrev_b32_e32 v164, v164, v151
	v_dual_cndmask_b32 v163, v165, v163 :: v_dual_and_b32 v164, 7, v164
	s_delay_alu instid0(VALU_DEP_1) | instskip(NEXT) | instid1(VALU_DEP_2)
	v_lshl_add_u32 v163, v163, 23, 0x3b800000
	v_cndmask_b32_e32 v162, v162, v164, vcc_lo
	v_and_b32_e32 v164, 0x80000000, v16
	s_delay_alu instid0(VALU_DEP_2) | instskip(NEXT) | instid1(VALU_DEP_1)
	v_lshlrev_b32_e32 v162, 20, v162
	v_or3_b32 v162, v164, v163, v162
.LBB4_490:                              ;   in Loop: Header=BB4_394 Depth=4
	s_or_b32 exec_lo, exec_lo, s36
	s_delay_alu instid0(VALU_DEP_1) | instskip(SKIP_1) | instid1(VALU_DEP_1)
	v_dual_max_f32 v162, v162, v162 :: v_dual_max_f32 v161, v161, v161
	s_mov_b32 s13, 0
	v_max_f32_e32 v161, v161, v162
	s_branch .LBB4_492
.LBB4_491:                              ;   in Loop: Header=BB4_394 Depth=4
	s_mov_b32 s13, -1
                                        ; implicit-def: $vgpr161
.LBB4_492:                              ;   in Loop: Header=BB4_394 Depth=4
	s_delay_alu instid0(SALU_CYCLE_1)
	s_and_b32 vcc_lo, exec_lo, s13
	s_cbranch_vccz .LBB4_502
; %bb.493:                              ;   in Loop: Header=BB4_394 Depth=4
	s_mov_b32 s13, 0
	s_mov_b32 s37, exec_lo
                                        ; implicit-def: $sgpr36
	v_cmpx_lt_i16_e64 0x7f, v160
	s_xor_b32 s37, exec_lo, s37
	s_cbranch_execnz .LBB4_1376
; %bb.494:                              ;   in Loop: Header=BB4_394 Depth=4
	s_or_saveexec_b32 s37, s37
	v_mov_b32_e32 v161, s36
	s_xor_b32 exec_lo, exec_lo, s37
	s_cbranch_execnz .LBB4_1379
.LBB4_495:                              ;   in Loop: Header=BB4_394 Depth=4
	s_or_b32 exec_lo, exec_lo, s37
	s_and_saveexec_b32 s36, s13
	s_cbranch_execz .LBB4_497
.LBB4_496:                              ;   in Loop: Header=BB4_394 Depth=4
	v_bfe_u32 v161, v20, 24, 3
	s_delay_alu instid0(VALU_DEP_1) | instskip(NEXT) | instid1(VALU_DEP_1)
	v_clz_i32_u32_e32 v162, v161
	v_min_u32_e32 v162, 32, v162
	s_delay_alu instid0(VALU_DEP_1) | instskip(SKIP_1) | instid1(VALU_DEP_2)
	v_subrev_nc_u32_e32 v163, 28, v162
	v_sub_nc_u32_e32 v162, 29, v162
	v_lshlrev_b32_e32 v160, v163, v160
	v_bfe_u32 v163, v20, 27, 4
	v_and_b32_e32 v20, 0x80000000, v20
	s_delay_alu instid0(VALU_DEP_3) | instskip(NEXT) | instid1(VALU_DEP_3)
	v_and_b32_e32 v160, 7, v160
	v_cmp_eq_u32_e32 vcc_lo, 0, v163
	v_cndmask_b32_e32 v162, v163, v162, vcc_lo
	s_delay_alu instid0(VALU_DEP_3) | instskip(NEXT) | instid1(VALU_DEP_2)
	v_cndmask_b32_e32 v160, v161, v160, vcc_lo
	v_lshl_add_u32 v161, v162, 23, 0x3b800000
	s_delay_alu instid0(VALU_DEP_2) | instskip(NEXT) | instid1(VALU_DEP_1)
	v_lshlrev_b32_e32 v160, 20, v160
	v_or3_b32 v161, v20, v161, v160
.LBB4_497:                              ;   in Loop: Header=BB4_394 Depth=4
	s_or_b32 exec_lo, exec_lo, s36
	s_mov_b32 s13, 0
	s_mov_b32 s37, exec_lo
                                        ; implicit-def: $sgpr36
	v_cmpx_lt_i16_e64 0x7f, v151
	s_xor_b32 s37, exec_lo, s37
	s_cbranch_execnz .LBB4_1380
; %bb.498:                              ;   in Loop: Header=BB4_394 Depth=4
	s_or_saveexec_b32 s37, s37
	v_mov_b32_e32 v20, s36
	s_xor_b32 exec_lo, exec_lo, s37
	s_cbranch_execnz .LBB4_1383
.LBB4_499:                              ;   in Loop: Header=BB4_394 Depth=4
	s_or_b32 exec_lo, exec_lo, s37
	s_and_saveexec_b32 s36, s13
	s_cbranch_execz .LBB4_501
.LBB4_500:                              ;   in Loop: Header=BB4_394 Depth=4
	v_bfe_u32 v20, v16, 24, 3
	s_delay_alu instid0(VALU_DEP_1) | instskip(NEXT) | instid1(VALU_DEP_1)
	v_clz_i32_u32_e32 v160, v20
	v_min_u32_e32 v160, 32, v160
	s_delay_alu instid0(VALU_DEP_1) | instskip(SKIP_1) | instid1(VALU_DEP_2)
	v_subrev_nc_u32_e32 v162, 28, v160
	v_sub_nc_u32_e32 v160, 29, v160
	v_lshlrev_b32_e32 v151, v162, v151
	v_bfe_u32 v162, v16, 27, 4
	v_and_b32_e32 v16, 0x80000000, v16
	s_delay_alu instid0(VALU_DEP_2) | instskip(NEXT) | instid1(VALU_DEP_4)
	v_cmp_eq_u32_e32 vcc_lo, 0, v162
	v_dual_cndmask_b32 v160, v162, v160 :: v_dual_and_b32 v151, 7, v151
	s_delay_alu instid0(VALU_DEP_1) | instskip(NEXT) | instid1(VALU_DEP_2)
	v_cndmask_b32_e32 v20, v20, v151, vcc_lo
	v_lshl_add_u32 v151, v160, 23, 0x3b800000
	s_delay_alu instid0(VALU_DEP_2) | instskip(NEXT) | instid1(VALU_DEP_1)
	v_lshlrev_b32_e32 v20, 20, v20
	v_or3_b32 v20, v16, v151, v20
.LBB4_501:                              ;   in Loop: Header=BB4_394 Depth=4
	s_or_b32 exec_lo, exec_lo, s36
	s_delay_alu instid0(VALU_DEP_1) | instskip(SKIP_1) | instid1(VALU_DEP_1)
	v_max_f32_e32 v16, v20, v20
	v_max_f32_e32 v20, v161, v161
	v_min_f32_e32 v161, v20, v16
.LBB4_502:                              ;   in Loop: Header=BB4_394 Depth=4
	s_delay_alu instid0(VALU_DEP_1) | instskip(NEXT) | instid1(VALU_DEP_1)
	v_and_b32_e32 v16, 0x7f800000, v161
	v_cmp_ne_u32_e32 vcc_lo, 0x7f800000, v16
	v_mov_b32_e32 v16, 0x80
	s_and_saveexec_b32 s36, vcc_lo
	s_cbranch_execz .LBB4_510
; %bb.503:                              ;   in Loop: Header=BB4_394 Depth=4
	v_mov_b32_e32 v16, 0
	s_mov_b32 s37, exec_lo
	v_cmpx_ne_u32_e32 0, v161
	s_cbranch_execz .LBB4_509
; %bb.504:                              ;   in Loop: Header=BB4_394 Depth=4
	v_bfe_u32 v16, v161, 23, 8
	s_delay_alu instid0(VALU_DEP_1) | instskip(SKIP_1) | instid1(VALU_DEP_2)
	v_sub_nc_u32_e32 v151, 0x78, v16
	v_cmp_gt_u32_e32 vcc_lo, 0x79, v16
	v_dual_cndmask_b32 v151, 0, v151 :: v_dual_and_b32 v20, 0x7fffff, v161
	s_delay_alu instid0(VALU_DEP_1) | instskip(SKIP_2) | instid1(VALU_DEP_4)
	v_or_b32_e32 v160, 0x800000, v20
	v_cmp_eq_u32_e32 vcc_lo, 0, v16
	v_add_nc_u32_e32 v16, 0xffffff89, v16
	v_cndmask_b32_e64 v151, v151, 0x77, vcc_lo
	s_delay_alu instid0(VALU_DEP_4) | instskip(NEXT) | instid1(VALU_DEP_3)
	v_cndmask_b32_e32 v20, v160, v20, vcc_lo
	v_cndmask_b32_e64 v16, v16, 0xffffff8a, vcc_lo
	s_delay_alu instid0(VALU_DEP_3) | instskip(NEXT) | instid1(VALU_DEP_3)
	v_lshl_add_u32 v160, 0x100000, v151, -1
	v_lshrrev_b32_e32 v162, v151, v20
	v_lshlrev_b32_e64 v164, v151, 0x80000
	s_delay_alu instid0(VALU_DEP_4) | instskip(NEXT) | instid1(VALU_DEP_4)
	v_add_nc_u32_e32 v151, v151, v16
	v_and_b32_e32 v20, v160, v20
	s_delay_alu instid0(VALU_DEP_4) | instskip(NEXT) | instid1(VALU_DEP_2)
	v_bfe_u32 v163, v162, 20, 1
	v_cmp_eq_u32_e64 s13, v20, v164
	s_delay_alu instid0(VALU_DEP_2) | instskip(NEXT) | instid1(VALU_DEP_1)
	v_add_nc_u32_e32 v160, -1, v163
	v_cndmask_b32_e64 v20, 0, v160, s13
	v_lshrrev_b32_e32 v160, 23, v162
	s_mov_b32 s13, exec_lo
	s_delay_alu instid0(VALU_DEP_2) | instskip(NEXT) | instid1(VALU_DEP_2)
	v_add_nc_u32_e32 v20, v20, v162
	v_xor_b32_e32 v160, 1, v160
	s_delay_alu instid0(VALU_DEP_2) | instskip(NEXT) | instid1(VALU_DEP_1)
	v_and_b32_e32 v16, 0xfffff, v20
	v_add_nc_u32_e32 v20, v16, v162
                                        ; implicit-def: $vgpr16
	s_delay_alu instid0(VALU_DEP_3)
	v_cmpx_ne_u32_e64 v151, v160
	s_xor_b32 s13, exec_lo, s13
; %bb.505:                              ;   in Loop: Header=BB4_394 Depth=4
	s_delay_alu instid0(VALU_DEP_2) | instskip(SKIP_2) | instid1(VALU_DEP_2)
	v_cmp_lt_u32_e32 vcc_lo, 0xffffff, v20
	v_sub_nc_u32_e32 v16, v151, v160
	v_cndmask_b32_e64 v151, 0, 1, vcc_lo
	v_add_co_ci_u32_e32 v16, vcc_lo, 0, v16, vcc_lo
	s_delay_alu instid0(VALU_DEP_2)
	v_lshrrev_b32_e32 v20, v151, v20
; %bb.506:                              ;   in Loop: Header=BB4_394 Depth=4
	s_and_not1_saveexec_b32 s13, s13
; %bb.507:                              ;   in Loop: Header=BB4_394 Depth=4
	s_delay_alu instid0(VALU_DEP_1)
	v_bfe_u32 v16, v20, 23, 1
; %bb.508:                              ;   in Loop: Header=BB4_394 Depth=4
	s_or_b32 exec_lo, exec_lo, s13
	v_lshrrev_b32_e32 v20, 20, v20
	s_delay_alu instid0(VALU_DEP_2) | instskip(SKIP_2) | instid1(VALU_DEP_2)
	v_cmp_gt_i32_e32 vcc_lo, 16, v16
	v_lshrrev_b32_e32 v151, 24, v161
	v_min_i32_e32 v160, 15, v16
	v_dual_cndmask_b32 v20, 7, v20 :: v_dual_and_b32 v151, 0x80, v151
	s_delay_alu instid0(VALU_DEP_2) | instskip(NEXT) | instid1(VALU_DEP_2)
	v_lshlrev_b32_e32 v160, 3, v160
	v_and_b32_e32 v161, 7, v20
	v_or_b32_e32 v16, v16, v20
	s_delay_alu instid0(VALU_DEP_2) | instskip(NEXT) | instid1(VALU_DEP_2)
	v_or3_b32 v20, v160, v151, v161
	v_cmp_ne_u32_e32 vcc_lo, 0, v16
	s_delay_alu instid0(VALU_DEP_2)
	v_cndmask_b32_e32 v16, 0, v20, vcc_lo
.LBB4_509:                              ;   in Loop: Header=BB4_394 Depth=4
	s_or_b32 exec_lo, exec_lo, s37
.LBB4_510:                              ;   in Loop: Header=BB4_394 Depth=4
	s_delay_alu instid0(SALU_CYCLE_1) | instskip(SKIP_2) | instid1(VALU_DEP_1)
	s_or_b32 exec_lo, exec_lo, s36
	v_and_b32_e32 v20, 0xff, v21
	s_and_b32 vcc_lo, exec_lo, s35
	v_cmp_lt_i16_e64 s13, 0x7f, v20
	s_cbranch_vccz .LBB4_520
; %bb.511:                              ;   in Loop: Header=BB4_394 Depth=4
	s_mov_b32 s36, 0
                                        ; implicit-def: $sgpr37
	s_delay_alu instid0(VALU_DEP_1) | instskip(NEXT) | instid1(SALU_CYCLE_1)
	s_and_saveexec_b32 vcc_lo, s13
	s_xor_b32 s13, exec_lo, vcc_lo
	s_cbranch_execnz .LBB4_1384
; %bb.512:                              ;   in Loop: Header=BB4_394 Depth=4
	s_or_saveexec_b32 s13, s13
	v_mov_b32_e32 v151, s37
	s_xor_b32 exec_lo, exec_lo, s13
	s_cbranch_execnz .LBB4_1387
.LBB4_513:                              ;   in Loop: Header=BB4_394 Depth=4
	s_or_b32 exec_lo, exec_lo, s13
	s_and_saveexec_b32 s13, s36
	s_cbranch_execz .LBB4_515
.LBB4_514:                              ;   in Loop: Header=BB4_394 Depth=4
	v_bfe_u32 v162, v21, 3, 4
	v_lshlrev_b32_e32 v163, 24, v21
	s_delay_alu instid0(VALU_DEP_2) | instskip(SKIP_1) | instid1(VALU_DEP_1)
	v_cmp_eq_u32_e32 vcc_lo, 0, v162
	v_and_b32_e32 v151, 7, v21
	v_clz_i32_u32_e32 v160, v151
	s_delay_alu instid0(VALU_DEP_1) | instskip(NEXT) | instid1(VALU_DEP_1)
	v_min_u32_e32 v160, 32, v160
	v_subrev_nc_u32_e32 v161, 28, v160
	v_sub_nc_u32_e32 v160, 29, v160
	s_delay_alu instid0(VALU_DEP_1) | instskip(NEXT) | instid1(VALU_DEP_1)
	v_dual_cndmask_b32 v160, v162, v160 :: v_dual_lshlrev_b32 v161, v161, v21
	v_and_b32_e32 v161, 7, v161
	s_delay_alu instid0(VALU_DEP_2) | instskip(NEXT) | instid1(VALU_DEP_2)
	v_lshl_add_u32 v160, v160, 23, 0x3b800000
	v_cndmask_b32_e32 v151, v151, v161, vcc_lo
	v_and_b32_e32 v161, 0x80000000, v163
	s_delay_alu instid0(VALU_DEP_2) | instskip(NEXT) | instid1(VALU_DEP_1)
	v_lshlrev_b32_e32 v151, 20, v151
	v_or3_b32 v151, v161, v160, v151
.LBB4_515:                              ;   in Loop: Header=BB4_394 Depth=4
	s_or_b32 exec_lo, exec_lo, s13
	v_and_b32_e32 v161, 0xff, v17
	s_mov_b32 s13, 0
	s_mov_b32 s37, exec_lo
                                        ; implicit-def: $sgpr36
	s_delay_alu instid0(VALU_DEP_1)
	v_cmpx_lt_i16_e64 0x7f, v161
	s_xor_b32 s37, exec_lo, s37
	s_cbranch_execnz .LBB4_1388
; %bb.516:                              ;   in Loop: Header=BB4_394 Depth=4
	s_or_saveexec_b32 s37, s37
	v_mov_b32_e32 v160, s36
	s_xor_b32 exec_lo, exec_lo, s37
	s_cbranch_execnz .LBB4_1391
.LBB4_517:                              ;   in Loop: Header=BB4_394 Depth=4
	s_or_b32 exec_lo, exec_lo, s37
	s_and_saveexec_b32 s36, s13
	s_cbranch_execz .LBB4_519
.LBB4_518:                              ;   in Loop: Header=BB4_394 Depth=4
	v_and_b32_e32 v160, 7, v17
	v_bfe_u32 v163, v17, 3, 4
	v_lshlrev_b32_e32 v164, 24, v17
	s_delay_alu instid0(VALU_DEP_3) | instskip(NEXT) | instid1(VALU_DEP_3)
	v_clz_i32_u32_e32 v161, v160
	v_cmp_eq_u32_e32 vcc_lo, 0, v163
	s_delay_alu instid0(VALU_DEP_2) | instskip(NEXT) | instid1(VALU_DEP_1)
	v_min_u32_e32 v161, 32, v161
	v_subrev_nc_u32_e32 v162, 28, v161
	v_sub_nc_u32_e32 v161, 29, v161
	s_delay_alu instid0(VALU_DEP_2) | instskip(NEXT) | instid1(VALU_DEP_1)
	v_lshlrev_b32_e32 v162, v162, v17
	v_dual_cndmask_b32 v161, v163, v161 :: v_dual_and_b32 v162, 7, v162
	s_delay_alu instid0(VALU_DEP_1) | instskip(NEXT) | instid1(VALU_DEP_2)
	v_lshl_add_u32 v161, v161, 23, 0x3b800000
	v_cndmask_b32_e32 v160, v160, v162, vcc_lo
	v_and_b32_e32 v162, 0x80000000, v164
	s_delay_alu instid0(VALU_DEP_2) | instskip(NEXT) | instid1(VALU_DEP_1)
	v_lshlrev_b32_e32 v160, 20, v160
	v_or3_b32 v160, v162, v161, v160
.LBB4_519:                              ;   in Loop: Header=BB4_394 Depth=4
	s_or_b32 exec_lo, exec_lo, s36
	s_delay_alu instid0(VALU_DEP_1) | instskip(SKIP_1) | instid1(VALU_DEP_1)
	v_dual_max_f32 v160, v160, v160 :: v_dual_max_f32 v151, v151, v151
	s_mov_b32 s13, 0
	v_max_f32_e32 v151, v151, v160
	s_branch .LBB4_521
.LBB4_520:                              ;   in Loop: Header=BB4_394 Depth=4
	s_mov_b32 s13, -1
                                        ; implicit-def: $vgpr151
.LBB4_521:                              ;   in Loop: Header=BB4_394 Depth=4
	s_delay_alu instid0(SALU_CYCLE_1)
	s_and_b32 vcc_lo, exec_lo, s13
	s_cbranch_vccz .LBB4_531
; %bb.522:                              ;   in Loop: Header=BB4_394 Depth=4
	s_mov_b32 s13, 0
	s_mov_b32 s37, exec_lo
                                        ; implicit-def: $sgpr36
	v_cmpx_lt_i16_e32 0x7f, v20
	s_xor_b32 s37, exec_lo, s37
	s_cbranch_execnz .LBB4_1392
; %bb.523:                              ;   in Loop: Header=BB4_394 Depth=4
	s_or_saveexec_b32 s37, s37
	v_mov_b32_e32 v151, s36
	s_xor_b32 exec_lo, exec_lo, s37
	s_cbranch_execnz .LBB4_1395
.LBB4_524:                              ;   in Loop: Header=BB4_394 Depth=4
	s_or_b32 exec_lo, exec_lo, s37
	s_and_saveexec_b32 s36, s13
	s_cbranch_execz .LBB4_526
.LBB4_525:                              ;   in Loop: Header=BB4_394 Depth=4
	v_bfe_u32 v161, v21, 3, 4
	v_lshlrev_b32_e32 v162, 24, v21
	s_delay_alu instid0(VALU_DEP_2) | instskip(SKIP_1) | instid1(VALU_DEP_1)
	v_cmp_eq_u32_e32 vcc_lo, 0, v161
	v_and_b32_e32 v20, 7, v21
	v_clz_i32_u32_e32 v151, v20
	s_delay_alu instid0(VALU_DEP_1) | instskip(NEXT) | instid1(VALU_DEP_1)
	v_min_u32_e32 v151, 32, v151
	v_subrev_nc_u32_e32 v160, 28, v151
	v_sub_nc_u32_e32 v151, 29, v151
	s_delay_alu instid0(VALU_DEP_1) | instskip(NEXT) | instid1(VALU_DEP_1)
	v_dual_cndmask_b32 v151, v161, v151 :: v_dual_lshlrev_b32 v160, v160, v21
	v_and_b32_e32 v160, 7, v160
	s_delay_alu instid0(VALU_DEP_2) | instskip(NEXT) | instid1(VALU_DEP_2)
	v_lshl_add_u32 v151, v151, 23, 0x3b800000
	v_cndmask_b32_e32 v20, v20, v160, vcc_lo
	v_and_b32_e32 v160, 0x80000000, v162
	s_delay_alu instid0(VALU_DEP_2) | instskip(NEXT) | instid1(VALU_DEP_1)
	v_lshlrev_b32_e32 v20, 20, v20
	v_or3_b32 v151, v160, v151, v20
.LBB4_526:                              ;   in Loop: Header=BB4_394 Depth=4
	s_or_b32 exec_lo, exec_lo, s36
	v_and_b32_e32 v160, 0xff, v17
	s_mov_b32 s13, 0
	s_mov_b32 s37, exec_lo
                                        ; implicit-def: $sgpr36
	s_delay_alu instid0(VALU_DEP_1)
	v_cmpx_lt_i16_e64 0x7f, v160
	s_xor_b32 s37, exec_lo, s37
	s_cbranch_execnz .LBB4_1396
; %bb.527:                              ;   in Loop: Header=BB4_394 Depth=4
	s_or_saveexec_b32 s37, s37
	v_mov_b32_e32 v20, s36
	s_xor_b32 exec_lo, exec_lo, s37
	s_cbranch_execnz .LBB4_1399
.LBB4_528:                              ;   in Loop: Header=BB4_394 Depth=4
	s_or_b32 exec_lo, exec_lo, s37
	s_and_saveexec_b32 s36, s13
	s_cbranch_execz .LBB4_530
.LBB4_529:                              ;   in Loop: Header=BB4_394 Depth=4
	v_and_b32_e32 v20, 7, v17
	v_bfe_u32 v162, v17, 3, 4
	v_lshlrev_b32_e32 v163, 24, v17
	s_delay_alu instid0(VALU_DEP_3) | instskip(NEXT) | instid1(VALU_DEP_3)
	v_clz_i32_u32_e32 v160, v20
	v_cmp_eq_u32_e32 vcc_lo, 0, v162
	s_delay_alu instid0(VALU_DEP_2) | instskip(NEXT) | instid1(VALU_DEP_1)
	v_min_u32_e32 v160, 32, v160
	v_subrev_nc_u32_e32 v161, 28, v160
	v_sub_nc_u32_e32 v160, 29, v160
	s_delay_alu instid0(VALU_DEP_1) | instskip(NEXT) | instid1(VALU_DEP_1)
	v_dual_cndmask_b32 v160, v162, v160 :: v_dual_lshlrev_b32 v161, v161, v17
	v_and_b32_e32 v161, 7, v161
	s_delay_alu instid0(VALU_DEP_2) | instskip(NEXT) | instid1(VALU_DEP_2)
	v_lshl_add_u32 v160, v160, 23, 0x3b800000
	v_dual_cndmask_b32 v20, v20, v161 :: v_dual_and_b32 v161, 0x80000000, v163
	s_delay_alu instid0(VALU_DEP_1) | instskip(NEXT) | instid1(VALU_DEP_1)
	v_lshlrev_b32_e32 v20, 20, v20
	v_or3_b32 v20, v161, v160, v20
.LBB4_530:                              ;   in Loop: Header=BB4_394 Depth=4
	s_or_b32 exec_lo, exec_lo, s36
	s_delay_alu instid0(VALU_DEP_1) | instskip(NEXT) | instid1(VALU_DEP_1)
	v_dual_max_f32 v20, v20, v20 :: v_dual_max_f32 v151, v151, v151
	v_min_f32_e32 v151, v151, v20
.LBB4_531:                              ;   in Loop: Header=BB4_394 Depth=4
	s_delay_alu instid0(VALU_DEP_1) | instskip(NEXT) | instid1(VALU_DEP_1)
	v_and_b32_e32 v20, 0x7f800000, v151
	v_cmp_ne_u32_e32 vcc_lo, 0x7f800000, v20
	v_mov_b32_e32 v20, 0x80
	s_and_saveexec_b32 s36, vcc_lo
	s_cbranch_execz .LBB4_539
; %bb.532:                              ;   in Loop: Header=BB4_394 Depth=4
	v_mov_b32_e32 v20, 0
	s_mov_b32 s37, exec_lo
	v_cmpx_ne_u32_e32 0, v151
	s_cbranch_execz .LBB4_538
; %bb.533:                              ;   in Loop: Header=BB4_394 Depth=4
	v_bfe_u32 v20, v151, 23, 8
	s_delay_alu instid0(VALU_DEP_1) | instskip(SKIP_1) | instid1(VALU_DEP_2)
	v_sub_nc_u32_e32 v161, 0x78, v20
	v_cmp_gt_u32_e32 vcc_lo, 0x79, v20
	v_dual_cndmask_b32 v161, 0, v161 :: v_dual_and_b32 v160, 0x7fffff, v151
	s_delay_alu instid0(VALU_DEP_1) | instskip(SKIP_2) | instid1(VALU_DEP_4)
	v_or_b32_e32 v162, 0x800000, v160
	v_cmp_eq_u32_e32 vcc_lo, 0, v20
	v_add_nc_u32_e32 v20, 0xffffff89, v20
	v_cndmask_b32_e64 v161, v161, 0x77, vcc_lo
	s_delay_alu instid0(VALU_DEP_4) | instskip(NEXT) | instid1(VALU_DEP_3)
	v_cndmask_b32_e32 v160, v162, v160, vcc_lo
	v_cndmask_b32_e64 v20, v20, 0xffffff8a, vcc_lo
	s_delay_alu instid0(VALU_DEP_3) | instskip(NEXT) | instid1(VALU_DEP_3)
	v_lshl_add_u32 v162, 0x100000, v161, -1
	v_lshrrev_b32_e32 v163, v161, v160
	v_lshlrev_b32_e64 v165, v161, 0x80000
	s_delay_alu instid0(VALU_DEP_4) | instskip(NEXT) | instid1(VALU_DEP_4)
	v_add_nc_u32_e32 v161, v161, v20
	v_and_b32_e32 v160, v162, v160
	s_delay_alu instid0(VALU_DEP_4) | instskip(NEXT) | instid1(VALU_DEP_2)
	v_bfe_u32 v164, v163, 20, 1
	v_cmp_eq_u32_e64 s13, v160, v165
	s_delay_alu instid0(VALU_DEP_2) | instskip(NEXT) | instid1(VALU_DEP_1)
	v_add_nc_u32_e32 v162, -1, v164
	v_cndmask_b32_e64 v160, 0, v162, s13
	v_lshrrev_b32_e32 v162, 23, v163
	s_mov_b32 s13, exec_lo
	s_delay_alu instid0(VALU_DEP_2) | instskip(NEXT) | instid1(VALU_DEP_2)
	v_add_nc_u32_e32 v160, v160, v163
	v_xor_b32_e32 v162, 1, v162
	s_delay_alu instid0(VALU_DEP_2) | instskip(NEXT) | instid1(VALU_DEP_1)
	v_and_b32_e32 v20, 0xfffff, v160
	v_add_nc_u32_e32 v160, v20, v163
                                        ; implicit-def: $vgpr20
	s_delay_alu instid0(VALU_DEP_3)
	v_cmpx_ne_u32_e64 v161, v162
	s_xor_b32 s13, exec_lo, s13
; %bb.534:                              ;   in Loop: Header=BB4_394 Depth=4
	s_delay_alu instid0(VALU_DEP_2) | instskip(SKIP_2) | instid1(VALU_DEP_2)
	v_cmp_lt_u32_e32 vcc_lo, 0xffffff, v160
	v_sub_nc_u32_e32 v20, v161, v162
	v_cndmask_b32_e64 v161, 0, 1, vcc_lo
	v_add_co_ci_u32_e32 v20, vcc_lo, 0, v20, vcc_lo
	s_delay_alu instid0(VALU_DEP_2)
	v_lshrrev_b32_e32 v160, v161, v160
; %bb.535:                              ;   in Loop: Header=BB4_394 Depth=4
	s_and_not1_saveexec_b32 s13, s13
; %bb.536:                              ;   in Loop: Header=BB4_394 Depth=4
	s_delay_alu instid0(VALU_DEP_1)
	v_bfe_u32 v20, v160, 23, 1
; %bb.537:                              ;   in Loop: Header=BB4_394 Depth=4
	s_or_b32 exec_lo, exec_lo, s13
	v_lshrrev_b32_e32 v160, 20, v160
	s_delay_alu instid0(VALU_DEP_2) | instskip(SKIP_2) | instid1(VALU_DEP_2)
	v_cmp_gt_i32_e32 vcc_lo, 16, v20
	v_lshrrev_b32_e32 v151, 24, v151
	v_min_i32_e32 v161, 15, v20
	v_dual_cndmask_b32 v160, 7, v160 :: v_dual_and_b32 v151, 0x80, v151
	s_delay_alu instid0(VALU_DEP_1) | instskip(SKIP_1) | instid1(VALU_DEP_2)
	v_or_b32_e32 v20, v20, v160
	v_and_b32_e32 v162, 7, v160
	v_cmp_ne_u32_e32 vcc_lo, 0, v20
	v_lshlrev_b32_e32 v161, 3, v161
	s_delay_alu instid0(VALU_DEP_1) | instskip(NEXT) | instid1(VALU_DEP_1)
	v_or3_b32 v151, v161, v151, v162
	v_cndmask_b32_e32 v20, 0, v151, vcc_lo
.LBB4_538:                              ;   in Loop: Header=BB4_394 Depth=4
	s_or_b32 exec_lo, exec_lo, s37
.LBB4_539:                              ;   in Loop: Header=BB4_394 Depth=4
	s_delay_alu instid0(SALU_CYCLE_1) | instskip(SKIP_3) | instid1(VALU_DEP_2)
	s_or_b32 exec_lo, exec_lo, s36
	v_lshrrev_b16 v160, 8, v21
	v_lshrrev_b16 v151, 8, v17
	s_and_b32 vcc_lo, exec_lo, s35
	v_cmp_lt_i16_e64 s13, 0x7f, v160
	s_cbranch_vccz .LBB4_549
; %bb.540:                              ;   in Loop: Header=BB4_394 Depth=4
	s_mov_b32 s36, 0
                                        ; implicit-def: $sgpr37
	s_delay_alu instid0(VALU_DEP_1) | instskip(NEXT) | instid1(SALU_CYCLE_1)
	s_and_saveexec_b32 vcc_lo, s13
	s_xor_b32 s13, exec_lo, vcc_lo
	s_cbranch_execnz .LBB4_1400
; %bb.541:                              ;   in Loop: Header=BB4_394 Depth=4
	s_or_saveexec_b32 s13, s13
	v_mov_b32_e32 v161, s37
	s_xor_b32 exec_lo, exec_lo, s13
	s_cbranch_execnz .LBB4_1403
.LBB4_542:                              ;   in Loop: Header=BB4_394 Depth=4
	s_or_b32 exec_lo, exec_lo, s13
	s_and_saveexec_b32 s13, s36
	s_cbranch_execz .LBB4_544
.LBB4_543:                              ;   in Loop: Header=BB4_394 Depth=4
	v_and_b32_e32 v161, 0xffff, v160
	s_delay_alu instid0(VALU_DEP_1) | instskip(NEXT) | instid1(VALU_DEP_1)
	v_and_b32_e32 v162, 7, v161
	v_clz_i32_u32_e32 v163, v162
	s_delay_alu instid0(VALU_DEP_1) | instskip(NEXT) | instid1(VALU_DEP_1)
	v_min_u32_e32 v163, 32, v163
	v_subrev_nc_u32_e32 v164, 28, v163
	v_sub_nc_u32_e32 v163, 29, v163
	s_delay_alu instid0(VALU_DEP_2) | instskip(SKIP_1) | instid1(VALU_DEP_2)
	v_lshlrev_b32_e32 v164, v164, v161
	v_bfe_u32 v161, v161, 3, 4
	v_and_b32_e32 v164, 7, v164
	s_delay_alu instid0(VALU_DEP_2) | instskip(SKIP_1) | instid1(VALU_DEP_3)
	v_cmp_eq_u32_e32 vcc_lo, 0, v161
	v_cndmask_b32_e32 v161, v161, v163, vcc_lo
	v_dual_cndmask_b32 v162, v162, v164 :: v_dual_lshlrev_b32 v165, 16, v21
	s_delay_alu instid0(VALU_DEP_2) | instskip(NEXT) | instid1(VALU_DEP_2)
	v_lshl_add_u32 v161, v161, 23, 0x3b800000
	v_and_b32_e32 v163, 0x80000000, v165
	s_delay_alu instid0(VALU_DEP_3) | instskip(NEXT) | instid1(VALU_DEP_1)
	v_lshlrev_b32_e32 v162, 20, v162
	v_or3_b32 v161, v163, v161, v162
.LBB4_544:                              ;   in Loop: Header=BB4_394 Depth=4
	s_or_b32 exec_lo, exec_lo, s13
	s_mov_b32 s13, 0
	s_mov_b32 s37, exec_lo
                                        ; implicit-def: $sgpr36
	v_cmpx_lt_i16_e64 0x7f, v151
	s_xor_b32 s37, exec_lo, s37
	s_cbranch_execnz .LBB4_1404
; %bb.545:                              ;   in Loop: Header=BB4_394 Depth=4
	s_or_saveexec_b32 s37, s37
	v_mov_b32_e32 v162, s36
	s_xor_b32 exec_lo, exec_lo, s37
	s_cbranch_execnz .LBB4_1407
.LBB4_546:                              ;   in Loop: Header=BB4_394 Depth=4
	s_or_b32 exec_lo, exec_lo, s37
	s_and_saveexec_b32 s36, s13
	s_cbranch_execz .LBB4_548
.LBB4_547:                              ;   in Loop: Header=BB4_394 Depth=4
	v_and_b32_e32 v162, 0xffff, v151
	v_lshlrev_b32_e32 v166, 16, v17
	s_delay_alu instid0(VALU_DEP_2) | instskip(NEXT) | instid1(VALU_DEP_1)
	v_and_b32_e32 v163, 7, v162
	v_clz_i32_u32_e32 v164, v163
	s_delay_alu instid0(VALU_DEP_1) | instskip(NEXT) | instid1(VALU_DEP_1)
	v_min_u32_e32 v164, 32, v164
	v_subrev_nc_u32_e32 v165, 28, v164
	v_sub_nc_u32_e32 v164, 29, v164
	s_delay_alu instid0(VALU_DEP_2) | instskip(SKIP_1) | instid1(VALU_DEP_2)
	v_lshlrev_b32_e32 v165, v165, v162
	v_bfe_u32 v162, v162, 3, 4
	v_and_b32_e32 v165, 7, v165
	s_delay_alu instid0(VALU_DEP_2) | instskip(NEXT) | instid1(VALU_DEP_2)
	v_cmp_eq_u32_e32 vcc_lo, 0, v162
	v_dual_cndmask_b32 v162, v162, v164 :: v_dual_cndmask_b32 v163, v163, v165
	v_and_b32_e32 v164, 0x80000000, v166
	s_delay_alu instid0(VALU_DEP_2) | instskip(NEXT) | instid1(VALU_DEP_3)
	v_lshl_add_u32 v162, v162, 23, 0x3b800000
	v_lshlrev_b32_e32 v163, 20, v163
	s_delay_alu instid0(VALU_DEP_1)
	v_or3_b32 v162, v164, v162, v163
.LBB4_548:                              ;   in Loop: Header=BB4_394 Depth=4
	s_or_b32 exec_lo, exec_lo, s36
	s_delay_alu instid0(VALU_DEP_1) | instskip(SKIP_1) | instid1(VALU_DEP_1)
	v_dual_max_f32 v162, v162, v162 :: v_dual_max_f32 v161, v161, v161
	s_mov_b32 s13, 0
	v_max_f32_e32 v161, v161, v162
	s_branch .LBB4_550
.LBB4_549:                              ;   in Loop: Header=BB4_394 Depth=4
	s_mov_b32 s13, -1
                                        ; implicit-def: $vgpr161
.LBB4_550:                              ;   in Loop: Header=BB4_394 Depth=4
	s_delay_alu instid0(SALU_CYCLE_1)
	s_and_b32 vcc_lo, exec_lo, s13
	s_cbranch_vccz .LBB4_560
; %bb.551:                              ;   in Loop: Header=BB4_394 Depth=4
	s_mov_b32 s13, 0
	s_mov_b32 s37, exec_lo
                                        ; implicit-def: $sgpr36
	v_cmpx_lt_i16_e64 0x7f, v160
	s_xor_b32 s37, exec_lo, s37
	s_cbranch_execnz .LBB4_1408
; %bb.552:                              ;   in Loop: Header=BB4_394 Depth=4
	s_or_saveexec_b32 s37, s37
	v_mov_b32_e32 v161, s36
	s_xor_b32 exec_lo, exec_lo, s37
	s_cbranch_execnz .LBB4_1411
.LBB4_553:                              ;   in Loop: Header=BB4_394 Depth=4
	s_or_b32 exec_lo, exec_lo, s37
	s_and_saveexec_b32 s36, s13
	s_cbranch_execz .LBB4_555
.LBB4_554:                              ;   in Loop: Header=BB4_394 Depth=4
	v_and_b32_e32 v160, 0xffff, v160
	v_lshlrev_b32_e32 v164, 16, v21
	s_delay_alu instid0(VALU_DEP_2) | instskip(NEXT) | instid1(VALU_DEP_1)
	v_and_b32_e32 v161, 7, v160
	v_clz_i32_u32_e32 v162, v161
	s_delay_alu instid0(VALU_DEP_1) | instskip(NEXT) | instid1(VALU_DEP_1)
	v_min_u32_e32 v162, 32, v162
	v_subrev_nc_u32_e32 v163, 28, v162
	v_sub_nc_u32_e32 v162, 29, v162
	s_delay_alu instid0(VALU_DEP_2) | instskip(SKIP_1) | instid1(VALU_DEP_2)
	v_lshlrev_b32_e32 v163, v163, v160
	v_bfe_u32 v160, v160, 3, 4
	v_and_b32_e32 v163, 7, v163
	s_delay_alu instid0(VALU_DEP_2) | instskip(NEXT) | instid1(VALU_DEP_2)
	v_cmp_eq_u32_e32 vcc_lo, 0, v160
	v_dual_cndmask_b32 v160, v160, v162 :: v_dual_cndmask_b32 v161, v161, v163
	v_and_b32_e32 v162, 0x80000000, v164
	s_delay_alu instid0(VALU_DEP_2) | instskip(NEXT) | instid1(VALU_DEP_3)
	v_lshl_add_u32 v160, v160, 23, 0x3b800000
	v_lshlrev_b32_e32 v161, 20, v161
	s_delay_alu instid0(VALU_DEP_1)
	v_or3_b32 v161, v162, v160, v161
.LBB4_555:                              ;   in Loop: Header=BB4_394 Depth=4
	s_or_b32 exec_lo, exec_lo, s36
	s_mov_b32 s13, 0
	s_mov_b32 s37, exec_lo
                                        ; implicit-def: $sgpr36
	v_cmpx_lt_i16_e64 0x7f, v151
	s_xor_b32 s37, exec_lo, s37
	s_cbranch_execnz .LBB4_1412
; %bb.556:                              ;   in Loop: Header=BB4_394 Depth=4
	s_or_saveexec_b32 s37, s37
	v_mov_b32_e32 v160, s36
	s_xor_b32 exec_lo, exec_lo, s37
	s_cbranch_execnz .LBB4_1415
.LBB4_557:                              ;   in Loop: Header=BB4_394 Depth=4
	s_or_b32 exec_lo, exec_lo, s37
	s_and_saveexec_b32 s36, s13
	s_cbranch_execz .LBB4_559
.LBB4_558:                              ;   in Loop: Header=BB4_394 Depth=4
	v_and_b32_e32 v151, 0xffff, v151
	v_lshlrev_b32_e32 v164, 16, v17
	s_delay_alu instid0(VALU_DEP_2) | instskip(NEXT) | instid1(VALU_DEP_1)
	v_and_b32_e32 v160, 7, v151
	v_clz_i32_u32_e32 v162, v160
	s_delay_alu instid0(VALU_DEP_1) | instskip(NEXT) | instid1(VALU_DEP_1)
	v_min_u32_e32 v162, 32, v162
	v_subrev_nc_u32_e32 v163, 28, v162
	v_sub_nc_u32_e32 v162, 29, v162
	s_delay_alu instid0(VALU_DEP_2) | instskip(SKIP_1) | instid1(VALU_DEP_2)
	v_lshlrev_b32_e32 v163, v163, v151
	v_bfe_u32 v151, v151, 3, 4
	v_and_b32_e32 v163, 7, v163
	s_delay_alu instid0(VALU_DEP_2) | instskip(NEXT) | instid1(VALU_DEP_2)
	v_cmp_eq_u32_e32 vcc_lo, 0, v151
	v_dual_cndmask_b32 v151, v151, v162 :: v_dual_cndmask_b32 v160, v160, v163
	v_and_b32_e32 v162, 0x80000000, v164
	s_delay_alu instid0(VALU_DEP_2) | instskip(NEXT) | instid1(VALU_DEP_3)
	v_lshl_add_u32 v151, v151, 23, 0x3b800000
	v_lshlrev_b32_e32 v160, 20, v160
	s_delay_alu instid0(VALU_DEP_1)
	v_or3_b32 v160, v162, v151, v160
.LBB4_559:                              ;   in Loop: Header=BB4_394 Depth=4
	s_or_b32 exec_lo, exec_lo, s36
	s_delay_alu instid0(VALU_DEP_1) | instskip(NEXT) | instid1(VALU_DEP_1)
	v_dual_max_f32 v151, v160, v160 :: v_dual_max_f32 v160, v161, v161
	v_min_f32_e32 v161, v160, v151
.LBB4_560:                              ;   in Loop: Header=BB4_394 Depth=4
	s_delay_alu instid0(VALU_DEP_1) | instskip(NEXT) | instid1(VALU_DEP_1)
	v_and_b32_e32 v151, 0x7f800000, v161
	v_cmp_ne_u32_e32 vcc_lo, 0x7f800000, v151
	v_mov_b32_e32 v151, 0x80
	s_and_saveexec_b32 s36, vcc_lo
	s_cbranch_execz .LBB4_568
; %bb.561:                              ;   in Loop: Header=BB4_394 Depth=4
	v_mov_b32_e32 v151, 0
	s_mov_b32 s37, exec_lo
	v_cmpx_ne_u32_e32 0, v161
	s_cbranch_execz .LBB4_567
; %bb.562:                              ;   in Loop: Header=BB4_394 Depth=4
	v_bfe_u32 v151, v161, 23, 8
	v_and_b32_e32 v160, 0x7fffff, v161
	s_delay_alu instid0(VALU_DEP_2) | instskip(SKIP_1) | instid1(VALU_DEP_3)
	v_sub_nc_u32_e32 v162, 0x78, v151
	v_cmp_gt_u32_e32 vcc_lo, 0x79, v151
	v_or_b32_e32 v163, 0x800000, v160
	s_delay_alu instid0(VALU_DEP_3) | instskip(SKIP_2) | instid1(VALU_DEP_3)
	v_cndmask_b32_e32 v162, 0, v162, vcc_lo
	v_cmp_eq_u32_e32 vcc_lo, 0, v151
	v_add_nc_u32_e32 v151, 0xffffff89, v151
	v_cndmask_b32_e64 v162, v162, 0x77, vcc_lo
	v_cndmask_b32_e32 v160, v163, v160, vcc_lo
	s_delay_alu instid0(VALU_DEP_3) | instskip(NEXT) | instid1(VALU_DEP_3)
	v_cndmask_b32_e64 v151, v151, 0xffffff8a, vcc_lo
	v_lshl_add_u32 v163, 0x100000, v162, -1
	s_delay_alu instid0(VALU_DEP_3) | instskip(SKIP_1) | instid1(VALU_DEP_4)
	v_lshrrev_b32_e32 v164, v162, v160
	v_lshlrev_b32_e64 v166, v162, 0x80000
	v_add_nc_u32_e32 v162, v162, v151
	s_delay_alu instid0(VALU_DEP_4) | instskip(NEXT) | instid1(VALU_DEP_4)
	v_and_b32_e32 v160, v163, v160
	v_bfe_u32 v165, v164, 20, 1
	s_delay_alu instid0(VALU_DEP_2) | instskip(NEXT) | instid1(VALU_DEP_2)
	v_cmp_eq_u32_e64 s13, v160, v166
	v_add_nc_u32_e32 v163, -1, v165
	s_delay_alu instid0(VALU_DEP_1) | instskip(SKIP_2) | instid1(VALU_DEP_2)
	v_cndmask_b32_e64 v160, 0, v163, s13
	v_lshrrev_b32_e32 v163, 23, v164
	s_mov_b32 s13, exec_lo
	v_add_nc_u32_e32 v160, v160, v164
	s_delay_alu instid0(VALU_DEP_2) | instskip(NEXT) | instid1(VALU_DEP_2)
	v_xor_b32_e32 v163, 1, v163
	v_and_b32_e32 v151, 0xfffff, v160
	s_delay_alu instid0(VALU_DEP_1) | instskip(NEXT) | instid1(VALU_DEP_3)
	v_add_nc_u32_e32 v160, v151, v164
                                        ; implicit-def: $vgpr151
	v_cmpx_ne_u32_e64 v162, v163
	s_xor_b32 s13, exec_lo, s13
; %bb.563:                              ;   in Loop: Header=BB4_394 Depth=4
	s_delay_alu instid0(VALU_DEP_2) | instskip(SKIP_2) | instid1(VALU_DEP_2)
	v_cmp_lt_u32_e32 vcc_lo, 0xffffff, v160
	v_sub_nc_u32_e32 v151, v162, v163
	v_cndmask_b32_e64 v162, 0, 1, vcc_lo
	v_add_co_ci_u32_e32 v151, vcc_lo, 0, v151, vcc_lo
	s_delay_alu instid0(VALU_DEP_2)
	v_lshrrev_b32_e32 v160, v162, v160
; %bb.564:                              ;   in Loop: Header=BB4_394 Depth=4
	s_and_not1_saveexec_b32 s13, s13
; %bb.565:                              ;   in Loop: Header=BB4_394 Depth=4
	s_delay_alu instid0(VALU_DEP_1)
	v_bfe_u32 v151, v160, 23, 1
; %bb.566:                              ;   in Loop: Header=BB4_394 Depth=4
	s_or_b32 exec_lo, exec_lo, s13
	v_lshrrev_b32_e32 v160, 20, v160
	s_delay_alu instid0(VALU_DEP_2) | instskip(SKIP_2) | instid1(VALU_DEP_2)
	v_cmp_gt_i32_e32 vcc_lo, 16, v151
	v_lshrrev_b32_e32 v161, 24, v161
	v_min_i32_e32 v162, 15, v151
	v_dual_cndmask_b32 v160, 7, v160 :: v_dual_and_b32 v161, 0x80, v161
	s_delay_alu instid0(VALU_DEP_1) | instskip(SKIP_1) | instid1(VALU_DEP_2)
	v_or_b32_e32 v151, v151, v160
	v_and_b32_e32 v163, 7, v160
	v_cmp_ne_u32_e32 vcc_lo, 0, v151
	v_lshlrev_b32_e32 v162, 3, v162
	s_delay_alu instid0(VALU_DEP_1) | instskip(NEXT) | instid1(VALU_DEP_1)
	v_or3_b32 v160, v162, v161, v163
	v_cndmask_b32_e32 v151, 0, v160, vcc_lo
.LBB4_567:                              ;   in Loop: Header=BB4_394 Depth=4
	s_or_b32 exec_lo, exec_lo, s37
.LBB4_568:                              ;   in Loop: Header=BB4_394 Depth=4
	s_delay_alu instid0(SALU_CYCLE_1) | instskip(SKIP_3) | instid1(VALU_DEP_2)
	s_or_b32 exec_lo, exec_lo, s36
	v_lshrrev_b32_e32 v161, 16, v21
	v_lshrrev_b32_e32 v160, 16, v17
	s_and_b32 vcc_lo, exec_lo, s35
	v_and_b32_e32 v162, 0xff, v161
	s_delay_alu instid0(VALU_DEP_1)
	v_cmp_lt_i16_e64 s13, 0x7f, v162
	s_cbranch_vccz .LBB4_578
; %bb.569:                              ;   in Loop: Header=BB4_394 Depth=4
	s_mov_b32 s36, 0
                                        ; implicit-def: $sgpr37
	s_delay_alu instid0(VALU_DEP_1) | instskip(NEXT) | instid1(SALU_CYCLE_1)
	s_and_saveexec_b32 vcc_lo, s13
	s_xor_b32 s13, exec_lo, vcc_lo
	s_cbranch_execnz .LBB4_1416
; %bb.570:                              ;   in Loop: Header=BB4_394 Depth=4
	s_or_saveexec_b32 s13, s13
	v_mov_b32_e32 v163, s37
	s_xor_b32 exec_lo, exec_lo, s13
	s_cbranch_execnz .LBB4_1419
.LBB4_571:                              ;   in Loop: Header=BB4_394 Depth=4
	s_or_b32 exec_lo, exec_lo, s13
	s_and_saveexec_b32 s13, s36
	s_cbranch_execz .LBB4_573
.LBB4_572:                              ;   in Loop: Header=BB4_394 Depth=4
	v_bfe_u32 v163, v21, 16, 3
	v_bfe_u32 v166, v21, 19, 4
	v_lshlrev_b32_e32 v167, 24, v161
	s_delay_alu instid0(VALU_DEP_3) | instskip(NEXT) | instid1(VALU_DEP_3)
	v_clz_i32_u32_e32 v164, v163
	v_cmp_eq_u32_e32 vcc_lo, 0, v166
	s_delay_alu instid0(VALU_DEP_2) | instskip(NEXT) | instid1(VALU_DEP_1)
	v_min_u32_e32 v164, 32, v164
	v_subrev_nc_u32_e32 v165, 28, v164
	v_sub_nc_u32_e32 v164, 29, v164
	s_delay_alu instid0(VALU_DEP_1) | instskip(NEXT) | instid1(VALU_DEP_1)
	v_dual_cndmask_b32 v164, v166, v164 :: v_dual_lshlrev_b32 v165, v165, v161
	v_and_b32_e32 v165, 7, v165
	s_delay_alu instid0(VALU_DEP_2) | instskip(NEXT) | instid1(VALU_DEP_2)
	v_lshl_add_u32 v164, v164, 23, 0x3b800000
	v_cndmask_b32_e32 v163, v163, v165, vcc_lo
	v_and_b32_e32 v165, 0x80000000, v167
	s_delay_alu instid0(VALU_DEP_2) | instskip(NEXT) | instid1(VALU_DEP_1)
	v_lshlrev_b32_e32 v163, 20, v163
	v_or3_b32 v163, v165, v164, v163
.LBB4_573:                              ;   in Loop: Header=BB4_394 Depth=4
	s_or_b32 exec_lo, exec_lo, s13
	v_and_b32_e32 v165, 0xff, v160
	s_mov_b32 s13, 0
	s_mov_b32 s37, exec_lo
                                        ; implicit-def: $sgpr36
	s_delay_alu instid0(VALU_DEP_1)
	v_cmpx_lt_i16_e64 0x7f, v165
	s_xor_b32 s37, exec_lo, s37
	s_cbranch_execnz .LBB4_1420
; %bb.574:                              ;   in Loop: Header=BB4_394 Depth=4
	s_or_saveexec_b32 s37, s37
	v_mov_b32_e32 v164, s36
	s_xor_b32 exec_lo, exec_lo, s37
	s_cbranch_execnz .LBB4_1423
.LBB4_575:                              ;   in Loop: Header=BB4_394 Depth=4
	s_or_b32 exec_lo, exec_lo, s37
	s_and_saveexec_b32 s36, s13
	s_cbranch_execz .LBB4_577
.LBB4_576:                              ;   in Loop: Header=BB4_394 Depth=4
	v_bfe_u32 v164, v17, 16, 3
	v_bfe_u32 v167, v17, 19, 4
	v_lshlrev_b32_e32 v176, 24, v160
	s_delay_alu instid0(VALU_DEP_3) | instskip(NEXT) | instid1(VALU_DEP_3)
	v_clz_i32_u32_e32 v165, v164
	v_cmp_eq_u32_e32 vcc_lo, 0, v167
	s_delay_alu instid0(VALU_DEP_2) | instskip(NEXT) | instid1(VALU_DEP_1)
	v_min_u32_e32 v165, 32, v165
	v_subrev_nc_u32_e32 v166, 28, v165
	v_sub_nc_u32_e32 v165, 29, v165
	s_delay_alu instid0(VALU_DEP_1) | instskip(NEXT) | instid1(VALU_DEP_1)
	v_dual_cndmask_b32 v165, v167, v165 :: v_dual_lshlrev_b32 v166, v166, v160
	v_and_b32_e32 v166, 7, v166
	s_delay_alu instid0(VALU_DEP_2) | instskip(NEXT) | instid1(VALU_DEP_2)
	v_lshl_add_u32 v165, v165, 23, 0x3b800000
	v_cndmask_b32_e32 v164, v164, v166, vcc_lo
	v_and_b32_e32 v166, 0x80000000, v176
	s_delay_alu instid0(VALU_DEP_2) | instskip(NEXT) | instid1(VALU_DEP_1)
	v_lshlrev_b32_e32 v164, 20, v164
	v_or3_b32 v164, v166, v165, v164
.LBB4_577:                              ;   in Loop: Header=BB4_394 Depth=4
	s_or_b32 exec_lo, exec_lo, s36
	s_delay_alu instid0(VALU_DEP_1) | instskip(SKIP_1) | instid1(VALU_DEP_1)
	v_dual_max_f32 v164, v164, v164 :: v_dual_max_f32 v163, v163, v163
	s_mov_b32 s13, 0
	v_max_f32_e32 v163, v163, v164
	s_branch .LBB4_579
.LBB4_578:                              ;   in Loop: Header=BB4_394 Depth=4
	s_mov_b32 s13, -1
                                        ; implicit-def: $vgpr163
.LBB4_579:                              ;   in Loop: Header=BB4_394 Depth=4
	s_delay_alu instid0(SALU_CYCLE_1)
	s_and_b32 vcc_lo, exec_lo, s13
	s_cbranch_vccz .LBB4_589
; %bb.580:                              ;   in Loop: Header=BB4_394 Depth=4
	s_mov_b32 s13, 0
	s_mov_b32 s37, exec_lo
                                        ; implicit-def: $sgpr36
	v_cmpx_lt_i16_e64 0x7f, v162
	s_xor_b32 s37, exec_lo, s37
	s_cbranch_execnz .LBB4_1424
; %bb.581:                              ;   in Loop: Header=BB4_394 Depth=4
	s_or_saveexec_b32 s37, s37
	v_mov_b32_e32 v163, s36
	s_xor_b32 exec_lo, exec_lo, s37
	s_cbranch_execnz .LBB4_1427
.LBB4_582:                              ;   in Loop: Header=BB4_394 Depth=4
	s_or_b32 exec_lo, exec_lo, s37
	s_and_saveexec_b32 s36, s13
	s_cbranch_execz .LBB4_584
.LBB4_583:                              ;   in Loop: Header=BB4_394 Depth=4
	v_bfe_u32 v162, v21, 16, 3
	v_bfe_u32 v165, v21, 19, 4
	s_delay_alu instid0(VALU_DEP_2) | instskip(NEXT) | instid1(VALU_DEP_2)
	v_clz_i32_u32_e32 v163, v162
	v_cmp_eq_u32_e32 vcc_lo, 0, v165
	s_delay_alu instid0(VALU_DEP_2) | instskip(NEXT) | instid1(VALU_DEP_1)
	v_min_u32_e32 v163, 32, v163
	v_subrev_nc_u32_e32 v164, 28, v163
	v_sub_nc_u32_e32 v163, 29, v163
	s_delay_alu instid0(VALU_DEP_1) | instskip(NEXT) | instid1(VALU_DEP_1)
	v_dual_cndmask_b32 v163, v165, v163 :: v_dual_lshlrev_b32 v164, v164, v161
	v_and_b32_e32 v164, 7, v164
	v_lshlrev_b32_e32 v161, 24, v161
	s_delay_alu instid0(VALU_DEP_3) | instskip(NEXT) | instid1(VALU_DEP_2)
	v_lshl_add_u32 v163, v163, 23, 0x3b800000
	v_dual_cndmask_b32 v162, v162, v164 :: v_dual_and_b32 v161, 0x80000000, v161
	s_delay_alu instid0(VALU_DEP_1) | instskip(NEXT) | instid1(VALU_DEP_1)
	v_lshlrev_b32_e32 v162, 20, v162
	v_or3_b32 v163, v161, v163, v162
.LBB4_584:                              ;   in Loop: Header=BB4_394 Depth=4
	s_or_b32 exec_lo, exec_lo, s36
	v_and_b32_e32 v162, 0xff, v160
	s_mov_b32 s13, 0
	s_mov_b32 s37, exec_lo
                                        ; implicit-def: $sgpr36
	s_delay_alu instid0(VALU_DEP_1)
	v_cmpx_lt_i16_e64 0x7f, v162
	s_xor_b32 s37, exec_lo, s37
	s_cbranch_execnz .LBB4_1428
; %bb.585:                              ;   in Loop: Header=BB4_394 Depth=4
	s_or_saveexec_b32 s37, s37
	v_mov_b32_e32 v161, s36
	s_xor_b32 exec_lo, exec_lo, s37
	s_cbranch_execnz .LBB4_1431
.LBB4_586:                              ;   in Loop: Header=BB4_394 Depth=4
	s_or_b32 exec_lo, exec_lo, s37
	s_and_saveexec_b32 s36, s13
	s_cbranch_execz .LBB4_588
.LBB4_587:                              ;   in Loop: Header=BB4_394 Depth=4
	v_bfe_u32 v161, v17, 16, 3
	v_bfe_u32 v165, v17, 19, 4
	s_delay_alu instid0(VALU_DEP_2) | instskip(NEXT) | instid1(VALU_DEP_2)
	v_clz_i32_u32_e32 v162, v161
	v_cmp_eq_u32_e32 vcc_lo, 0, v165
	s_delay_alu instid0(VALU_DEP_2) | instskip(NEXT) | instid1(VALU_DEP_1)
	v_min_u32_e32 v162, 32, v162
	v_subrev_nc_u32_e32 v164, 28, v162
	v_sub_nc_u32_e32 v162, 29, v162
	s_delay_alu instid0(VALU_DEP_2) | instskip(SKIP_1) | instid1(VALU_DEP_2)
	v_lshlrev_b32_e32 v164, v164, v160
	v_lshlrev_b32_e32 v160, 24, v160
	v_and_b32_e32 v164, 7, v164
	s_delay_alu instid0(VALU_DEP_2) | instskip(NEXT) | instid1(VALU_DEP_2)
	v_and_b32_e32 v160, 0x80000000, v160
	v_cndmask_b32_e32 v161, v161, v164, vcc_lo
	s_delay_alu instid0(VALU_DEP_1) | instskip(NEXT) | instid1(VALU_DEP_1)
	v_dual_cndmask_b32 v162, v165, v162 :: v_dual_lshlrev_b32 v161, 20, v161
	v_lshl_add_u32 v162, v162, 23, 0x3b800000
	s_delay_alu instid0(VALU_DEP_1)
	v_or3_b32 v161, v160, v162, v161
.LBB4_588:                              ;   in Loop: Header=BB4_394 Depth=4
	s_or_b32 exec_lo, exec_lo, s36
	s_delay_alu instid0(VALU_DEP_1) | instskip(NEXT) | instid1(VALU_DEP_1)
	v_dual_max_f32 v160, v161, v161 :: v_dual_max_f32 v161, v163, v163
	v_min_f32_e32 v163, v161, v160
.LBB4_589:                              ;   in Loop: Header=BB4_394 Depth=4
	s_delay_alu instid0(VALU_DEP_1) | instskip(NEXT) | instid1(VALU_DEP_1)
	v_and_b32_e32 v160, 0x7f800000, v163
	v_cmp_ne_u32_e32 vcc_lo, 0x7f800000, v160
	v_mov_b32_e32 v160, 0x80
	s_and_saveexec_b32 s36, vcc_lo
	s_cbranch_execz .LBB4_597
; %bb.590:                              ;   in Loop: Header=BB4_394 Depth=4
	v_mov_b32_e32 v160, 0
	s_mov_b32 s37, exec_lo
	v_cmpx_ne_u32_e32 0, v163
	s_cbranch_execz .LBB4_596
; %bb.591:                              ;   in Loop: Header=BB4_394 Depth=4
	v_bfe_u32 v160, v163, 23, 8
	s_delay_alu instid0(VALU_DEP_1) | instskip(SKIP_1) | instid1(VALU_DEP_2)
	v_sub_nc_u32_e32 v162, 0x78, v160
	v_cmp_gt_u32_e32 vcc_lo, 0x79, v160
	v_dual_cndmask_b32 v162, 0, v162 :: v_dual_and_b32 v161, 0x7fffff, v163
	s_delay_alu instid0(VALU_DEP_1) | instskip(SKIP_2) | instid1(VALU_DEP_4)
	v_or_b32_e32 v164, 0x800000, v161
	v_cmp_eq_u32_e32 vcc_lo, 0, v160
	v_add_nc_u32_e32 v160, 0xffffff89, v160
	v_cndmask_b32_e64 v162, v162, 0x77, vcc_lo
	s_delay_alu instid0(VALU_DEP_4) | instskip(NEXT) | instid1(VALU_DEP_3)
	v_cndmask_b32_e32 v161, v164, v161, vcc_lo
	v_cndmask_b32_e64 v160, v160, 0xffffff8a, vcc_lo
	s_delay_alu instid0(VALU_DEP_3) | instskip(NEXT) | instid1(VALU_DEP_3)
	v_lshl_add_u32 v164, 0x100000, v162, -1
	v_lshrrev_b32_e32 v165, v162, v161
	v_lshlrev_b32_e64 v167, v162, 0x80000
	s_delay_alu instid0(VALU_DEP_4) | instskip(NEXT) | instid1(VALU_DEP_4)
	v_add_nc_u32_e32 v162, v162, v160
	v_and_b32_e32 v161, v164, v161
	s_delay_alu instid0(VALU_DEP_4) | instskip(NEXT) | instid1(VALU_DEP_2)
	v_bfe_u32 v166, v165, 20, 1
	v_cmp_eq_u32_e64 s13, v161, v167
	s_delay_alu instid0(VALU_DEP_2) | instskip(NEXT) | instid1(VALU_DEP_1)
	v_add_nc_u32_e32 v164, -1, v166
	v_cndmask_b32_e64 v161, 0, v164, s13
	v_lshrrev_b32_e32 v164, 23, v165
	s_mov_b32 s13, exec_lo
	s_delay_alu instid0(VALU_DEP_2) | instskip(NEXT) | instid1(VALU_DEP_2)
	v_add_nc_u32_e32 v161, v161, v165
	v_xor_b32_e32 v164, 1, v164
	s_delay_alu instid0(VALU_DEP_2) | instskip(NEXT) | instid1(VALU_DEP_1)
	v_and_b32_e32 v160, 0xfffff, v161
	v_add_nc_u32_e32 v161, v160, v165
                                        ; implicit-def: $vgpr160
	s_delay_alu instid0(VALU_DEP_3)
	v_cmpx_ne_u32_e64 v162, v164
	s_xor_b32 s13, exec_lo, s13
; %bb.592:                              ;   in Loop: Header=BB4_394 Depth=4
	s_delay_alu instid0(VALU_DEP_2) | instskip(SKIP_2) | instid1(VALU_DEP_2)
	v_cmp_lt_u32_e32 vcc_lo, 0xffffff, v161
	v_sub_nc_u32_e32 v160, v162, v164
	v_cndmask_b32_e64 v162, 0, 1, vcc_lo
	v_add_co_ci_u32_e32 v160, vcc_lo, 0, v160, vcc_lo
	s_delay_alu instid0(VALU_DEP_2)
	v_lshrrev_b32_e32 v161, v162, v161
; %bb.593:                              ;   in Loop: Header=BB4_394 Depth=4
	s_and_not1_saveexec_b32 s13, s13
; %bb.594:                              ;   in Loop: Header=BB4_394 Depth=4
	s_delay_alu instid0(VALU_DEP_1)
	v_bfe_u32 v160, v161, 23, 1
; %bb.595:                              ;   in Loop: Header=BB4_394 Depth=4
	s_or_b32 exec_lo, exec_lo, s13
	v_lshrrev_b32_e32 v161, 20, v161
	s_delay_alu instid0(VALU_DEP_2) | instskip(SKIP_2) | instid1(VALU_DEP_2)
	v_cmp_gt_i32_e32 vcc_lo, 16, v160
	v_min_i32_e32 v162, 15, v160
	v_lshrrev_b32_e32 v163, 24, v163
	v_dual_cndmask_b32 v161, 7, v161 :: v_dual_lshlrev_b32 v162, 3, v162
	s_delay_alu instid0(VALU_DEP_1) | instskip(SKIP_1) | instid1(VALU_DEP_3)
	v_or_b32_e32 v160, v160, v161
	v_and_b32_e32 v164, 7, v161
	v_and_b32_e32 v162, 0xf8, v162
	s_delay_alu instid0(VALU_DEP_3) | instskip(SKIP_1) | instid1(VALU_DEP_1)
	v_cmp_ne_u32_e32 vcc_lo, 0, v160
	v_and_b32_e32 v163, 0x80, v163
	v_or3_b32 v161, v162, v163, v164
	s_delay_alu instid0(VALU_DEP_1)
	v_cndmask_b32_e32 v160, 0, v161, vcc_lo
.LBB4_596:                              ;   in Loop: Header=BB4_394 Depth=4
	s_or_b32 exec_lo, exec_lo, s37
.LBB4_597:                              ;   in Loop: Header=BB4_394 Depth=4
	s_delay_alu instid0(SALU_CYCLE_1) | instskip(SKIP_3) | instid1(VALU_DEP_2)
	s_or_b32 exec_lo, exec_lo, s36
	v_lshrrev_b32_e32 v162, 24, v21
	v_lshrrev_b32_e32 v161, 24, v17
	s_and_b32 vcc_lo, exec_lo, s35
	v_cmp_lt_i16_e64 s13, 0x7f, v162
	s_cbranch_vccz .LBB4_607
; %bb.598:                              ;   in Loop: Header=BB4_394 Depth=4
	s_mov_b32 s36, 0
                                        ; implicit-def: $sgpr37
	s_delay_alu instid0(VALU_DEP_1) | instskip(NEXT) | instid1(SALU_CYCLE_1)
	s_and_saveexec_b32 vcc_lo, s13
	s_xor_b32 s13, exec_lo, vcc_lo
	s_cbranch_execnz .LBB4_1432
; %bb.599:                              ;   in Loop: Header=BB4_394 Depth=4
	s_or_saveexec_b32 s13, s13
	v_mov_b32_e32 v163, s37
	s_xor_b32 exec_lo, exec_lo, s13
	s_cbranch_execnz .LBB4_1435
.LBB4_600:                              ;   in Loop: Header=BB4_394 Depth=4
	s_or_b32 exec_lo, exec_lo, s13
	s_and_saveexec_b32 s13, s36
	s_cbranch_execz .LBB4_602
.LBB4_601:                              ;   in Loop: Header=BB4_394 Depth=4
	v_bfe_u32 v163, v21, 24, 3
	v_bfe_u32 v166, v21, 27, 4
	s_delay_alu instid0(VALU_DEP_2) | instskip(NEXT) | instid1(VALU_DEP_2)
	v_clz_i32_u32_e32 v164, v163
	v_cmp_eq_u32_e32 vcc_lo, 0, v166
	s_delay_alu instid0(VALU_DEP_2) | instskip(NEXT) | instid1(VALU_DEP_1)
	v_min_u32_e32 v164, 32, v164
	v_subrev_nc_u32_e32 v165, 28, v164
	v_sub_nc_u32_e32 v164, 29, v164
	s_delay_alu instid0(VALU_DEP_1) | instskip(NEXT) | instid1(VALU_DEP_1)
	v_dual_cndmask_b32 v164, v166, v164 :: v_dual_lshlrev_b32 v165, v165, v162
	v_and_b32_e32 v165, 7, v165
	s_delay_alu instid0(VALU_DEP_2) | instskip(NEXT) | instid1(VALU_DEP_2)
	v_lshl_add_u32 v164, v164, 23, 0x3b800000
	v_cndmask_b32_e32 v163, v163, v165, vcc_lo
	v_and_b32_e32 v165, 0x80000000, v21
	s_delay_alu instid0(VALU_DEP_2) | instskip(NEXT) | instid1(VALU_DEP_1)
	v_lshlrev_b32_e32 v163, 20, v163
	v_or3_b32 v163, v165, v164, v163
.LBB4_602:                              ;   in Loop: Header=BB4_394 Depth=4
	s_or_b32 exec_lo, exec_lo, s13
	s_mov_b32 s13, 0
	s_mov_b32 s37, exec_lo
                                        ; implicit-def: $sgpr36
	v_cmpx_lt_i16_e64 0x7f, v161
	s_xor_b32 s37, exec_lo, s37
	s_cbranch_execnz .LBB4_1436
; %bb.603:                              ;   in Loop: Header=BB4_394 Depth=4
	s_or_saveexec_b32 s37, s37
	v_mov_b32_e32 v164, s36
	s_xor_b32 exec_lo, exec_lo, s37
	s_cbranch_execnz .LBB4_1439
.LBB4_604:                              ;   in Loop: Header=BB4_394 Depth=4
	s_or_b32 exec_lo, exec_lo, s37
	s_and_saveexec_b32 s36, s13
	s_cbranch_execz .LBB4_606
.LBB4_605:                              ;   in Loop: Header=BB4_394 Depth=4
	v_bfe_u32 v164, v17, 24, 3
	v_bfe_u32 v167, v17, 27, 4
	s_delay_alu instid0(VALU_DEP_2) | instskip(NEXT) | instid1(VALU_DEP_2)
	v_clz_i32_u32_e32 v165, v164
	v_cmp_eq_u32_e32 vcc_lo, 0, v167
	s_delay_alu instid0(VALU_DEP_2) | instskip(NEXT) | instid1(VALU_DEP_1)
	v_min_u32_e32 v165, 32, v165
	v_subrev_nc_u32_e32 v166, 28, v165
	v_sub_nc_u32_e32 v165, 29, v165
	s_delay_alu instid0(VALU_DEP_2) | instskip(NEXT) | instid1(VALU_DEP_1)
	v_lshlrev_b32_e32 v166, v166, v161
	v_dual_cndmask_b32 v165, v167, v165 :: v_dual_and_b32 v166, 7, v166
	s_delay_alu instid0(VALU_DEP_1) | instskip(NEXT) | instid1(VALU_DEP_2)
	v_lshl_add_u32 v165, v165, 23, 0x3b800000
	v_cndmask_b32_e32 v164, v164, v166, vcc_lo
	v_and_b32_e32 v166, 0x80000000, v17
	s_delay_alu instid0(VALU_DEP_2) | instskip(NEXT) | instid1(VALU_DEP_1)
	v_lshlrev_b32_e32 v164, 20, v164
	v_or3_b32 v164, v166, v165, v164
.LBB4_606:                              ;   in Loop: Header=BB4_394 Depth=4
	s_or_b32 exec_lo, exec_lo, s36
	s_delay_alu instid0(VALU_DEP_1) | instskip(SKIP_1) | instid1(VALU_DEP_1)
	v_dual_max_f32 v164, v164, v164 :: v_dual_max_f32 v163, v163, v163
	s_mov_b32 s13, 0
	v_max_f32_e32 v163, v163, v164
	s_branch .LBB4_608
.LBB4_607:                              ;   in Loop: Header=BB4_394 Depth=4
	s_mov_b32 s13, -1
                                        ; implicit-def: $vgpr163
.LBB4_608:                              ;   in Loop: Header=BB4_394 Depth=4
	s_delay_alu instid0(SALU_CYCLE_1)
	s_and_b32 vcc_lo, exec_lo, s13
	s_cbranch_vccz .LBB4_618
; %bb.609:                              ;   in Loop: Header=BB4_394 Depth=4
	s_mov_b32 s13, 0
	s_mov_b32 s37, exec_lo
                                        ; implicit-def: $sgpr36
	v_cmpx_lt_i16_e64 0x7f, v162
	s_xor_b32 s37, exec_lo, s37
	s_cbranch_execnz .LBB4_1440
; %bb.610:                              ;   in Loop: Header=BB4_394 Depth=4
	s_or_saveexec_b32 s37, s37
	v_mov_b32_e32 v163, s36
	s_xor_b32 exec_lo, exec_lo, s37
	s_cbranch_execnz .LBB4_1443
.LBB4_611:                              ;   in Loop: Header=BB4_394 Depth=4
	s_or_b32 exec_lo, exec_lo, s37
	s_and_saveexec_b32 s36, s13
	s_cbranch_execz .LBB4_613
.LBB4_612:                              ;   in Loop: Header=BB4_394 Depth=4
	v_bfe_u32 v163, v21, 24, 3
	s_delay_alu instid0(VALU_DEP_1) | instskip(NEXT) | instid1(VALU_DEP_1)
	v_clz_i32_u32_e32 v164, v163
	v_min_u32_e32 v164, 32, v164
	s_delay_alu instid0(VALU_DEP_1) | instskip(SKIP_1) | instid1(VALU_DEP_2)
	v_subrev_nc_u32_e32 v165, 28, v164
	v_sub_nc_u32_e32 v164, 29, v164
	v_lshlrev_b32_e32 v162, v165, v162
	v_bfe_u32 v165, v21, 27, 4
	v_and_b32_e32 v21, 0x80000000, v21
	s_delay_alu instid0(VALU_DEP_3) | instskip(NEXT) | instid1(VALU_DEP_3)
	v_and_b32_e32 v162, 7, v162
	v_cmp_eq_u32_e32 vcc_lo, 0, v165
	v_cndmask_b32_e32 v164, v165, v164, vcc_lo
	s_delay_alu instid0(VALU_DEP_3) | instskip(NEXT) | instid1(VALU_DEP_2)
	v_cndmask_b32_e32 v162, v163, v162, vcc_lo
	v_lshl_add_u32 v163, v164, 23, 0x3b800000
	s_delay_alu instid0(VALU_DEP_2) | instskip(NEXT) | instid1(VALU_DEP_1)
	v_lshlrev_b32_e32 v162, 20, v162
	v_or3_b32 v163, v21, v163, v162
.LBB4_613:                              ;   in Loop: Header=BB4_394 Depth=4
	s_or_b32 exec_lo, exec_lo, s36
	s_mov_b32 s13, 0
	s_mov_b32 s37, exec_lo
                                        ; implicit-def: $sgpr36
	v_cmpx_lt_i16_e64 0x7f, v161
	s_xor_b32 s37, exec_lo, s37
	s_cbranch_execnz .LBB4_1444
; %bb.614:                              ;   in Loop: Header=BB4_394 Depth=4
	s_or_saveexec_b32 s37, s37
	v_mov_b32_e32 v21, s36
	s_xor_b32 exec_lo, exec_lo, s37
	s_cbranch_execnz .LBB4_1447
.LBB4_615:                              ;   in Loop: Header=BB4_394 Depth=4
	s_or_b32 exec_lo, exec_lo, s37
	s_and_saveexec_b32 s36, s13
	s_cbranch_execz .LBB4_617
.LBB4_616:                              ;   in Loop: Header=BB4_394 Depth=4
	v_bfe_u32 v21, v17, 24, 3
	s_delay_alu instid0(VALU_DEP_1) | instskip(NEXT) | instid1(VALU_DEP_1)
	v_clz_i32_u32_e32 v162, v21
	v_min_u32_e32 v162, 32, v162
	s_delay_alu instid0(VALU_DEP_1) | instskip(SKIP_1) | instid1(VALU_DEP_2)
	v_subrev_nc_u32_e32 v164, 28, v162
	v_sub_nc_u32_e32 v162, 29, v162
	v_lshlrev_b32_e32 v161, v164, v161
	v_bfe_u32 v164, v17, 27, 4
	v_and_b32_e32 v17, 0x80000000, v17
	s_delay_alu instid0(VALU_DEP_2) | instskip(NEXT) | instid1(VALU_DEP_4)
	v_cmp_eq_u32_e32 vcc_lo, 0, v164
	v_dual_cndmask_b32 v162, v164, v162 :: v_dual_and_b32 v161, 7, v161
	s_delay_alu instid0(VALU_DEP_1) | instskip(NEXT) | instid1(VALU_DEP_2)
	v_cndmask_b32_e32 v21, v21, v161, vcc_lo
	v_lshl_add_u32 v161, v162, 23, 0x3b800000
	s_delay_alu instid0(VALU_DEP_2) | instskip(NEXT) | instid1(VALU_DEP_1)
	v_lshlrev_b32_e32 v21, 20, v21
	v_or3_b32 v21, v17, v161, v21
.LBB4_617:                              ;   in Loop: Header=BB4_394 Depth=4
	s_or_b32 exec_lo, exec_lo, s36
	s_delay_alu instid0(VALU_DEP_1) | instskip(SKIP_1) | instid1(VALU_DEP_1)
	v_max_f32_e32 v17, v21, v21
	v_max_f32_e32 v21, v163, v163
	v_min_f32_e32 v163, v21, v17
.LBB4_618:                              ;   in Loop: Header=BB4_394 Depth=4
	s_delay_alu instid0(VALU_DEP_1) | instskip(NEXT) | instid1(VALU_DEP_1)
	v_and_b32_e32 v17, 0x7f800000, v163
	v_cmp_ne_u32_e32 vcc_lo, 0x7f800000, v17
	v_mov_b32_e32 v17, 0x8000
	s_and_saveexec_b32 s36, vcc_lo
	s_cbranch_execz .LBB4_626
; %bb.619:                              ;   in Loop: Header=BB4_394 Depth=4
	v_mov_b32_e32 v17, 0
	s_mov_b32 s37, exec_lo
	v_cmpx_ne_u32_e32 0, v163
	s_cbranch_execz .LBB4_625
; %bb.620:                              ;   in Loop: Header=BB4_394 Depth=4
	v_bfe_u32 v17, v163, 23, 8
	v_and_b32_e32 v21, 0x7fffff, v163
	s_delay_alu instid0(VALU_DEP_2) | instskip(SKIP_1) | instid1(VALU_DEP_3)
	v_sub_nc_u32_e32 v161, 0x78, v17
	v_cmp_gt_u32_e32 vcc_lo, 0x79, v17
	v_or_b32_e32 v162, 0x800000, v21
	s_delay_alu instid0(VALU_DEP_3) | instskip(SKIP_2) | instid1(VALU_DEP_3)
	v_cndmask_b32_e32 v161, 0, v161, vcc_lo
	v_cmp_eq_u32_e32 vcc_lo, 0, v17
	v_add_nc_u32_e32 v17, 0xffffff89, v17
	v_cndmask_b32_e64 v161, v161, 0x77, vcc_lo
	v_cndmask_b32_e32 v21, v162, v21, vcc_lo
	s_delay_alu instid0(VALU_DEP_3) | instskip(NEXT) | instid1(VALU_DEP_3)
	v_cndmask_b32_e64 v17, v17, 0xffffff8a, vcc_lo
	v_lshl_add_u32 v162, 0x100000, v161, -1
	s_delay_alu instid0(VALU_DEP_3) | instskip(SKIP_1) | instid1(VALU_DEP_4)
	v_lshrrev_b32_e32 v164, v161, v21
	v_lshlrev_b32_e64 v166, v161, 0x80000
	v_add_nc_u32_e32 v161, v161, v17
	s_delay_alu instid0(VALU_DEP_4) | instskip(NEXT) | instid1(VALU_DEP_4)
	v_and_b32_e32 v21, v162, v21
	v_bfe_u32 v165, v164, 20, 1
	s_delay_alu instid0(VALU_DEP_2) | instskip(NEXT) | instid1(VALU_DEP_2)
	v_cmp_eq_u32_e64 s13, v21, v166
	v_add_nc_u32_e32 v162, -1, v165
	s_delay_alu instid0(VALU_DEP_1) | instskip(SKIP_2) | instid1(VALU_DEP_2)
	v_cndmask_b32_e64 v21, 0, v162, s13
	v_lshrrev_b32_e32 v162, 23, v164
	s_mov_b32 s13, exec_lo
	v_add_nc_u32_e32 v21, v21, v164
	s_delay_alu instid0(VALU_DEP_2) | instskip(NEXT) | instid1(VALU_DEP_2)
	v_xor_b32_e32 v162, 1, v162
	v_and_b32_e32 v17, 0xfffff, v21
	s_delay_alu instid0(VALU_DEP_1) | instskip(NEXT) | instid1(VALU_DEP_3)
	v_add_nc_u32_e32 v21, v17, v164
                                        ; implicit-def: $vgpr17
	v_cmpx_ne_u32_e64 v161, v162
	s_xor_b32 s13, exec_lo, s13
; %bb.621:                              ;   in Loop: Header=BB4_394 Depth=4
	s_delay_alu instid0(VALU_DEP_2) | instskip(SKIP_2) | instid1(VALU_DEP_2)
	v_cmp_lt_u32_e32 vcc_lo, 0xffffff, v21
	v_sub_nc_u32_e32 v17, v161, v162
	v_cndmask_b32_e64 v161, 0, 1, vcc_lo
	v_add_co_ci_u32_e32 v17, vcc_lo, 0, v17, vcc_lo
	s_delay_alu instid0(VALU_DEP_2)
	v_lshrrev_b32_e32 v21, v161, v21
; %bb.622:                              ;   in Loop: Header=BB4_394 Depth=4
	s_and_not1_saveexec_b32 s13, s13
; %bb.623:                              ;   in Loop: Header=BB4_394 Depth=4
	s_delay_alu instid0(VALU_DEP_1)
	v_bfe_u32 v17, v21, 23, 1
; %bb.624:                              ;   in Loop: Header=BB4_394 Depth=4
	s_or_b32 exec_lo, exec_lo, s13
	v_lshrrev_b32_e32 v21, 20, v21
	s_delay_alu instid0(VALU_DEP_2) | instskip(SKIP_2) | instid1(VALU_DEP_3)
	v_min_i32_e32 v161, 15, v17
	v_cmp_gt_i32_e32 vcc_lo, 16, v17
	v_lshrrev_b32_e32 v162, 24, v163
	v_lshlrev_b32_e32 v161, 3, v161
	s_delay_alu instid0(VALU_DEP_2) | instskip(NEXT) | instid1(VALU_DEP_2)
	v_dual_cndmask_b32 v21, 7, v21 :: v_dual_and_b32 v162, 0x80, v162
	v_and_b32_e32 v161, 0xf8, v161
	s_delay_alu instid0(VALU_DEP_2) | instskip(SKIP_1) | instid1(VALU_DEP_2)
	v_and_b32_e32 v163, 7, v21
	v_or_b32_e32 v17, v17, v21
	v_or3_b32 v161, v162, v161, v163
	s_delay_alu instid0(VALU_DEP_2) | instskip(NEXT) | instid1(VALU_DEP_2)
	v_cmp_ne_u32_e32 vcc_lo, 0, v17
	v_lshlrev_b32_e32 v21, 8, v161
	s_delay_alu instid0(VALU_DEP_1)
	v_cndmask_b32_e32 v17, 0, v21, vcc_lo
.LBB4_625:                              ;   in Loop: Header=BB4_394 Depth=4
	s_or_b32 exec_lo, exec_lo, s37
.LBB4_626:                              ;   in Loop: Header=BB4_394 Depth=4
	s_delay_alu instid0(SALU_CYCLE_1) | instskip(SKIP_2) | instid1(VALU_DEP_1)
	s_or_b32 exec_lo, exec_lo, s36
	v_and_b32_e32 v21, 0xff, v22
	s_and_b32 vcc_lo, exec_lo, s35
	v_cmp_lt_i16_e64 s13, 0x7f, v21
	s_cbranch_vccz .LBB4_636
; %bb.627:                              ;   in Loop: Header=BB4_394 Depth=4
	s_mov_b32 s36, 0
                                        ; implicit-def: $sgpr37
	s_delay_alu instid0(VALU_DEP_1) | instskip(NEXT) | instid1(SALU_CYCLE_1)
	s_and_saveexec_b32 vcc_lo, s13
	s_xor_b32 s13, exec_lo, vcc_lo
	s_cbranch_execnz .LBB4_1448
; %bb.628:                              ;   in Loop: Header=BB4_394 Depth=4
	s_or_saveexec_b32 s13, s13
	v_mov_b32_e32 v161, s37
	s_xor_b32 exec_lo, exec_lo, s13
	s_cbranch_execnz .LBB4_1451
.LBB4_629:                              ;   in Loop: Header=BB4_394 Depth=4
	s_or_b32 exec_lo, exec_lo, s13
	s_and_saveexec_b32 s13, s36
	s_cbranch_execz .LBB4_631
.LBB4_630:                              ;   in Loop: Header=BB4_394 Depth=4
	v_and_b32_e32 v161, 7, v22
	v_bfe_u32 v164, v22, 3, 4
	v_lshlrev_b32_e32 v165, 24, v22
	s_delay_alu instid0(VALU_DEP_3) | instskip(NEXT) | instid1(VALU_DEP_3)
	v_clz_i32_u32_e32 v162, v161
	v_cmp_eq_u32_e32 vcc_lo, 0, v164
	s_delay_alu instid0(VALU_DEP_2) | instskip(NEXT) | instid1(VALU_DEP_1)
	v_min_u32_e32 v162, 32, v162
	v_subrev_nc_u32_e32 v163, 28, v162
	v_sub_nc_u32_e32 v162, 29, v162
	s_delay_alu instid0(VALU_DEP_2) | instskip(NEXT) | instid1(VALU_DEP_1)
	v_lshlrev_b32_e32 v163, v163, v22
	v_dual_cndmask_b32 v162, v164, v162 :: v_dual_and_b32 v163, 7, v163
	s_delay_alu instid0(VALU_DEP_1) | instskip(NEXT) | instid1(VALU_DEP_2)
	v_lshl_add_u32 v162, v162, 23, 0x3b800000
	v_cndmask_b32_e32 v161, v161, v163, vcc_lo
	v_and_b32_e32 v163, 0x80000000, v165
	s_delay_alu instid0(VALU_DEP_2) | instskip(NEXT) | instid1(VALU_DEP_1)
	v_lshlrev_b32_e32 v161, 20, v161
	v_or3_b32 v161, v163, v162, v161
.LBB4_631:                              ;   in Loop: Header=BB4_394 Depth=4
	s_or_b32 exec_lo, exec_lo, s13
	v_and_b32_e32 v163, 0xff, v18
	s_mov_b32 s13, 0
	s_mov_b32 s37, exec_lo
                                        ; implicit-def: $sgpr36
	s_delay_alu instid0(VALU_DEP_1)
	v_cmpx_lt_i16_e64 0x7f, v163
	s_xor_b32 s37, exec_lo, s37
	s_cbranch_execnz .LBB4_1452
; %bb.632:                              ;   in Loop: Header=BB4_394 Depth=4
	s_or_saveexec_b32 s37, s37
	v_mov_b32_e32 v162, s36
	s_xor_b32 exec_lo, exec_lo, s37
	s_cbranch_execnz .LBB4_1455
.LBB4_633:                              ;   in Loop: Header=BB4_394 Depth=4
	s_or_b32 exec_lo, exec_lo, s37
	s_and_saveexec_b32 s36, s13
	s_cbranch_execz .LBB4_635
.LBB4_634:                              ;   in Loop: Header=BB4_394 Depth=4
	v_bfe_u32 v165, v18, 3, 4
	v_lshlrev_b32_e32 v166, 24, v18
	s_delay_alu instid0(VALU_DEP_2) | instskip(SKIP_1) | instid1(VALU_DEP_1)
	v_cmp_eq_u32_e32 vcc_lo, 0, v165
	v_and_b32_e32 v162, 7, v18
	v_clz_i32_u32_e32 v163, v162
	s_delay_alu instid0(VALU_DEP_1) | instskip(NEXT) | instid1(VALU_DEP_1)
	v_min_u32_e32 v163, 32, v163
	v_subrev_nc_u32_e32 v164, 28, v163
	v_sub_nc_u32_e32 v163, 29, v163
	s_delay_alu instid0(VALU_DEP_1) | instskip(NEXT) | instid1(VALU_DEP_1)
	v_dual_cndmask_b32 v163, v165, v163 :: v_dual_lshlrev_b32 v164, v164, v18
	v_and_b32_e32 v164, 7, v164
	s_delay_alu instid0(VALU_DEP_2) | instskip(NEXT) | instid1(VALU_DEP_2)
	v_lshl_add_u32 v163, v163, 23, 0x3b800000
	v_cndmask_b32_e32 v162, v162, v164, vcc_lo
	v_and_b32_e32 v164, 0x80000000, v166
	s_delay_alu instid0(VALU_DEP_2) | instskip(NEXT) | instid1(VALU_DEP_1)
	v_lshlrev_b32_e32 v162, 20, v162
	v_or3_b32 v162, v164, v163, v162
.LBB4_635:                              ;   in Loop: Header=BB4_394 Depth=4
	s_or_b32 exec_lo, exec_lo, s36
	s_delay_alu instid0(VALU_DEP_1) | instskip(SKIP_1) | instid1(VALU_DEP_1)
	v_dual_max_f32 v162, v162, v162 :: v_dual_max_f32 v161, v161, v161
	s_mov_b32 s13, 0
	v_max_f32_e32 v161, v161, v162
	s_branch .LBB4_637
.LBB4_636:                              ;   in Loop: Header=BB4_394 Depth=4
	s_mov_b32 s13, -1
                                        ; implicit-def: $vgpr161
.LBB4_637:                              ;   in Loop: Header=BB4_394 Depth=4
	s_delay_alu instid0(SALU_CYCLE_1)
	s_and_b32 vcc_lo, exec_lo, s13
	s_cbranch_vccz .LBB4_647
; %bb.638:                              ;   in Loop: Header=BB4_394 Depth=4
	s_mov_b32 s13, 0
	s_mov_b32 s37, exec_lo
                                        ; implicit-def: $sgpr36
	v_cmpx_lt_i16_e32 0x7f, v21
	s_xor_b32 s37, exec_lo, s37
	s_cbranch_execnz .LBB4_1456
; %bb.639:                              ;   in Loop: Header=BB4_394 Depth=4
	s_or_saveexec_b32 s37, s37
	v_mov_b32_e32 v161, s36
	s_xor_b32 exec_lo, exec_lo, s37
	s_cbranch_execnz .LBB4_1459
.LBB4_640:                              ;   in Loop: Header=BB4_394 Depth=4
	s_or_b32 exec_lo, exec_lo, s37
	s_and_saveexec_b32 s36, s13
	s_cbranch_execz .LBB4_642
.LBB4_641:                              ;   in Loop: Header=BB4_394 Depth=4
	v_and_b32_e32 v21, 7, v22
	v_bfe_u32 v163, v22, 3, 4
	v_lshlrev_b32_e32 v164, 24, v22
	s_delay_alu instid0(VALU_DEP_3) | instskip(NEXT) | instid1(VALU_DEP_3)
	v_clz_i32_u32_e32 v161, v21
	v_cmp_eq_u32_e32 vcc_lo, 0, v163
	s_delay_alu instid0(VALU_DEP_2) | instskip(NEXT) | instid1(VALU_DEP_1)
	v_min_u32_e32 v161, 32, v161
	v_subrev_nc_u32_e32 v162, 28, v161
	v_sub_nc_u32_e32 v161, 29, v161
	s_delay_alu instid0(VALU_DEP_1) | instskip(NEXT) | instid1(VALU_DEP_1)
	v_dual_cndmask_b32 v161, v163, v161 :: v_dual_lshlrev_b32 v162, v162, v22
	v_and_b32_e32 v162, 7, v162
	s_delay_alu instid0(VALU_DEP_2) | instskip(NEXT) | instid1(VALU_DEP_2)
	v_lshl_add_u32 v161, v161, 23, 0x3b800000
	v_dual_cndmask_b32 v21, v21, v162 :: v_dual_and_b32 v162, 0x80000000, v164
	s_delay_alu instid0(VALU_DEP_1) | instskip(NEXT) | instid1(VALU_DEP_1)
	v_lshlrev_b32_e32 v21, 20, v21
	v_or3_b32 v161, v162, v161, v21
.LBB4_642:                              ;   in Loop: Header=BB4_394 Depth=4
	s_or_b32 exec_lo, exec_lo, s36
	v_and_b32_e32 v162, 0xff, v18
	s_mov_b32 s13, 0
	s_mov_b32 s37, exec_lo
                                        ; implicit-def: $sgpr36
	s_delay_alu instid0(VALU_DEP_1)
	v_cmpx_lt_i16_e64 0x7f, v162
	s_xor_b32 s37, exec_lo, s37
	s_cbranch_execnz .LBB4_1460
; %bb.643:                              ;   in Loop: Header=BB4_394 Depth=4
	s_or_saveexec_b32 s37, s37
	v_mov_b32_e32 v21, s36
	s_xor_b32 exec_lo, exec_lo, s37
	s_cbranch_execnz .LBB4_1463
.LBB4_644:                              ;   in Loop: Header=BB4_394 Depth=4
	s_or_b32 exec_lo, exec_lo, s37
	s_and_saveexec_b32 s36, s13
	s_cbranch_execz .LBB4_646
.LBB4_645:                              ;   in Loop: Header=BB4_394 Depth=4
	v_and_b32_e32 v21, 7, v18
	v_bfe_u32 v164, v18, 3, 4
	v_lshlrev_b32_e32 v165, 24, v18
	s_delay_alu instid0(VALU_DEP_3) | instskip(NEXT) | instid1(VALU_DEP_3)
	v_clz_i32_u32_e32 v162, v21
	v_cmp_eq_u32_e32 vcc_lo, 0, v164
	s_delay_alu instid0(VALU_DEP_2) | instskip(NEXT) | instid1(VALU_DEP_1)
	v_min_u32_e32 v162, 32, v162
	v_subrev_nc_u32_e32 v163, 28, v162
	v_sub_nc_u32_e32 v162, 29, v162
	s_delay_alu instid0(VALU_DEP_2) | instskip(NEXT) | instid1(VALU_DEP_1)
	v_lshlrev_b32_e32 v163, v163, v18
	v_dual_cndmask_b32 v162, v164, v162 :: v_dual_and_b32 v163, 7, v163
	s_delay_alu instid0(VALU_DEP_1) | instskip(NEXT) | instid1(VALU_DEP_2)
	v_lshl_add_u32 v162, v162, 23, 0x3b800000
	v_cndmask_b32_e32 v21, v21, v163, vcc_lo
	v_and_b32_e32 v163, 0x80000000, v165
	s_delay_alu instid0(VALU_DEP_2) | instskip(NEXT) | instid1(VALU_DEP_1)
	v_lshlrev_b32_e32 v21, 20, v21
	v_or3_b32 v21, v163, v162, v21
.LBB4_646:                              ;   in Loop: Header=BB4_394 Depth=4
	s_or_b32 exec_lo, exec_lo, s36
	s_delay_alu instid0(VALU_DEP_1) | instskip(SKIP_1) | instid1(VALU_DEP_1)
	v_max_f32_e32 v21, v21, v21
	v_max_f32_e32 v161, v161, v161
	v_min_f32_e32 v161, v161, v21
.LBB4_647:                              ;   in Loop: Header=BB4_394 Depth=4
	s_delay_alu instid0(VALU_DEP_1) | instskip(NEXT) | instid1(VALU_DEP_1)
	v_and_b32_e32 v21, 0x7f800000, v161
	v_cmp_ne_u32_e32 vcc_lo, 0x7f800000, v21
	v_mov_b32_e32 v21, 0x80
	s_and_saveexec_b32 s36, vcc_lo
	s_cbranch_execz .LBB4_655
; %bb.648:                              ;   in Loop: Header=BB4_394 Depth=4
	v_mov_b32_e32 v21, 0
	s_mov_b32 s37, exec_lo
	v_cmpx_ne_u32_e32 0, v161
	s_cbranch_execz .LBB4_654
; %bb.649:                              ;   in Loop: Header=BB4_394 Depth=4
	v_bfe_u32 v21, v161, 23, 8
	s_delay_alu instid0(VALU_DEP_1) | instskip(SKIP_1) | instid1(VALU_DEP_2)
	v_sub_nc_u32_e32 v163, 0x78, v21
	v_cmp_gt_u32_e32 vcc_lo, 0x79, v21
	v_dual_cndmask_b32 v163, 0, v163 :: v_dual_and_b32 v162, 0x7fffff, v161
	s_delay_alu instid0(VALU_DEP_1) | instskip(SKIP_2) | instid1(VALU_DEP_4)
	v_or_b32_e32 v164, 0x800000, v162
	v_cmp_eq_u32_e32 vcc_lo, 0, v21
	v_add_nc_u32_e32 v21, 0xffffff89, v21
	v_cndmask_b32_e64 v163, v163, 0x77, vcc_lo
	s_delay_alu instid0(VALU_DEP_4) | instskip(NEXT) | instid1(VALU_DEP_3)
	v_cndmask_b32_e32 v162, v164, v162, vcc_lo
	v_cndmask_b32_e64 v21, v21, 0xffffff8a, vcc_lo
	s_delay_alu instid0(VALU_DEP_3) | instskip(NEXT) | instid1(VALU_DEP_3)
	v_lshl_add_u32 v164, 0x100000, v163, -1
	v_lshrrev_b32_e32 v165, v163, v162
	v_lshlrev_b32_e64 v167, v163, 0x80000
	s_delay_alu instid0(VALU_DEP_4) | instskip(NEXT) | instid1(VALU_DEP_4)
	v_add_nc_u32_e32 v163, v163, v21
	v_and_b32_e32 v162, v164, v162
	s_delay_alu instid0(VALU_DEP_4) | instskip(NEXT) | instid1(VALU_DEP_2)
	v_bfe_u32 v166, v165, 20, 1
	v_cmp_eq_u32_e64 s13, v162, v167
	s_delay_alu instid0(VALU_DEP_2) | instskip(NEXT) | instid1(VALU_DEP_1)
	v_add_nc_u32_e32 v164, -1, v166
	v_cndmask_b32_e64 v162, 0, v164, s13
	v_lshrrev_b32_e32 v164, 23, v165
	s_mov_b32 s13, exec_lo
	s_delay_alu instid0(VALU_DEP_2) | instskip(NEXT) | instid1(VALU_DEP_2)
	v_add_nc_u32_e32 v162, v162, v165
	v_xor_b32_e32 v164, 1, v164
	s_delay_alu instid0(VALU_DEP_2) | instskip(NEXT) | instid1(VALU_DEP_1)
	v_and_b32_e32 v21, 0xfffff, v162
	v_add_nc_u32_e32 v162, v21, v165
                                        ; implicit-def: $vgpr21
	s_delay_alu instid0(VALU_DEP_3)
	v_cmpx_ne_u32_e64 v163, v164
	s_xor_b32 s13, exec_lo, s13
; %bb.650:                              ;   in Loop: Header=BB4_394 Depth=4
	s_delay_alu instid0(VALU_DEP_2) | instskip(SKIP_2) | instid1(VALU_DEP_2)
	v_cmp_lt_u32_e32 vcc_lo, 0xffffff, v162
	v_sub_nc_u32_e32 v21, v163, v164
	v_cndmask_b32_e64 v163, 0, 1, vcc_lo
	v_add_co_ci_u32_e32 v21, vcc_lo, 0, v21, vcc_lo
	s_delay_alu instid0(VALU_DEP_2)
	v_lshrrev_b32_e32 v162, v163, v162
; %bb.651:                              ;   in Loop: Header=BB4_394 Depth=4
	s_and_not1_saveexec_b32 s13, s13
; %bb.652:                              ;   in Loop: Header=BB4_394 Depth=4
	s_delay_alu instid0(VALU_DEP_1)
	v_bfe_u32 v21, v162, 23, 1
; %bb.653:                              ;   in Loop: Header=BB4_394 Depth=4
	s_or_b32 exec_lo, exec_lo, s13
	v_lshrrev_b32_e32 v162, 20, v162
	s_delay_alu instid0(VALU_DEP_2) | instskip(SKIP_2) | instid1(VALU_DEP_2)
	v_cmp_gt_i32_e32 vcc_lo, 16, v21
	v_lshrrev_b32_e32 v161, 24, v161
	v_min_i32_e32 v163, 15, v21
	v_dual_cndmask_b32 v162, 7, v162 :: v_dual_and_b32 v161, 0x80, v161
	s_delay_alu instid0(VALU_DEP_2) | instskip(NEXT) | instid1(VALU_DEP_2)
	v_lshlrev_b32_e32 v163, 3, v163
	v_or_b32_e32 v21, v21, v162
	s_delay_alu instid0(VALU_DEP_1) | instskip(SKIP_1) | instid1(VALU_DEP_1)
	v_cmp_ne_u32_e32 vcc_lo, 0, v21
	v_and_b32_e32 v164, 7, v162
	v_or3_b32 v161, v163, v161, v164
	s_delay_alu instid0(VALU_DEP_1)
	v_cndmask_b32_e32 v21, 0, v161, vcc_lo
.LBB4_654:                              ;   in Loop: Header=BB4_394 Depth=4
	s_or_b32 exec_lo, exec_lo, s37
.LBB4_655:                              ;   in Loop: Header=BB4_394 Depth=4
	s_delay_alu instid0(SALU_CYCLE_1) | instskip(SKIP_3) | instid1(VALU_DEP_2)
	s_or_b32 exec_lo, exec_lo, s36
	v_lshrrev_b16 v162, 8, v22
	v_lshrrev_b16 v161, 8, v18
	s_and_b32 vcc_lo, exec_lo, s35
	v_cmp_lt_i16_e64 s13, 0x7f, v162
	s_cbranch_vccz .LBB4_665
; %bb.656:                              ;   in Loop: Header=BB4_394 Depth=4
	s_mov_b32 s36, 0
                                        ; implicit-def: $sgpr37
	s_delay_alu instid0(VALU_DEP_1) | instskip(NEXT) | instid1(SALU_CYCLE_1)
	s_and_saveexec_b32 vcc_lo, s13
	s_xor_b32 s13, exec_lo, vcc_lo
	s_cbranch_execnz .LBB4_1464
; %bb.657:                              ;   in Loop: Header=BB4_394 Depth=4
	s_or_saveexec_b32 s13, s13
	v_mov_b32_e32 v163, s37
	s_xor_b32 exec_lo, exec_lo, s13
	s_cbranch_execnz .LBB4_1467
.LBB4_658:                              ;   in Loop: Header=BB4_394 Depth=4
	s_or_b32 exec_lo, exec_lo, s13
	s_and_saveexec_b32 s13, s36
	s_cbranch_execz .LBB4_660
.LBB4_659:                              ;   in Loop: Header=BB4_394 Depth=4
	v_and_b32_e32 v163, 0xffff, v162
	v_lshlrev_b32_e32 v167, 16, v22
	s_delay_alu instid0(VALU_DEP_2) | instskip(NEXT) | instid1(VALU_DEP_1)
	v_and_b32_e32 v164, 7, v163
	v_clz_i32_u32_e32 v165, v164
	s_delay_alu instid0(VALU_DEP_1) | instskip(NEXT) | instid1(VALU_DEP_1)
	v_min_u32_e32 v165, 32, v165
	v_subrev_nc_u32_e32 v166, 28, v165
	v_sub_nc_u32_e32 v165, 29, v165
	s_delay_alu instid0(VALU_DEP_2) | instskip(SKIP_1) | instid1(VALU_DEP_2)
	v_lshlrev_b32_e32 v166, v166, v163
	v_bfe_u32 v163, v163, 3, 4
	v_and_b32_e32 v166, 7, v166
	s_delay_alu instid0(VALU_DEP_2) | instskip(NEXT) | instid1(VALU_DEP_2)
	v_cmp_eq_u32_e32 vcc_lo, 0, v163
	v_dual_cndmask_b32 v163, v163, v165 :: v_dual_cndmask_b32 v164, v164, v166
	v_and_b32_e32 v165, 0x80000000, v167
	s_delay_alu instid0(VALU_DEP_2) | instskip(NEXT) | instid1(VALU_DEP_3)
	v_lshl_add_u32 v163, v163, 23, 0x3b800000
	v_lshlrev_b32_e32 v164, 20, v164
	s_delay_alu instid0(VALU_DEP_1)
	v_or3_b32 v163, v165, v163, v164
.LBB4_660:                              ;   in Loop: Header=BB4_394 Depth=4
	s_or_b32 exec_lo, exec_lo, s13
	s_mov_b32 s13, 0
	s_mov_b32 s37, exec_lo
                                        ; implicit-def: $sgpr36
	v_cmpx_lt_i16_e64 0x7f, v161
	s_xor_b32 s37, exec_lo, s37
	s_cbranch_execnz .LBB4_1468
; %bb.661:                              ;   in Loop: Header=BB4_394 Depth=4
	s_or_saveexec_b32 s37, s37
	v_mov_b32_e32 v164, s36
	s_xor_b32 exec_lo, exec_lo, s37
	s_cbranch_execnz .LBB4_1471
.LBB4_662:                              ;   in Loop: Header=BB4_394 Depth=4
	s_or_b32 exec_lo, exec_lo, s37
	s_and_saveexec_b32 s36, s13
	s_cbranch_execz .LBB4_664
.LBB4_663:                              ;   in Loop: Header=BB4_394 Depth=4
	v_and_b32_e32 v164, 0xffff, v161
	v_lshlrev_b32_e32 v176, 16, v18
	s_delay_alu instid0(VALU_DEP_2) | instskip(NEXT) | instid1(VALU_DEP_1)
	v_and_b32_e32 v165, 7, v164
	v_clz_i32_u32_e32 v166, v165
	s_delay_alu instid0(VALU_DEP_1) | instskip(NEXT) | instid1(VALU_DEP_1)
	v_min_u32_e32 v166, 32, v166
	v_subrev_nc_u32_e32 v167, 28, v166
	v_sub_nc_u32_e32 v166, 29, v166
	s_delay_alu instid0(VALU_DEP_2) | instskip(SKIP_1) | instid1(VALU_DEP_2)
	v_lshlrev_b32_e32 v167, v167, v164
	v_bfe_u32 v164, v164, 3, 4
	v_and_b32_e32 v167, 7, v167
	s_delay_alu instid0(VALU_DEP_2) | instskip(NEXT) | instid1(VALU_DEP_2)
	v_cmp_eq_u32_e32 vcc_lo, 0, v164
	v_dual_cndmask_b32 v164, v164, v166 :: v_dual_cndmask_b32 v165, v165, v167
	v_and_b32_e32 v166, 0x80000000, v176
	s_delay_alu instid0(VALU_DEP_2) | instskip(NEXT) | instid1(VALU_DEP_3)
	v_lshl_add_u32 v164, v164, 23, 0x3b800000
	v_lshlrev_b32_e32 v165, 20, v165
	s_delay_alu instid0(VALU_DEP_1)
	v_or3_b32 v164, v166, v164, v165
.LBB4_664:                              ;   in Loop: Header=BB4_394 Depth=4
	s_or_b32 exec_lo, exec_lo, s36
	s_delay_alu instid0(VALU_DEP_1) | instskip(SKIP_1) | instid1(VALU_DEP_1)
	v_dual_max_f32 v164, v164, v164 :: v_dual_max_f32 v163, v163, v163
	s_mov_b32 s13, 0
	v_max_f32_e32 v163, v163, v164
	s_branch .LBB4_666
.LBB4_665:                              ;   in Loop: Header=BB4_394 Depth=4
	s_mov_b32 s13, -1
                                        ; implicit-def: $vgpr163
.LBB4_666:                              ;   in Loop: Header=BB4_394 Depth=4
	s_delay_alu instid0(SALU_CYCLE_1)
	s_and_b32 vcc_lo, exec_lo, s13
	s_cbranch_vccz .LBB4_676
; %bb.667:                              ;   in Loop: Header=BB4_394 Depth=4
	s_mov_b32 s13, 0
	s_mov_b32 s37, exec_lo
                                        ; implicit-def: $sgpr36
	v_cmpx_lt_i16_e64 0x7f, v162
	s_xor_b32 s37, exec_lo, s37
	s_cbranch_execnz .LBB4_1472
; %bb.668:                              ;   in Loop: Header=BB4_394 Depth=4
	s_or_saveexec_b32 s37, s37
	v_mov_b32_e32 v163, s36
	s_xor_b32 exec_lo, exec_lo, s37
	s_cbranch_execnz .LBB4_1475
.LBB4_669:                              ;   in Loop: Header=BB4_394 Depth=4
	s_or_b32 exec_lo, exec_lo, s37
	s_and_saveexec_b32 s36, s13
	s_cbranch_execz .LBB4_671
.LBB4_670:                              ;   in Loop: Header=BB4_394 Depth=4
	v_and_b32_e32 v162, 0xffff, v162
	v_lshlrev_b32_e32 v166, 16, v22
	s_delay_alu instid0(VALU_DEP_2) | instskip(NEXT) | instid1(VALU_DEP_1)
	v_and_b32_e32 v163, 7, v162
	v_clz_i32_u32_e32 v164, v163
	s_delay_alu instid0(VALU_DEP_1) | instskip(NEXT) | instid1(VALU_DEP_1)
	v_min_u32_e32 v164, 32, v164
	v_subrev_nc_u32_e32 v165, 28, v164
	v_sub_nc_u32_e32 v164, 29, v164
	s_delay_alu instid0(VALU_DEP_2) | instskip(SKIP_1) | instid1(VALU_DEP_2)
	v_lshlrev_b32_e32 v165, v165, v162
	v_bfe_u32 v162, v162, 3, 4
	v_and_b32_e32 v165, 7, v165
	s_delay_alu instid0(VALU_DEP_2) | instskip(NEXT) | instid1(VALU_DEP_2)
	v_cmp_eq_u32_e32 vcc_lo, 0, v162
	v_dual_cndmask_b32 v162, v162, v164 :: v_dual_cndmask_b32 v163, v163, v165
	v_and_b32_e32 v164, 0x80000000, v166
	s_delay_alu instid0(VALU_DEP_2) | instskip(NEXT) | instid1(VALU_DEP_3)
	v_lshl_add_u32 v162, v162, 23, 0x3b800000
	v_lshlrev_b32_e32 v163, 20, v163
	s_delay_alu instid0(VALU_DEP_1)
	v_or3_b32 v163, v164, v162, v163
.LBB4_671:                              ;   in Loop: Header=BB4_394 Depth=4
	s_or_b32 exec_lo, exec_lo, s36
	s_mov_b32 s13, 0
	s_mov_b32 s37, exec_lo
                                        ; implicit-def: $sgpr36
	v_cmpx_lt_i16_e64 0x7f, v161
	s_xor_b32 s37, exec_lo, s37
	s_cbranch_execnz .LBB4_1476
; %bb.672:                              ;   in Loop: Header=BB4_394 Depth=4
	s_or_saveexec_b32 s37, s37
	v_mov_b32_e32 v162, s36
	s_xor_b32 exec_lo, exec_lo, s37
	s_cbranch_execnz .LBB4_1479
.LBB4_673:                              ;   in Loop: Header=BB4_394 Depth=4
	s_or_b32 exec_lo, exec_lo, s37
	s_and_saveexec_b32 s36, s13
	s_cbranch_execz .LBB4_675
.LBB4_674:                              ;   in Loop: Header=BB4_394 Depth=4
	v_and_b32_e32 v161, 0xffff, v161
	v_lshlrev_b32_e32 v166, 16, v18
	s_delay_alu instid0(VALU_DEP_2) | instskip(NEXT) | instid1(VALU_DEP_1)
	v_and_b32_e32 v162, 7, v161
	v_clz_i32_u32_e32 v164, v162
	s_delay_alu instid0(VALU_DEP_1) | instskip(NEXT) | instid1(VALU_DEP_1)
	v_min_u32_e32 v164, 32, v164
	v_subrev_nc_u32_e32 v165, 28, v164
	v_sub_nc_u32_e32 v164, 29, v164
	s_delay_alu instid0(VALU_DEP_2) | instskip(SKIP_1) | instid1(VALU_DEP_2)
	v_lshlrev_b32_e32 v165, v165, v161
	v_bfe_u32 v161, v161, 3, 4
	v_and_b32_e32 v165, 7, v165
	s_delay_alu instid0(VALU_DEP_2) | instskip(NEXT) | instid1(VALU_DEP_2)
	v_cmp_eq_u32_e32 vcc_lo, 0, v161
	v_dual_cndmask_b32 v161, v161, v164 :: v_dual_cndmask_b32 v162, v162, v165
	v_and_b32_e32 v164, 0x80000000, v166
	s_delay_alu instid0(VALU_DEP_2) | instskip(NEXT) | instid1(VALU_DEP_3)
	v_lshl_add_u32 v161, v161, 23, 0x3b800000
	v_lshlrev_b32_e32 v162, 20, v162
	s_delay_alu instid0(VALU_DEP_1)
	v_or3_b32 v162, v164, v161, v162
.LBB4_675:                              ;   in Loop: Header=BB4_394 Depth=4
	s_or_b32 exec_lo, exec_lo, s36
	s_delay_alu instid0(VALU_DEP_1) | instskip(NEXT) | instid1(VALU_DEP_1)
	v_dual_max_f32 v161, v162, v162 :: v_dual_max_f32 v162, v163, v163
	v_min_f32_e32 v163, v162, v161
.LBB4_676:                              ;   in Loop: Header=BB4_394 Depth=4
	s_delay_alu instid0(VALU_DEP_1) | instskip(NEXT) | instid1(VALU_DEP_1)
	v_and_b32_e32 v161, 0x7f800000, v163
	v_cmp_ne_u32_e32 vcc_lo, 0x7f800000, v161
	v_mov_b32_e32 v161, 0x80
	s_and_saveexec_b32 s36, vcc_lo
	s_cbranch_execz .LBB4_684
; %bb.677:                              ;   in Loop: Header=BB4_394 Depth=4
	v_mov_b32_e32 v161, 0
	s_mov_b32 s37, exec_lo
	v_cmpx_ne_u32_e32 0, v163
	s_cbranch_execz .LBB4_683
; %bb.678:                              ;   in Loop: Header=BB4_394 Depth=4
	v_bfe_u32 v161, v163, 23, 8
	v_and_b32_e32 v162, 0x7fffff, v163
	s_delay_alu instid0(VALU_DEP_2) | instskip(SKIP_1) | instid1(VALU_DEP_3)
	v_sub_nc_u32_e32 v164, 0x78, v161
	v_cmp_gt_u32_e32 vcc_lo, 0x79, v161
	v_or_b32_e32 v165, 0x800000, v162
	s_delay_alu instid0(VALU_DEP_3) | instskip(SKIP_2) | instid1(VALU_DEP_3)
	v_cndmask_b32_e32 v164, 0, v164, vcc_lo
	v_cmp_eq_u32_e32 vcc_lo, 0, v161
	v_add_nc_u32_e32 v161, 0xffffff89, v161
	v_cndmask_b32_e64 v164, v164, 0x77, vcc_lo
	v_cndmask_b32_e32 v162, v165, v162, vcc_lo
	s_delay_alu instid0(VALU_DEP_3) | instskip(NEXT) | instid1(VALU_DEP_3)
	v_cndmask_b32_e64 v161, v161, 0xffffff8a, vcc_lo
	v_lshl_add_u32 v165, 0x100000, v164, -1
	s_delay_alu instid0(VALU_DEP_3) | instskip(SKIP_1) | instid1(VALU_DEP_4)
	v_lshrrev_b32_e32 v166, v164, v162
	v_lshlrev_b32_e64 v176, v164, 0x80000
	v_add_nc_u32_e32 v164, v164, v161
	s_delay_alu instid0(VALU_DEP_4) | instskip(NEXT) | instid1(VALU_DEP_4)
	v_and_b32_e32 v162, v165, v162
	v_bfe_u32 v167, v166, 20, 1
	s_delay_alu instid0(VALU_DEP_2) | instskip(NEXT) | instid1(VALU_DEP_2)
	v_cmp_eq_u32_e64 s13, v162, v176
	v_add_nc_u32_e32 v165, -1, v167
	s_delay_alu instid0(VALU_DEP_1) | instskip(SKIP_2) | instid1(VALU_DEP_2)
	v_cndmask_b32_e64 v162, 0, v165, s13
	v_lshrrev_b32_e32 v165, 23, v166
	s_mov_b32 s13, exec_lo
	v_add_nc_u32_e32 v162, v162, v166
	s_delay_alu instid0(VALU_DEP_2) | instskip(NEXT) | instid1(VALU_DEP_2)
	v_xor_b32_e32 v165, 1, v165
	v_and_b32_e32 v161, 0xfffff, v162
	s_delay_alu instid0(VALU_DEP_1) | instskip(NEXT) | instid1(VALU_DEP_3)
	v_add_nc_u32_e32 v162, v161, v166
                                        ; implicit-def: $vgpr161
	v_cmpx_ne_u32_e64 v164, v165
	s_xor_b32 s13, exec_lo, s13
; %bb.679:                              ;   in Loop: Header=BB4_394 Depth=4
	s_delay_alu instid0(VALU_DEP_2) | instskip(SKIP_2) | instid1(VALU_DEP_2)
	v_cmp_lt_u32_e32 vcc_lo, 0xffffff, v162
	v_sub_nc_u32_e32 v161, v164, v165
	v_cndmask_b32_e64 v164, 0, 1, vcc_lo
	v_add_co_ci_u32_e32 v161, vcc_lo, 0, v161, vcc_lo
	s_delay_alu instid0(VALU_DEP_2)
	v_lshrrev_b32_e32 v162, v164, v162
; %bb.680:                              ;   in Loop: Header=BB4_394 Depth=4
	s_and_not1_saveexec_b32 s13, s13
; %bb.681:                              ;   in Loop: Header=BB4_394 Depth=4
	s_delay_alu instid0(VALU_DEP_1)
	v_bfe_u32 v161, v162, 23, 1
; %bb.682:                              ;   in Loop: Header=BB4_394 Depth=4
	s_or_b32 exec_lo, exec_lo, s13
	v_lshrrev_b32_e32 v162, 20, v162
	s_delay_alu instid0(VALU_DEP_2) | instskip(SKIP_2) | instid1(VALU_DEP_2)
	v_cmp_gt_i32_e32 vcc_lo, 16, v161
	v_lshrrev_b32_e32 v163, 24, v163
	v_min_i32_e32 v164, 15, v161
	v_dual_cndmask_b32 v162, 7, v162 :: v_dual_and_b32 v163, 0x80, v163
	s_delay_alu instid0(VALU_DEP_1) | instskip(SKIP_1) | instid1(VALU_DEP_2)
	v_or_b32_e32 v161, v161, v162
	v_and_b32_e32 v165, 7, v162
	v_cmp_ne_u32_e32 vcc_lo, 0, v161
	v_lshlrev_b32_e32 v164, 3, v164
	s_delay_alu instid0(VALU_DEP_1) | instskip(NEXT) | instid1(VALU_DEP_1)
	v_or3_b32 v162, v164, v163, v165
	v_cndmask_b32_e32 v161, 0, v162, vcc_lo
.LBB4_683:                              ;   in Loop: Header=BB4_394 Depth=4
	s_or_b32 exec_lo, exec_lo, s37
.LBB4_684:                              ;   in Loop: Header=BB4_394 Depth=4
	s_delay_alu instid0(SALU_CYCLE_1) | instskip(SKIP_3) | instid1(VALU_DEP_2)
	s_or_b32 exec_lo, exec_lo, s36
	v_lshrrev_b32_e32 v163, 16, v22
	v_lshrrev_b32_e32 v162, 16, v18
	s_and_b32 vcc_lo, exec_lo, s35
	v_and_b32_e32 v164, 0xff, v163
	s_delay_alu instid0(VALU_DEP_1)
	v_cmp_lt_i16_e64 s13, 0x7f, v164
	s_cbranch_vccz .LBB4_694
; %bb.685:                              ;   in Loop: Header=BB4_394 Depth=4
	s_mov_b32 s36, 0
                                        ; implicit-def: $sgpr37
	s_delay_alu instid0(VALU_DEP_1) | instskip(NEXT) | instid1(SALU_CYCLE_1)
	s_and_saveexec_b32 vcc_lo, s13
	s_xor_b32 s13, exec_lo, vcc_lo
	s_cbranch_execnz .LBB4_1480
; %bb.686:                              ;   in Loop: Header=BB4_394 Depth=4
	s_or_saveexec_b32 s13, s13
	v_mov_b32_e32 v165, s37
	s_xor_b32 exec_lo, exec_lo, s13
	s_cbranch_execnz .LBB4_1483
.LBB4_687:                              ;   in Loop: Header=BB4_394 Depth=4
	s_or_b32 exec_lo, exec_lo, s13
	s_and_saveexec_b32 s13, s36
	s_cbranch_execz .LBB4_689
.LBB4_688:                              ;   in Loop: Header=BB4_394 Depth=4
	v_bfe_u32 v165, v22, 16, 3
	v_bfe_u32 v176, v22, 19, 4
	v_lshlrev_b32_e32 v177, 24, v163
	s_delay_alu instid0(VALU_DEP_3) | instskip(NEXT) | instid1(VALU_DEP_3)
	v_clz_i32_u32_e32 v166, v165
	v_cmp_eq_u32_e32 vcc_lo, 0, v176
	s_delay_alu instid0(VALU_DEP_2) | instskip(NEXT) | instid1(VALU_DEP_1)
	v_min_u32_e32 v166, 32, v166
	v_subrev_nc_u32_e32 v167, 28, v166
	v_sub_nc_u32_e32 v166, 29, v166
	s_delay_alu instid0(VALU_DEP_1) | instskip(NEXT) | instid1(VALU_DEP_1)
	v_dual_cndmask_b32 v166, v176, v166 :: v_dual_lshlrev_b32 v167, v167, v163
	v_and_b32_e32 v167, 7, v167
	s_delay_alu instid0(VALU_DEP_2) | instskip(NEXT) | instid1(VALU_DEP_2)
	v_lshl_add_u32 v166, v166, 23, 0x3b800000
	v_cndmask_b32_e32 v165, v165, v167, vcc_lo
	v_and_b32_e32 v167, 0x80000000, v177
	s_delay_alu instid0(VALU_DEP_2) | instskip(NEXT) | instid1(VALU_DEP_1)
	v_lshlrev_b32_e32 v165, 20, v165
	v_or3_b32 v165, v167, v166, v165
.LBB4_689:                              ;   in Loop: Header=BB4_394 Depth=4
	s_or_b32 exec_lo, exec_lo, s13
	v_and_b32_e32 v167, 0xff, v162
	s_mov_b32 s13, 0
	s_mov_b32 s37, exec_lo
                                        ; implicit-def: $sgpr36
	s_delay_alu instid0(VALU_DEP_1)
	v_cmpx_lt_i16_e64 0x7f, v167
	s_xor_b32 s37, exec_lo, s37
	s_cbranch_execnz .LBB4_1484
; %bb.690:                              ;   in Loop: Header=BB4_394 Depth=4
	s_or_saveexec_b32 s37, s37
	v_mov_b32_e32 v166, s36
	s_xor_b32 exec_lo, exec_lo, s37
	s_cbranch_execnz .LBB4_1487
.LBB4_691:                              ;   in Loop: Header=BB4_394 Depth=4
	s_or_b32 exec_lo, exec_lo, s37
	s_and_saveexec_b32 s36, s13
	s_cbranch_execz .LBB4_693
.LBB4_692:                              ;   in Loop: Header=BB4_394 Depth=4
	v_bfe_u32 v166, v18, 16, 3
	v_bfe_u32 v177, v18, 19, 4
	v_lshlrev_b32_e32 v178, 24, v162
	s_delay_alu instid0(VALU_DEP_3) | instskip(NEXT) | instid1(VALU_DEP_3)
	v_clz_i32_u32_e32 v167, v166
	v_cmp_eq_u32_e32 vcc_lo, 0, v177
	s_delay_alu instid0(VALU_DEP_2) | instskip(NEXT) | instid1(VALU_DEP_1)
	v_min_u32_e32 v167, 32, v167
	v_subrev_nc_u32_e32 v176, 28, v167
	v_sub_nc_u32_e32 v167, 29, v167
	s_delay_alu instid0(VALU_DEP_1) | instskip(NEXT) | instid1(VALU_DEP_1)
	v_dual_cndmask_b32 v167, v177, v167 :: v_dual_lshlrev_b32 v176, v176, v162
	v_and_b32_e32 v176, 7, v176
	s_delay_alu instid0(VALU_DEP_2) | instskip(NEXT) | instid1(VALU_DEP_2)
	v_lshl_add_u32 v167, v167, 23, 0x3b800000
	v_cndmask_b32_e32 v166, v166, v176, vcc_lo
	v_and_b32_e32 v176, 0x80000000, v178
	s_delay_alu instid0(VALU_DEP_2) | instskip(NEXT) | instid1(VALU_DEP_1)
	v_lshlrev_b32_e32 v166, 20, v166
	v_or3_b32 v166, v176, v167, v166
.LBB4_693:                              ;   in Loop: Header=BB4_394 Depth=4
	s_or_b32 exec_lo, exec_lo, s36
	s_delay_alu instid0(VALU_DEP_1) | instskip(SKIP_1) | instid1(VALU_DEP_1)
	v_dual_max_f32 v166, v166, v166 :: v_dual_max_f32 v165, v165, v165
	s_mov_b32 s13, 0
	v_max_f32_e32 v165, v165, v166
	s_branch .LBB4_695
.LBB4_694:                              ;   in Loop: Header=BB4_394 Depth=4
	s_mov_b32 s13, -1
                                        ; implicit-def: $vgpr165
.LBB4_695:                              ;   in Loop: Header=BB4_394 Depth=4
	s_delay_alu instid0(SALU_CYCLE_1)
	s_and_b32 vcc_lo, exec_lo, s13
	s_cbranch_vccz .LBB4_705
; %bb.696:                              ;   in Loop: Header=BB4_394 Depth=4
	s_mov_b32 s13, 0
	s_mov_b32 s37, exec_lo
                                        ; implicit-def: $sgpr36
	v_cmpx_lt_i16_e64 0x7f, v164
	s_xor_b32 s37, exec_lo, s37
	s_cbranch_execnz .LBB4_1488
; %bb.697:                              ;   in Loop: Header=BB4_394 Depth=4
	s_or_saveexec_b32 s37, s37
	v_mov_b32_e32 v165, s36
	s_xor_b32 exec_lo, exec_lo, s37
	s_cbranch_execnz .LBB4_1491
.LBB4_698:                              ;   in Loop: Header=BB4_394 Depth=4
	s_or_b32 exec_lo, exec_lo, s37
	s_and_saveexec_b32 s36, s13
	s_cbranch_execz .LBB4_700
.LBB4_699:                              ;   in Loop: Header=BB4_394 Depth=4
	v_bfe_u32 v164, v22, 16, 3
	v_bfe_u32 v167, v22, 19, 4
	s_delay_alu instid0(VALU_DEP_2) | instskip(NEXT) | instid1(VALU_DEP_2)
	v_clz_i32_u32_e32 v165, v164
	v_cmp_eq_u32_e32 vcc_lo, 0, v167
	s_delay_alu instid0(VALU_DEP_2) | instskip(NEXT) | instid1(VALU_DEP_1)
	v_min_u32_e32 v165, 32, v165
	v_subrev_nc_u32_e32 v166, 28, v165
	v_sub_nc_u32_e32 v165, 29, v165
	s_delay_alu instid0(VALU_DEP_1) | instskip(NEXT) | instid1(VALU_DEP_1)
	v_dual_cndmask_b32 v165, v167, v165 :: v_dual_lshlrev_b32 v166, v166, v163
	v_and_b32_e32 v166, 7, v166
	v_lshlrev_b32_e32 v163, 24, v163
	s_delay_alu instid0(VALU_DEP_3) | instskip(NEXT) | instid1(VALU_DEP_2)
	v_lshl_add_u32 v165, v165, 23, 0x3b800000
	v_dual_cndmask_b32 v164, v164, v166 :: v_dual_and_b32 v163, 0x80000000, v163
	s_delay_alu instid0(VALU_DEP_1) | instskip(NEXT) | instid1(VALU_DEP_1)
	v_lshlrev_b32_e32 v164, 20, v164
	v_or3_b32 v165, v163, v165, v164
.LBB4_700:                              ;   in Loop: Header=BB4_394 Depth=4
	s_or_b32 exec_lo, exec_lo, s36
	v_and_b32_e32 v164, 0xff, v162
	s_mov_b32 s13, 0
	s_mov_b32 s37, exec_lo
                                        ; implicit-def: $sgpr36
	s_delay_alu instid0(VALU_DEP_1)
	v_cmpx_lt_i16_e64 0x7f, v164
	s_xor_b32 s37, exec_lo, s37
	s_cbranch_execnz .LBB4_1492
; %bb.701:                              ;   in Loop: Header=BB4_394 Depth=4
	s_or_saveexec_b32 s37, s37
	v_mov_b32_e32 v163, s36
	s_xor_b32 exec_lo, exec_lo, s37
	s_cbranch_execnz .LBB4_1495
.LBB4_702:                              ;   in Loop: Header=BB4_394 Depth=4
	s_or_b32 exec_lo, exec_lo, s37
	s_and_saveexec_b32 s36, s13
	s_cbranch_execz .LBB4_704
.LBB4_703:                              ;   in Loop: Header=BB4_394 Depth=4
	v_bfe_u32 v163, v18, 16, 3
	v_bfe_u32 v167, v18, 19, 4
	s_delay_alu instid0(VALU_DEP_2) | instskip(NEXT) | instid1(VALU_DEP_2)
	v_clz_i32_u32_e32 v164, v163
	v_cmp_eq_u32_e32 vcc_lo, 0, v167
	s_delay_alu instid0(VALU_DEP_2) | instskip(NEXT) | instid1(VALU_DEP_1)
	v_min_u32_e32 v164, 32, v164
	v_subrev_nc_u32_e32 v166, 28, v164
	v_sub_nc_u32_e32 v164, 29, v164
	s_delay_alu instid0(VALU_DEP_2) | instskip(SKIP_1) | instid1(VALU_DEP_2)
	v_lshlrev_b32_e32 v166, v166, v162
	v_lshlrev_b32_e32 v162, 24, v162
	v_and_b32_e32 v166, 7, v166
	s_delay_alu instid0(VALU_DEP_2) | instskip(NEXT) | instid1(VALU_DEP_2)
	v_and_b32_e32 v162, 0x80000000, v162
	v_cndmask_b32_e32 v163, v163, v166, vcc_lo
	s_delay_alu instid0(VALU_DEP_1) | instskip(NEXT) | instid1(VALU_DEP_1)
	v_dual_cndmask_b32 v164, v167, v164 :: v_dual_lshlrev_b32 v163, 20, v163
	v_lshl_add_u32 v164, v164, 23, 0x3b800000
	s_delay_alu instid0(VALU_DEP_1)
	v_or3_b32 v163, v162, v164, v163
.LBB4_704:                              ;   in Loop: Header=BB4_394 Depth=4
	s_or_b32 exec_lo, exec_lo, s36
	s_delay_alu instid0(VALU_DEP_1) | instskip(NEXT) | instid1(VALU_DEP_1)
	v_dual_max_f32 v162, v163, v163 :: v_dual_max_f32 v163, v165, v165
	v_min_f32_e32 v165, v163, v162
.LBB4_705:                              ;   in Loop: Header=BB4_394 Depth=4
	s_delay_alu instid0(VALU_DEP_1) | instskip(NEXT) | instid1(VALU_DEP_1)
	v_and_b32_e32 v162, 0x7f800000, v165
	v_cmp_ne_u32_e32 vcc_lo, 0x7f800000, v162
	v_mov_b32_e32 v162, 0x80
	s_and_saveexec_b32 s36, vcc_lo
	s_cbranch_execz .LBB4_713
; %bb.706:                              ;   in Loop: Header=BB4_394 Depth=4
	v_mov_b32_e32 v162, 0
	s_mov_b32 s37, exec_lo
	v_cmpx_ne_u32_e32 0, v165
	s_cbranch_execz .LBB4_712
; %bb.707:                              ;   in Loop: Header=BB4_394 Depth=4
	v_bfe_u32 v162, v165, 23, 8
	s_delay_alu instid0(VALU_DEP_1) | instskip(SKIP_1) | instid1(VALU_DEP_2)
	v_sub_nc_u32_e32 v164, 0x78, v162
	v_cmp_gt_u32_e32 vcc_lo, 0x79, v162
	v_dual_cndmask_b32 v164, 0, v164 :: v_dual_and_b32 v163, 0x7fffff, v165
	s_delay_alu instid0(VALU_DEP_1) | instskip(SKIP_2) | instid1(VALU_DEP_4)
	v_or_b32_e32 v166, 0x800000, v163
	v_cmp_eq_u32_e32 vcc_lo, 0, v162
	v_add_nc_u32_e32 v162, 0xffffff89, v162
	v_cndmask_b32_e64 v164, v164, 0x77, vcc_lo
	s_delay_alu instid0(VALU_DEP_4) | instskip(NEXT) | instid1(VALU_DEP_3)
	v_cndmask_b32_e32 v163, v166, v163, vcc_lo
	v_cndmask_b32_e64 v162, v162, 0xffffff8a, vcc_lo
	s_delay_alu instid0(VALU_DEP_3) | instskip(NEXT) | instid1(VALU_DEP_3)
	v_lshl_add_u32 v166, 0x100000, v164, -1
	v_lshrrev_b32_e32 v167, v164, v163
	v_lshlrev_b32_e64 v177, v164, 0x80000
	s_delay_alu instid0(VALU_DEP_4) | instskip(NEXT) | instid1(VALU_DEP_4)
	v_add_nc_u32_e32 v164, v164, v162
	v_and_b32_e32 v163, v166, v163
	s_delay_alu instid0(VALU_DEP_4) | instskip(NEXT) | instid1(VALU_DEP_2)
	v_bfe_u32 v176, v167, 20, 1
	v_cmp_eq_u32_e64 s13, v163, v177
	s_delay_alu instid0(VALU_DEP_2) | instskip(NEXT) | instid1(VALU_DEP_1)
	v_add_nc_u32_e32 v166, -1, v176
	v_cndmask_b32_e64 v163, 0, v166, s13
	v_lshrrev_b32_e32 v166, 23, v167
	s_mov_b32 s13, exec_lo
	s_delay_alu instid0(VALU_DEP_2) | instskip(NEXT) | instid1(VALU_DEP_2)
	v_add_nc_u32_e32 v163, v163, v167
	v_xor_b32_e32 v166, 1, v166
	s_delay_alu instid0(VALU_DEP_2) | instskip(NEXT) | instid1(VALU_DEP_1)
	v_and_b32_e32 v162, 0xfffff, v163
	v_add_nc_u32_e32 v163, v162, v167
                                        ; implicit-def: $vgpr162
	s_delay_alu instid0(VALU_DEP_3)
	v_cmpx_ne_u32_e64 v164, v166
	s_xor_b32 s13, exec_lo, s13
; %bb.708:                              ;   in Loop: Header=BB4_394 Depth=4
	s_delay_alu instid0(VALU_DEP_2) | instskip(SKIP_2) | instid1(VALU_DEP_2)
	v_cmp_lt_u32_e32 vcc_lo, 0xffffff, v163
	v_sub_nc_u32_e32 v162, v164, v166
	v_cndmask_b32_e64 v164, 0, 1, vcc_lo
	v_add_co_ci_u32_e32 v162, vcc_lo, 0, v162, vcc_lo
	s_delay_alu instid0(VALU_DEP_2)
	v_lshrrev_b32_e32 v163, v164, v163
; %bb.709:                              ;   in Loop: Header=BB4_394 Depth=4
	s_and_not1_saveexec_b32 s13, s13
; %bb.710:                              ;   in Loop: Header=BB4_394 Depth=4
	s_delay_alu instid0(VALU_DEP_1)
	v_bfe_u32 v162, v163, 23, 1
; %bb.711:                              ;   in Loop: Header=BB4_394 Depth=4
	s_or_b32 exec_lo, exec_lo, s13
	v_lshrrev_b32_e32 v163, 20, v163
	s_delay_alu instid0(VALU_DEP_2) | instskip(SKIP_2) | instid1(VALU_DEP_2)
	v_cmp_gt_i32_e32 vcc_lo, 16, v162
	v_lshrrev_b32_e32 v164, 24, v165
	v_min_i32_e32 v165, 15, v162
	v_dual_cndmask_b32 v163, 7, v163 :: v_dual_and_b32 v164, 0x80, v164
	s_delay_alu instid0(VALU_DEP_1) | instskip(SKIP_1) | instid1(VALU_DEP_2)
	v_or_b32_e32 v162, v162, v163
	v_and_b32_e32 v166, 7, v163
	v_cmp_ne_u32_e32 vcc_lo, 0, v162
	v_lshlrev_b32_e32 v165, 3, v165
	s_delay_alu instid0(VALU_DEP_1) | instskip(NEXT) | instid1(VALU_DEP_1)
	v_or3_b32 v163, v165, v164, v166
	v_cndmask_b32_e32 v162, 0, v163, vcc_lo
.LBB4_712:                              ;   in Loop: Header=BB4_394 Depth=4
	s_or_b32 exec_lo, exec_lo, s37
.LBB4_713:                              ;   in Loop: Header=BB4_394 Depth=4
	s_delay_alu instid0(SALU_CYCLE_1) | instskip(SKIP_3) | instid1(VALU_DEP_2)
	s_or_b32 exec_lo, exec_lo, s36
	v_lshrrev_b32_e32 v164, 24, v22
	v_lshrrev_b32_e32 v163, 24, v18
	s_and_b32 vcc_lo, exec_lo, s35
	v_cmp_lt_i16_e64 s13, 0x7f, v164
	s_cbranch_vccz .LBB4_723
; %bb.714:                              ;   in Loop: Header=BB4_394 Depth=4
	s_mov_b32 s36, 0
                                        ; implicit-def: $sgpr37
	s_delay_alu instid0(VALU_DEP_1) | instskip(NEXT) | instid1(SALU_CYCLE_1)
	s_and_saveexec_b32 vcc_lo, s13
	s_xor_b32 s13, exec_lo, vcc_lo
	s_cbranch_execnz .LBB4_1496
; %bb.715:                              ;   in Loop: Header=BB4_394 Depth=4
	s_or_saveexec_b32 s13, s13
	v_mov_b32_e32 v165, s37
	s_xor_b32 exec_lo, exec_lo, s13
	s_cbranch_execnz .LBB4_1499
.LBB4_716:                              ;   in Loop: Header=BB4_394 Depth=4
	s_or_b32 exec_lo, exec_lo, s13
	s_and_saveexec_b32 s13, s36
	s_cbranch_execz .LBB4_718
.LBB4_717:                              ;   in Loop: Header=BB4_394 Depth=4
	v_bfe_u32 v165, v22, 24, 3
	v_bfe_u32 v176, v22, 27, 4
	s_delay_alu instid0(VALU_DEP_2) | instskip(NEXT) | instid1(VALU_DEP_2)
	v_clz_i32_u32_e32 v166, v165
	v_cmp_eq_u32_e32 vcc_lo, 0, v176
	s_delay_alu instid0(VALU_DEP_2) | instskip(NEXT) | instid1(VALU_DEP_1)
	v_min_u32_e32 v166, 32, v166
	v_subrev_nc_u32_e32 v167, 28, v166
	v_sub_nc_u32_e32 v166, 29, v166
	s_delay_alu instid0(VALU_DEP_1) | instskip(NEXT) | instid1(VALU_DEP_1)
	v_dual_cndmask_b32 v166, v176, v166 :: v_dual_lshlrev_b32 v167, v167, v164
	v_and_b32_e32 v167, 7, v167
	s_delay_alu instid0(VALU_DEP_2) | instskip(NEXT) | instid1(VALU_DEP_2)
	v_lshl_add_u32 v166, v166, 23, 0x3b800000
	v_cndmask_b32_e32 v165, v165, v167, vcc_lo
	v_and_b32_e32 v167, 0x80000000, v22
	s_delay_alu instid0(VALU_DEP_2) | instskip(NEXT) | instid1(VALU_DEP_1)
	v_lshlrev_b32_e32 v165, 20, v165
	v_or3_b32 v165, v167, v166, v165
.LBB4_718:                              ;   in Loop: Header=BB4_394 Depth=4
	s_or_b32 exec_lo, exec_lo, s13
	s_mov_b32 s13, 0
	s_mov_b32 s37, exec_lo
                                        ; implicit-def: $sgpr36
	v_cmpx_lt_i16_e64 0x7f, v163
	s_xor_b32 s37, exec_lo, s37
	s_cbranch_execnz .LBB4_1500
; %bb.719:                              ;   in Loop: Header=BB4_394 Depth=4
	s_or_saveexec_b32 s37, s37
	v_mov_b32_e32 v166, s36
	s_xor_b32 exec_lo, exec_lo, s37
	s_cbranch_execnz .LBB4_1503
.LBB4_720:                              ;   in Loop: Header=BB4_394 Depth=4
	s_or_b32 exec_lo, exec_lo, s37
	s_and_saveexec_b32 s36, s13
	s_cbranch_execz .LBB4_722
.LBB4_721:                              ;   in Loop: Header=BB4_394 Depth=4
	v_bfe_u32 v166, v18, 24, 3
	v_bfe_u32 v177, v18, 27, 4
	s_delay_alu instid0(VALU_DEP_2) | instskip(NEXT) | instid1(VALU_DEP_2)
	v_clz_i32_u32_e32 v167, v166
	v_cmp_eq_u32_e32 vcc_lo, 0, v177
	s_delay_alu instid0(VALU_DEP_2) | instskip(NEXT) | instid1(VALU_DEP_1)
	v_min_u32_e32 v167, 32, v167
	v_subrev_nc_u32_e32 v176, 28, v167
	v_sub_nc_u32_e32 v167, 29, v167
	s_delay_alu instid0(VALU_DEP_2) | instskip(NEXT) | instid1(VALU_DEP_1)
	v_lshlrev_b32_e32 v176, v176, v163
	v_dual_cndmask_b32 v167, v177, v167 :: v_dual_and_b32 v176, 7, v176
	s_delay_alu instid0(VALU_DEP_1) | instskip(NEXT) | instid1(VALU_DEP_2)
	v_lshl_add_u32 v167, v167, 23, 0x3b800000
	v_cndmask_b32_e32 v166, v166, v176, vcc_lo
	v_and_b32_e32 v176, 0x80000000, v18
	s_delay_alu instid0(VALU_DEP_2) | instskip(NEXT) | instid1(VALU_DEP_1)
	v_lshlrev_b32_e32 v166, 20, v166
	v_or3_b32 v166, v176, v167, v166
.LBB4_722:                              ;   in Loop: Header=BB4_394 Depth=4
	s_or_b32 exec_lo, exec_lo, s36
	s_delay_alu instid0(VALU_DEP_1) | instskip(SKIP_1) | instid1(VALU_DEP_1)
	v_dual_max_f32 v166, v166, v166 :: v_dual_max_f32 v165, v165, v165
	s_mov_b32 s13, 0
	v_max_f32_e32 v165, v165, v166
	s_branch .LBB4_724
.LBB4_723:                              ;   in Loop: Header=BB4_394 Depth=4
	s_mov_b32 s13, -1
                                        ; implicit-def: $vgpr165
.LBB4_724:                              ;   in Loop: Header=BB4_394 Depth=4
	s_delay_alu instid0(SALU_CYCLE_1)
	s_and_b32 vcc_lo, exec_lo, s13
	s_cbranch_vccz .LBB4_734
; %bb.725:                              ;   in Loop: Header=BB4_394 Depth=4
	s_mov_b32 s13, 0
	s_mov_b32 s37, exec_lo
                                        ; implicit-def: $sgpr36
	v_cmpx_lt_i16_e64 0x7f, v164
	s_xor_b32 s37, exec_lo, s37
	s_cbranch_execnz .LBB4_1504
; %bb.726:                              ;   in Loop: Header=BB4_394 Depth=4
	s_or_saveexec_b32 s37, s37
	v_mov_b32_e32 v165, s36
	s_xor_b32 exec_lo, exec_lo, s37
	s_cbranch_execnz .LBB4_1507
.LBB4_727:                              ;   in Loop: Header=BB4_394 Depth=4
	s_or_b32 exec_lo, exec_lo, s37
	s_and_saveexec_b32 s36, s13
	s_cbranch_execz .LBB4_729
.LBB4_728:                              ;   in Loop: Header=BB4_394 Depth=4
	v_bfe_u32 v165, v22, 24, 3
	s_delay_alu instid0(VALU_DEP_1) | instskip(NEXT) | instid1(VALU_DEP_1)
	v_clz_i32_u32_e32 v166, v165
	v_min_u32_e32 v166, 32, v166
	s_delay_alu instid0(VALU_DEP_1) | instskip(SKIP_1) | instid1(VALU_DEP_2)
	v_subrev_nc_u32_e32 v167, 28, v166
	v_sub_nc_u32_e32 v166, 29, v166
	v_lshlrev_b32_e32 v164, v167, v164
	v_bfe_u32 v167, v22, 27, 4
	v_and_b32_e32 v22, 0x80000000, v22
	s_delay_alu instid0(VALU_DEP_3) | instskip(NEXT) | instid1(VALU_DEP_3)
	v_and_b32_e32 v164, 7, v164
	v_cmp_eq_u32_e32 vcc_lo, 0, v167
	v_cndmask_b32_e32 v166, v167, v166, vcc_lo
	s_delay_alu instid0(VALU_DEP_3) | instskip(NEXT) | instid1(VALU_DEP_2)
	v_cndmask_b32_e32 v164, v165, v164, vcc_lo
	v_lshl_add_u32 v165, v166, 23, 0x3b800000
	s_delay_alu instid0(VALU_DEP_2) | instskip(NEXT) | instid1(VALU_DEP_1)
	v_lshlrev_b32_e32 v164, 20, v164
	v_or3_b32 v165, v22, v165, v164
.LBB4_729:                              ;   in Loop: Header=BB4_394 Depth=4
	s_or_b32 exec_lo, exec_lo, s36
	s_mov_b32 s13, 0
	s_mov_b32 s37, exec_lo
                                        ; implicit-def: $sgpr36
	v_cmpx_lt_i16_e64 0x7f, v163
	s_xor_b32 s37, exec_lo, s37
	s_cbranch_execnz .LBB4_1508
; %bb.730:                              ;   in Loop: Header=BB4_394 Depth=4
	s_or_saveexec_b32 s37, s37
	v_mov_b32_e32 v22, s36
	s_xor_b32 exec_lo, exec_lo, s37
	s_cbranch_execnz .LBB4_1511
.LBB4_731:                              ;   in Loop: Header=BB4_394 Depth=4
	s_or_b32 exec_lo, exec_lo, s37
	s_and_saveexec_b32 s36, s13
	s_cbranch_execz .LBB4_733
.LBB4_732:                              ;   in Loop: Header=BB4_394 Depth=4
	v_bfe_u32 v22, v18, 24, 3
	s_delay_alu instid0(VALU_DEP_1) | instskip(NEXT) | instid1(VALU_DEP_1)
	v_clz_i32_u32_e32 v164, v22
	v_min_u32_e32 v164, 32, v164
	s_delay_alu instid0(VALU_DEP_1) | instskip(SKIP_1) | instid1(VALU_DEP_2)
	v_subrev_nc_u32_e32 v166, 28, v164
	v_sub_nc_u32_e32 v164, 29, v164
	v_lshlrev_b32_e32 v163, v166, v163
	v_bfe_u32 v166, v18, 27, 4
	v_and_b32_e32 v18, 0x80000000, v18
	s_delay_alu instid0(VALU_DEP_2) | instskip(NEXT) | instid1(VALU_DEP_4)
	v_cmp_eq_u32_e32 vcc_lo, 0, v166
	v_dual_cndmask_b32 v164, v166, v164 :: v_dual_and_b32 v163, 7, v163
	s_delay_alu instid0(VALU_DEP_1) | instskip(NEXT) | instid1(VALU_DEP_2)
	v_cndmask_b32_e32 v22, v22, v163, vcc_lo
	v_lshl_add_u32 v163, v164, 23, 0x3b800000
	s_delay_alu instid0(VALU_DEP_2) | instskip(NEXT) | instid1(VALU_DEP_1)
	v_lshlrev_b32_e32 v22, 20, v22
	v_or3_b32 v22, v18, v163, v22
.LBB4_733:                              ;   in Loop: Header=BB4_394 Depth=4
	s_or_b32 exec_lo, exec_lo, s36
	s_delay_alu instid0(VALU_DEP_1) | instskip(SKIP_1) | instid1(VALU_DEP_1)
	v_max_f32_e32 v18, v22, v22
	v_max_f32_e32 v22, v165, v165
	v_min_f32_e32 v165, v22, v18
.LBB4_734:                              ;   in Loop: Header=BB4_394 Depth=4
	s_delay_alu instid0(VALU_DEP_1) | instskip(NEXT) | instid1(VALU_DEP_1)
	v_and_b32_e32 v18, 0x7f800000, v165
	v_cmp_ne_u32_e32 vcc_lo, 0x7f800000, v18
	v_mov_b32_e32 v18, 0x80
	s_and_saveexec_b32 s36, vcc_lo
	s_cbranch_execz .LBB4_742
; %bb.735:                              ;   in Loop: Header=BB4_394 Depth=4
	v_mov_b32_e32 v18, 0
	s_mov_b32 s37, exec_lo
	v_cmpx_ne_u32_e32 0, v165
	s_cbranch_execz .LBB4_741
; %bb.736:                              ;   in Loop: Header=BB4_394 Depth=4
	v_bfe_u32 v18, v165, 23, 8
	s_delay_alu instid0(VALU_DEP_1) | instskip(SKIP_1) | instid1(VALU_DEP_2)
	v_sub_nc_u32_e32 v163, 0x78, v18
	v_cmp_gt_u32_e32 vcc_lo, 0x79, v18
	v_dual_cndmask_b32 v163, 0, v163 :: v_dual_and_b32 v22, 0x7fffff, v165
	s_delay_alu instid0(VALU_DEP_1) | instskip(SKIP_2) | instid1(VALU_DEP_4)
	v_or_b32_e32 v164, 0x800000, v22
	v_cmp_eq_u32_e32 vcc_lo, 0, v18
	v_add_nc_u32_e32 v18, 0xffffff89, v18
	v_cndmask_b32_e64 v163, v163, 0x77, vcc_lo
	s_delay_alu instid0(VALU_DEP_4) | instskip(NEXT) | instid1(VALU_DEP_3)
	v_cndmask_b32_e32 v22, v164, v22, vcc_lo
	v_cndmask_b32_e64 v18, v18, 0xffffff8a, vcc_lo
	s_delay_alu instid0(VALU_DEP_3) | instskip(NEXT) | instid1(VALU_DEP_3)
	v_lshl_add_u32 v164, 0x100000, v163, -1
	v_lshrrev_b32_e32 v166, v163, v22
	v_lshlrev_b32_e64 v176, v163, 0x80000
	s_delay_alu instid0(VALU_DEP_4) | instskip(NEXT) | instid1(VALU_DEP_4)
	v_add_nc_u32_e32 v163, v163, v18
	v_and_b32_e32 v22, v164, v22
	s_delay_alu instid0(VALU_DEP_4) | instskip(NEXT) | instid1(VALU_DEP_2)
	v_bfe_u32 v167, v166, 20, 1
	v_cmp_eq_u32_e64 s13, v22, v176
	s_delay_alu instid0(VALU_DEP_2) | instskip(NEXT) | instid1(VALU_DEP_1)
	v_add_nc_u32_e32 v164, -1, v167
	v_cndmask_b32_e64 v22, 0, v164, s13
	v_lshrrev_b32_e32 v164, 23, v166
	s_mov_b32 s13, exec_lo
	s_delay_alu instid0(VALU_DEP_2) | instskip(NEXT) | instid1(VALU_DEP_2)
	v_add_nc_u32_e32 v22, v22, v166
	v_xor_b32_e32 v164, 1, v164
	s_delay_alu instid0(VALU_DEP_2) | instskip(NEXT) | instid1(VALU_DEP_1)
	v_and_b32_e32 v18, 0xfffff, v22
	v_add_nc_u32_e32 v22, v18, v166
                                        ; implicit-def: $vgpr18
	s_delay_alu instid0(VALU_DEP_3)
	v_cmpx_ne_u32_e64 v163, v164
	s_xor_b32 s13, exec_lo, s13
; %bb.737:                              ;   in Loop: Header=BB4_394 Depth=4
	s_delay_alu instid0(VALU_DEP_2) | instskip(SKIP_2) | instid1(VALU_DEP_2)
	v_cmp_lt_u32_e32 vcc_lo, 0xffffff, v22
	v_sub_nc_u32_e32 v18, v163, v164
	v_cndmask_b32_e64 v163, 0, 1, vcc_lo
	v_add_co_ci_u32_e32 v18, vcc_lo, 0, v18, vcc_lo
	s_delay_alu instid0(VALU_DEP_2)
	v_lshrrev_b32_e32 v22, v163, v22
; %bb.738:                              ;   in Loop: Header=BB4_394 Depth=4
	s_and_not1_saveexec_b32 s13, s13
; %bb.739:                              ;   in Loop: Header=BB4_394 Depth=4
	s_delay_alu instid0(VALU_DEP_1)
	v_bfe_u32 v18, v22, 23, 1
; %bb.740:                              ;   in Loop: Header=BB4_394 Depth=4
	s_or_b32 exec_lo, exec_lo, s13
	v_lshrrev_b32_e32 v22, 20, v22
	s_delay_alu instid0(VALU_DEP_2) | instskip(SKIP_2) | instid1(VALU_DEP_2)
	v_cmp_gt_i32_e32 vcc_lo, 16, v18
	v_lshrrev_b32_e32 v163, 24, v165
	v_min_i32_e32 v164, 15, v18
	v_dual_cndmask_b32 v22, 7, v22 :: v_dual_and_b32 v163, 0x80, v163
	s_delay_alu instid0(VALU_DEP_2) | instskip(NEXT) | instid1(VALU_DEP_2)
	v_lshlrev_b32_e32 v164, 3, v164
	v_and_b32_e32 v165, 7, v22
	v_or_b32_e32 v18, v18, v22
	s_delay_alu instid0(VALU_DEP_2) | instskip(NEXT) | instid1(VALU_DEP_2)
	v_or3_b32 v22, v164, v163, v165
	v_cmp_ne_u32_e32 vcc_lo, 0, v18
	s_delay_alu instid0(VALU_DEP_2)
	v_cndmask_b32_e32 v18, 0, v22, vcc_lo
.LBB4_741:                              ;   in Loop: Header=BB4_394 Depth=4
	s_or_b32 exec_lo, exec_lo, s37
.LBB4_742:                              ;   in Loop: Header=BB4_394 Depth=4
	s_delay_alu instid0(SALU_CYCLE_1) | instskip(SKIP_2) | instid1(VALU_DEP_1)
	s_or_b32 exec_lo, exec_lo, s36
	v_and_b32_e32 v22, 0xff, v23
	s_and_b32 vcc_lo, exec_lo, s35
	v_cmp_lt_i16_e64 s13, 0x7f, v22
	s_cbranch_vccz .LBB4_752
; %bb.743:                              ;   in Loop: Header=BB4_394 Depth=4
	s_mov_b32 s36, 0
                                        ; implicit-def: $sgpr37
	s_delay_alu instid0(VALU_DEP_1) | instskip(NEXT) | instid1(SALU_CYCLE_1)
	s_and_saveexec_b32 vcc_lo, s13
	s_xor_b32 s13, exec_lo, vcc_lo
	s_cbranch_execnz .LBB4_1512
; %bb.744:                              ;   in Loop: Header=BB4_394 Depth=4
	s_or_saveexec_b32 s13, s13
	v_mov_b32_e32 v163, s37
	s_xor_b32 exec_lo, exec_lo, s13
	s_cbranch_execnz .LBB4_1515
.LBB4_745:                              ;   in Loop: Header=BB4_394 Depth=4
	s_or_b32 exec_lo, exec_lo, s13
	s_and_saveexec_b32 s13, s36
	s_cbranch_execz .LBB4_747
.LBB4_746:                              ;   in Loop: Header=BB4_394 Depth=4
	v_bfe_u32 v166, v23, 3, 4
	v_lshlrev_b32_e32 v167, 24, v23
	s_delay_alu instid0(VALU_DEP_2) | instskip(SKIP_1) | instid1(VALU_DEP_1)
	v_cmp_eq_u32_e32 vcc_lo, 0, v166
	v_and_b32_e32 v163, 7, v23
	v_clz_i32_u32_e32 v164, v163
	s_delay_alu instid0(VALU_DEP_1) | instskip(NEXT) | instid1(VALU_DEP_1)
	v_min_u32_e32 v164, 32, v164
	v_subrev_nc_u32_e32 v165, 28, v164
	v_sub_nc_u32_e32 v164, 29, v164
	s_delay_alu instid0(VALU_DEP_1) | instskip(NEXT) | instid1(VALU_DEP_1)
	v_dual_cndmask_b32 v164, v166, v164 :: v_dual_lshlrev_b32 v165, v165, v23
	v_and_b32_e32 v165, 7, v165
	s_delay_alu instid0(VALU_DEP_2) | instskip(NEXT) | instid1(VALU_DEP_2)
	v_lshl_add_u32 v164, v164, 23, 0x3b800000
	v_cndmask_b32_e32 v163, v163, v165, vcc_lo
	v_and_b32_e32 v165, 0x80000000, v167
	s_delay_alu instid0(VALU_DEP_2) | instskip(NEXT) | instid1(VALU_DEP_1)
	v_lshlrev_b32_e32 v163, 20, v163
	v_or3_b32 v163, v165, v164, v163
.LBB4_747:                              ;   in Loop: Header=BB4_394 Depth=4
	s_or_b32 exec_lo, exec_lo, s13
	v_and_b32_e32 v165, 0xff, v19
	s_mov_b32 s13, 0
	s_mov_b32 s37, exec_lo
                                        ; implicit-def: $sgpr36
	s_delay_alu instid0(VALU_DEP_1)
	v_cmpx_lt_i16_e64 0x7f, v165
	s_xor_b32 s37, exec_lo, s37
	s_cbranch_execnz .LBB4_1516
; %bb.748:                              ;   in Loop: Header=BB4_394 Depth=4
	s_or_saveexec_b32 s37, s37
	v_mov_b32_e32 v164, s36
	s_xor_b32 exec_lo, exec_lo, s37
	s_cbranch_execnz .LBB4_1519
.LBB4_749:                              ;   in Loop: Header=BB4_394 Depth=4
	s_or_b32 exec_lo, exec_lo, s37
	s_and_saveexec_b32 s36, s13
	s_cbranch_execz .LBB4_751
.LBB4_750:                              ;   in Loop: Header=BB4_394 Depth=4
	v_bfe_u32 v167, v19, 3, 4
	v_lshlrev_b32_e32 v176, 24, v19
	s_delay_alu instid0(VALU_DEP_2) | instskip(SKIP_1) | instid1(VALU_DEP_1)
	v_cmp_eq_u32_e32 vcc_lo, 0, v167
	v_and_b32_e32 v164, 7, v19
	v_clz_i32_u32_e32 v165, v164
	s_delay_alu instid0(VALU_DEP_1) | instskip(NEXT) | instid1(VALU_DEP_1)
	v_min_u32_e32 v165, 32, v165
	v_subrev_nc_u32_e32 v166, 28, v165
	v_sub_nc_u32_e32 v165, 29, v165
	s_delay_alu instid0(VALU_DEP_1) | instskip(NEXT) | instid1(VALU_DEP_1)
	v_dual_cndmask_b32 v165, v167, v165 :: v_dual_lshlrev_b32 v166, v166, v19
	v_and_b32_e32 v166, 7, v166
	s_delay_alu instid0(VALU_DEP_2) | instskip(NEXT) | instid1(VALU_DEP_2)
	v_lshl_add_u32 v165, v165, 23, 0x3b800000
	v_cndmask_b32_e32 v164, v164, v166, vcc_lo
	v_and_b32_e32 v166, 0x80000000, v176
	s_delay_alu instid0(VALU_DEP_2) | instskip(NEXT) | instid1(VALU_DEP_1)
	v_lshlrev_b32_e32 v164, 20, v164
	v_or3_b32 v164, v166, v165, v164
.LBB4_751:                              ;   in Loop: Header=BB4_394 Depth=4
	s_or_b32 exec_lo, exec_lo, s36
	s_delay_alu instid0(VALU_DEP_1) | instskip(SKIP_1) | instid1(VALU_DEP_1)
	v_dual_max_f32 v164, v164, v164 :: v_dual_max_f32 v163, v163, v163
	s_mov_b32 s13, 0
	v_max_f32_e32 v163, v163, v164
	s_branch .LBB4_753
.LBB4_752:                              ;   in Loop: Header=BB4_394 Depth=4
	s_mov_b32 s13, -1
                                        ; implicit-def: $vgpr163
.LBB4_753:                              ;   in Loop: Header=BB4_394 Depth=4
	s_delay_alu instid0(SALU_CYCLE_1)
	s_and_b32 vcc_lo, exec_lo, s13
	s_cbranch_vccz .LBB4_763
; %bb.754:                              ;   in Loop: Header=BB4_394 Depth=4
	s_mov_b32 s13, 0
	s_mov_b32 s37, exec_lo
                                        ; implicit-def: $sgpr36
	v_cmpx_lt_i16_e32 0x7f, v22
	s_xor_b32 s37, exec_lo, s37
	s_cbranch_execnz .LBB4_1520
; %bb.755:                              ;   in Loop: Header=BB4_394 Depth=4
	s_or_saveexec_b32 s37, s37
	v_mov_b32_e32 v163, s36
	s_xor_b32 exec_lo, exec_lo, s37
	s_cbranch_execnz .LBB4_1523
.LBB4_756:                              ;   in Loop: Header=BB4_394 Depth=4
	s_or_b32 exec_lo, exec_lo, s37
	s_and_saveexec_b32 s36, s13
	s_cbranch_execz .LBB4_758
.LBB4_757:                              ;   in Loop: Header=BB4_394 Depth=4
	v_and_b32_e32 v22, 7, v23
	v_bfe_u32 v165, v23, 3, 4
	v_lshlrev_b32_e32 v166, 24, v23
	s_delay_alu instid0(VALU_DEP_3) | instskip(NEXT) | instid1(VALU_DEP_3)
	v_clz_i32_u32_e32 v163, v22
	v_cmp_eq_u32_e32 vcc_lo, 0, v165
	s_delay_alu instid0(VALU_DEP_2) | instskip(NEXT) | instid1(VALU_DEP_1)
	v_min_u32_e32 v163, 32, v163
	v_subrev_nc_u32_e32 v164, 28, v163
	v_sub_nc_u32_e32 v163, 29, v163
	s_delay_alu instid0(VALU_DEP_2) | instskip(NEXT) | instid1(VALU_DEP_1)
	v_lshlrev_b32_e32 v164, v164, v23
	v_dual_cndmask_b32 v163, v165, v163 :: v_dual_and_b32 v164, 7, v164
	s_delay_alu instid0(VALU_DEP_1) | instskip(NEXT) | instid1(VALU_DEP_2)
	v_lshl_add_u32 v163, v163, 23, 0x3b800000
	v_cndmask_b32_e32 v22, v22, v164, vcc_lo
	v_and_b32_e32 v164, 0x80000000, v166
	s_delay_alu instid0(VALU_DEP_2) | instskip(NEXT) | instid1(VALU_DEP_1)
	v_lshlrev_b32_e32 v22, 20, v22
	v_or3_b32 v163, v164, v163, v22
.LBB4_758:                              ;   in Loop: Header=BB4_394 Depth=4
	s_or_b32 exec_lo, exec_lo, s36
	v_and_b32_e32 v164, 0xff, v19
	s_mov_b32 s13, 0
	s_mov_b32 s37, exec_lo
                                        ; implicit-def: $sgpr36
	s_delay_alu instid0(VALU_DEP_1)
	v_cmpx_lt_i16_e64 0x7f, v164
	s_xor_b32 s37, exec_lo, s37
	s_cbranch_execnz .LBB4_1524
; %bb.759:                              ;   in Loop: Header=BB4_394 Depth=4
	s_or_saveexec_b32 s37, s37
	v_mov_b32_e32 v22, s36
	s_xor_b32 exec_lo, exec_lo, s37
	s_cbranch_execnz .LBB4_1527
.LBB4_760:                              ;   in Loop: Header=BB4_394 Depth=4
	s_or_b32 exec_lo, exec_lo, s37
	s_and_saveexec_b32 s36, s13
	s_cbranch_execz .LBB4_762
.LBB4_761:                              ;   in Loop: Header=BB4_394 Depth=4
	v_and_b32_e32 v22, 7, v19
	v_bfe_u32 v166, v19, 3, 4
	s_delay_alu instid0(VALU_DEP_2) | instskip(NEXT) | instid1(VALU_DEP_2)
	v_clz_i32_u32_e32 v164, v22
	v_cmp_eq_u32_e32 vcc_lo, 0, v166
	s_delay_alu instid0(VALU_DEP_2) | instskip(NEXT) | instid1(VALU_DEP_1)
	v_min_u32_e32 v164, 32, v164
	v_subrev_nc_u32_e32 v165, 28, v164
	v_sub_nc_u32_e32 v164, 29, v164
	s_delay_alu instid0(VALU_DEP_1) | instskip(NEXT) | instid1(VALU_DEP_1)
	v_dual_cndmask_b32 v164, v166, v164 :: v_dual_lshlrev_b32 v165, v165, v19
	v_and_b32_e32 v165, 7, v165
	v_lshlrev_b32_e32 v167, 24, v19
	s_delay_alu instid0(VALU_DEP_3) | instskip(NEXT) | instid1(VALU_DEP_2)
	v_lshl_add_u32 v164, v164, 23, 0x3b800000
	v_dual_cndmask_b32 v22, v22, v165 :: v_dual_and_b32 v165, 0x80000000, v167
	s_delay_alu instid0(VALU_DEP_1) | instskip(NEXT) | instid1(VALU_DEP_1)
	v_lshlrev_b32_e32 v22, 20, v22
	v_or3_b32 v22, v165, v164, v22
.LBB4_762:                              ;   in Loop: Header=BB4_394 Depth=4
	s_or_b32 exec_lo, exec_lo, s36
	s_delay_alu instid0(VALU_DEP_1) | instskip(NEXT) | instid1(VALU_DEP_1)
	v_dual_max_f32 v22, v22, v22 :: v_dual_max_f32 v163, v163, v163
	v_min_f32_e32 v163, v163, v22
.LBB4_763:                              ;   in Loop: Header=BB4_394 Depth=4
	s_delay_alu instid0(VALU_DEP_1) | instskip(NEXT) | instid1(VALU_DEP_1)
	v_and_b32_e32 v22, 0x7f800000, v163
	v_cmp_ne_u32_e32 vcc_lo, 0x7f800000, v22
	v_mov_b32_e32 v22, 0x80
	s_and_saveexec_b32 s36, vcc_lo
	s_cbranch_execz .LBB4_771
; %bb.764:                              ;   in Loop: Header=BB4_394 Depth=4
	v_mov_b32_e32 v22, 0
	s_mov_b32 s37, exec_lo
	v_cmpx_ne_u32_e32 0, v163
	s_cbranch_execz .LBB4_770
; %bb.765:                              ;   in Loop: Header=BB4_394 Depth=4
	v_bfe_u32 v22, v163, 23, 8
	s_delay_alu instid0(VALU_DEP_1) | instskip(SKIP_1) | instid1(VALU_DEP_2)
	v_sub_nc_u32_e32 v165, 0x78, v22
	v_cmp_gt_u32_e32 vcc_lo, 0x79, v22
	v_dual_cndmask_b32 v165, 0, v165 :: v_dual_and_b32 v164, 0x7fffff, v163
	s_delay_alu instid0(VALU_DEP_1) | instskip(SKIP_2) | instid1(VALU_DEP_4)
	v_or_b32_e32 v166, 0x800000, v164
	v_cmp_eq_u32_e32 vcc_lo, 0, v22
	v_add_nc_u32_e32 v22, 0xffffff89, v22
	v_cndmask_b32_e64 v165, v165, 0x77, vcc_lo
	s_delay_alu instid0(VALU_DEP_2) | instskip(SKIP_1) | instid1(VALU_DEP_3)
	v_cndmask_b32_e64 v22, v22, 0xffffff8a, vcc_lo
	v_cndmask_b32_e32 v164, v166, v164, vcc_lo
	v_lshl_add_u32 v166, 0x100000, v165, -1
	v_lshlrev_b32_e64 v177, v165, 0x80000
	s_delay_alu instid0(VALU_DEP_3) | instskip(SKIP_1) | instid1(VALU_DEP_4)
	v_lshrrev_b32_e32 v167, v165, v164
	v_add_nc_u32_e32 v165, v165, v22
	v_and_b32_e32 v164, v166, v164
	s_delay_alu instid0(VALU_DEP_3) | instskip(NEXT) | instid1(VALU_DEP_2)
	v_bfe_u32 v176, v167, 20, 1
	v_cmp_eq_u32_e64 s13, v164, v177
	s_delay_alu instid0(VALU_DEP_2) | instskip(NEXT) | instid1(VALU_DEP_1)
	v_add_nc_u32_e32 v166, -1, v176
	v_cndmask_b32_e64 v164, 0, v166, s13
	v_lshrrev_b32_e32 v166, 23, v167
	s_mov_b32 s13, exec_lo
	s_delay_alu instid0(VALU_DEP_2) | instskip(NEXT) | instid1(VALU_DEP_2)
	v_add_nc_u32_e32 v164, v164, v167
	v_xor_b32_e32 v166, 1, v166
	s_delay_alu instid0(VALU_DEP_2) | instskip(NEXT) | instid1(VALU_DEP_1)
	v_and_b32_e32 v22, 0xfffff, v164
	v_add_nc_u32_e32 v164, v22, v167
                                        ; implicit-def: $vgpr22
	s_delay_alu instid0(VALU_DEP_3)
	v_cmpx_ne_u32_e64 v165, v166
	s_xor_b32 s13, exec_lo, s13
; %bb.766:                              ;   in Loop: Header=BB4_394 Depth=4
	s_delay_alu instid0(VALU_DEP_2) | instskip(SKIP_2) | instid1(VALU_DEP_2)
	v_cmp_lt_u32_e32 vcc_lo, 0xffffff, v164
	v_sub_nc_u32_e32 v22, v165, v166
	v_cndmask_b32_e64 v165, 0, 1, vcc_lo
	v_add_co_ci_u32_e32 v22, vcc_lo, 0, v22, vcc_lo
	s_delay_alu instid0(VALU_DEP_2)
	v_lshrrev_b32_e32 v164, v165, v164
; %bb.767:                              ;   in Loop: Header=BB4_394 Depth=4
	s_and_not1_saveexec_b32 s13, s13
; %bb.768:                              ;   in Loop: Header=BB4_394 Depth=4
	s_delay_alu instid0(VALU_DEP_1)
	v_bfe_u32 v22, v164, 23, 1
; %bb.769:                              ;   in Loop: Header=BB4_394 Depth=4
	s_or_b32 exec_lo, exec_lo, s13
	v_lshrrev_b32_e32 v164, 20, v164
	s_delay_alu instid0(VALU_DEP_2) | instskip(SKIP_2) | instid1(VALU_DEP_2)
	v_cmp_gt_i32_e32 vcc_lo, 16, v22
	v_lshrrev_b32_e32 v163, 24, v163
	v_min_i32_e32 v165, 15, v22
	v_dual_cndmask_b32 v164, 7, v164 :: v_dual_and_b32 v163, 0x80, v163
	s_delay_alu instid0(VALU_DEP_1) | instskip(SKIP_1) | instid1(VALU_DEP_2)
	v_or_b32_e32 v22, v22, v164
	v_and_b32_e32 v166, 7, v164
	v_cmp_ne_u32_e32 vcc_lo, 0, v22
	v_lshlrev_b32_e32 v165, 3, v165
	s_delay_alu instid0(VALU_DEP_1) | instskip(NEXT) | instid1(VALU_DEP_1)
	v_or3_b32 v163, v165, v163, v166
	v_cndmask_b32_e32 v22, 0, v163, vcc_lo
.LBB4_770:                              ;   in Loop: Header=BB4_394 Depth=4
	s_or_b32 exec_lo, exec_lo, s37
.LBB4_771:                              ;   in Loop: Header=BB4_394 Depth=4
	s_delay_alu instid0(SALU_CYCLE_1) | instskip(SKIP_3) | instid1(VALU_DEP_2)
	s_or_b32 exec_lo, exec_lo, s36
	v_lshrrev_b16 v164, 8, v23
	v_lshrrev_b16 v163, 8, v19
	s_and_b32 vcc_lo, exec_lo, s35
	v_cmp_lt_i16_e64 s13, 0x7f, v164
	s_cbranch_vccz .LBB4_781
; %bb.772:                              ;   in Loop: Header=BB4_394 Depth=4
	s_mov_b32 s36, 0
                                        ; implicit-def: $sgpr37
	s_delay_alu instid0(VALU_DEP_1) | instskip(NEXT) | instid1(SALU_CYCLE_1)
	s_and_saveexec_b32 vcc_lo, s13
	s_xor_b32 s13, exec_lo, vcc_lo
	s_cbranch_execnz .LBB4_1528
; %bb.773:                              ;   in Loop: Header=BB4_394 Depth=4
	s_or_saveexec_b32 s13, s13
	v_mov_b32_e32 v165, s37
	s_xor_b32 exec_lo, exec_lo, s13
	s_cbranch_execnz .LBB4_1531
.LBB4_774:                              ;   in Loop: Header=BB4_394 Depth=4
	s_or_b32 exec_lo, exec_lo, s13
	s_and_saveexec_b32 s13, s36
	s_cbranch_execz .LBB4_776
.LBB4_775:                              ;   in Loop: Header=BB4_394 Depth=4
	v_and_b32_e32 v165, 0xffff, v164
	s_delay_alu instid0(VALU_DEP_1) | instskip(NEXT) | instid1(VALU_DEP_1)
	v_and_b32_e32 v166, 7, v165
	v_clz_i32_u32_e32 v167, v166
	s_delay_alu instid0(VALU_DEP_1) | instskip(NEXT) | instid1(VALU_DEP_1)
	v_min_u32_e32 v167, 32, v167
	v_subrev_nc_u32_e32 v176, 28, v167
	v_sub_nc_u32_e32 v167, 29, v167
	s_delay_alu instid0(VALU_DEP_2) | instskip(SKIP_1) | instid1(VALU_DEP_2)
	v_lshlrev_b32_e32 v176, v176, v165
	v_bfe_u32 v165, v165, 3, 4
	v_and_b32_e32 v176, 7, v176
	s_delay_alu instid0(VALU_DEP_2) | instskip(SKIP_1) | instid1(VALU_DEP_3)
	v_cmp_eq_u32_e32 vcc_lo, 0, v165
	v_cndmask_b32_e32 v165, v165, v167, vcc_lo
	v_dual_cndmask_b32 v166, v166, v176 :: v_dual_lshlrev_b32 v177, 16, v23
	s_delay_alu instid0(VALU_DEP_2) | instskip(NEXT) | instid1(VALU_DEP_2)
	v_lshl_add_u32 v165, v165, 23, 0x3b800000
	v_and_b32_e32 v167, 0x80000000, v177
	s_delay_alu instid0(VALU_DEP_3) | instskip(NEXT) | instid1(VALU_DEP_1)
	v_lshlrev_b32_e32 v166, 20, v166
	v_or3_b32 v165, v167, v165, v166
.LBB4_776:                              ;   in Loop: Header=BB4_394 Depth=4
	s_or_b32 exec_lo, exec_lo, s13
	s_mov_b32 s13, 0
	s_mov_b32 s37, exec_lo
                                        ; implicit-def: $sgpr36
	v_cmpx_lt_i16_e64 0x7f, v163
	s_xor_b32 s37, exec_lo, s37
	s_cbranch_execnz .LBB4_1532
; %bb.777:                              ;   in Loop: Header=BB4_394 Depth=4
	s_or_saveexec_b32 s37, s37
	v_mov_b32_e32 v166, s36
	s_xor_b32 exec_lo, exec_lo, s37
	s_cbranch_execnz .LBB4_1535
.LBB4_778:                              ;   in Loop: Header=BB4_394 Depth=4
	s_or_b32 exec_lo, exec_lo, s37
	s_and_saveexec_b32 s36, s13
	s_cbranch_execz .LBB4_780
.LBB4_779:                              ;   in Loop: Header=BB4_394 Depth=4
	v_and_b32_e32 v166, 0xffff, v163
	v_lshlrev_b32_e32 v178, 16, v19
	s_delay_alu instid0(VALU_DEP_2) | instskip(NEXT) | instid1(VALU_DEP_1)
	v_and_b32_e32 v167, 7, v166
	v_clz_i32_u32_e32 v176, v167
	s_delay_alu instid0(VALU_DEP_1) | instskip(NEXT) | instid1(VALU_DEP_1)
	v_min_u32_e32 v176, 32, v176
	v_subrev_nc_u32_e32 v177, 28, v176
	v_sub_nc_u32_e32 v176, 29, v176
	s_delay_alu instid0(VALU_DEP_2) | instskip(SKIP_1) | instid1(VALU_DEP_2)
	v_lshlrev_b32_e32 v177, v177, v166
	v_bfe_u32 v166, v166, 3, 4
	v_and_b32_e32 v177, 7, v177
	s_delay_alu instid0(VALU_DEP_2) | instskip(NEXT) | instid1(VALU_DEP_2)
	v_cmp_eq_u32_e32 vcc_lo, 0, v166
	v_dual_cndmask_b32 v166, v166, v176 :: v_dual_cndmask_b32 v167, v167, v177
	v_and_b32_e32 v176, 0x80000000, v178
	s_delay_alu instid0(VALU_DEP_2) | instskip(NEXT) | instid1(VALU_DEP_3)
	v_lshl_add_u32 v166, v166, 23, 0x3b800000
	v_lshlrev_b32_e32 v167, 20, v167
	s_delay_alu instid0(VALU_DEP_1)
	v_or3_b32 v166, v176, v166, v167
.LBB4_780:                              ;   in Loop: Header=BB4_394 Depth=4
	s_or_b32 exec_lo, exec_lo, s36
	s_delay_alu instid0(VALU_DEP_1) | instskip(SKIP_1) | instid1(VALU_DEP_1)
	v_dual_max_f32 v166, v166, v166 :: v_dual_max_f32 v165, v165, v165
	s_mov_b32 s13, 0
	v_max_f32_e32 v165, v165, v166
	s_branch .LBB4_782
.LBB4_781:                              ;   in Loop: Header=BB4_394 Depth=4
	s_mov_b32 s13, -1
                                        ; implicit-def: $vgpr165
.LBB4_782:                              ;   in Loop: Header=BB4_394 Depth=4
	s_delay_alu instid0(SALU_CYCLE_1)
	s_and_b32 vcc_lo, exec_lo, s13
	s_cbranch_vccz .LBB4_792
; %bb.783:                              ;   in Loop: Header=BB4_394 Depth=4
	s_mov_b32 s13, 0
	s_mov_b32 s37, exec_lo
                                        ; implicit-def: $sgpr36
	v_cmpx_lt_i16_e64 0x7f, v164
	s_xor_b32 s37, exec_lo, s37
	s_cbranch_execnz .LBB4_1536
; %bb.784:                              ;   in Loop: Header=BB4_394 Depth=4
	s_or_saveexec_b32 s37, s37
	v_mov_b32_e32 v165, s36
	s_xor_b32 exec_lo, exec_lo, s37
	s_cbranch_execnz .LBB4_1539
.LBB4_785:                              ;   in Loop: Header=BB4_394 Depth=4
	s_or_b32 exec_lo, exec_lo, s37
	s_and_saveexec_b32 s36, s13
	s_cbranch_execz .LBB4_787
.LBB4_786:                              ;   in Loop: Header=BB4_394 Depth=4
	v_and_b32_e32 v164, 0xffff, v164
	v_lshlrev_b32_e32 v176, 16, v23
	s_delay_alu instid0(VALU_DEP_2) | instskip(NEXT) | instid1(VALU_DEP_1)
	v_and_b32_e32 v165, 7, v164
	v_clz_i32_u32_e32 v166, v165
	s_delay_alu instid0(VALU_DEP_1) | instskip(NEXT) | instid1(VALU_DEP_1)
	v_min_u32_e32 v166, 32, v166
	v_subrev_nc_u32_e32 v167, 28, v166
	v_sub_nc_u32_e32 v166, 29, v166
	s_delay_alu instid0(VALU_DEP_2) | instskip(SKIP_1) | instid1(VALU_DEP_2)
	v_lshlrev_b32_e32 v167, v167, v164
	v_bfe_u32 v164, v164, 3, 4
	v_and_b32_e32 v167, 7, v167
	s_delay_alu instid0(VALU_DEP_2) | instskip(NEXT) | instid1(VALU_DEP_2)
	v_cmp_eq_u32_e32 vcc_lo, 0, v164
	v_dual_cndmask_b32 v164, v164, v166 :: v_dual_cndmask_b32 v165, v165, v167
	v_and_b32_e32 v166, 0x80000000, v176
	s_delay_alu instid0(VALU_DEP_2) | instskip(NEXT) | instid1(VALU_DEP_3)
	v_lshl_add_u32 v164, v164, 23, 0x3b800000
	v_lshlrev_b32_e32 v165, 20, v165
	s_delay_alu instid0(VALU_DEP_1)
	v_or3_b32 v165, v166, v164, v165
.LBB4_787:                              ;   in Loop: Header=BB4_394 Depth=4
	s_or_b32 exec_lo, exec_lo, s36
	s_mov_b32 s13, 0
	s_mov_b32 s37, exec_lo
                                        ; implicit-def: $sgpr36
	v_cmpx_lt_i16_e64 0x7f, v163
	s_xor_b32 s37, exec_lo, s37
	s_cbranch_execnz .LBB4_1540
; %bb.788:                              ;   in Loop: Header=BB4_394 Depth=4
	s_or_saveexec_b32 s37, s37
	v_mov_b32_e32 v164, s36
	s_xor_b32 exec_lo, exec_lo, s37
	s_cbranch_execnz .LBB4_1543
.LBB4_789:                              ;   in Loop: Header=BB4_394 Depth=4
	s_or_b32 exec_lo, exec_lo, s37
	s_and_saveexec_b32 s36, s13
	s_cbranch_execz .LBB4_791
.LBB4_790:                              ;   in Loop: Header=BB4_394 Depth=4
	v_and_b32_e32 v163, 0xffff, v163
	v_lshlrev_b32_e32 v176, 16, v19
	s_delay_alu instid0(VALU_DEP_2) | instskip(NEXT) | instid1(VALU_DEP_1)
	v_and_b32_e32 v164, 7, v163
	v_clz_i32_u32_e32 v166, v164
	s_delay_alu instid0(VALU_DEP_1) | instskip(NEXT) | instid1(VALU_DEP_1)
	v_min_u32_e32 v166, 32, v166
	v_subrev_nc_u32_e32 v167, 28, v166
	v_sub_nc_u32_e32 v166, 29, v166
	s_delay_alu instid0(VALU_DEP_2) | instskip(SKIP_1) | instid1(VALU_DEP_2)
	v_lshlrev_b32_e32 v167, v167, v163
	v_bfe_u32 v163, v163, 3, 4
	v_and_b32_e32 v167, 7, v167
	s_delay_alu instid0(VALU_DEP_2) | instskip(NEXT) | instid1(VALU_DEP_2)
	v_cmp_eq_u32_e32 vcc_lo, 0, v163
	v_dual_cndmask_b32 v163, v163, v166 :: v_dual_cndmask_b32 v164, v164, v167
	v_and_b32_e32 v166, 0x80000000, v176
	s_delay_alu instid0(VALU_DEP_2) | instskip(NEXT) | instid1(VALU_DEP_3)
	v_lshl_add_u32 v163, v163, 23, 0x3b800000
	v_lshlrev_b32_e32 v164, 20, v164
	s_delay_alu instid0(VALU_DEP_1)
	v_or3_b32 v164, v166, v163, v164
.LBB4_791:                              ;   in Loop: Header=BB4_394 Depth=4
	s_or_b32 exec_lo, exec_lo, s36
	s_delay_alu instid0(VALU_DEP_1) | instskip(NEXT) | instid1(VALU_DEP_1)
	v_dual_max_f32 v163, v164, v164 :: v_dual_max_f32 v164, v165, v165
	v_min_f32_e32 v165, v164, v163
.LBB4_792:                              ;   in Loop: Header=BB4_394 Depth=4
	s_delay_alu instid0(VALU_DEP_1) | instskip(NEXT) | instid1(VALU_DEP_1)
	v_and_b32_e32 v163, 0x7f800000, v165
	v_cmp_ne_u32_e32 vcc_lo, 0x7f800000, v163
	v_mov_b32_e32 v163, 0x80
	s_and_saveexec_b32 s36, vcc_lo
	s_cbranch_execz .LBB4_800
; %bb.793:                              ;   in Loop: Header=BB4_394 Depth=4
	v_mov_b32_e32 v163, 0
	s_mov_b32 s37, exec_lo
	v_cmpx_ne_u32_e32 0, v165
	s_cbranch_execz .LBB4_799
; %bb.794:                              ;   in Loop: Header=BB4_394 Depth=4
	v_bfe_u32 v163, v165, 23, 8
	v_and_b32_e32 v164, 0x7fffff, v165
	s_delay_alu instid0(VALU_DEP_2) | instskip(SKIP_1) | instid1(VALU_DEP_3)
	v_sub_nc_u32_e32 v166, 0x78, v163
	v_cmp_gt_u32_e32 vcc_lo, 0x79, v163
	v_or_b32_e32 v167, 0x800000, v164
	s_delay_alu instid0(VALU_DEP_3) | instskip(SKIP_2) | instid1(VALU_DEP_3)
	v_cndmask_b32_e32 v166, 0, v166, vcc_lo
	v_cmp_eq_u32_e32 vcc_lo, 0, v163
	v_add_nc_u32_e32 v163, 0xffffff89, v163
	v_cndmask_b32_e64 v166, v166, 0x77, vcc_lo
	v_cndmask_b32_e32 v164, v167, v164, vcc_lo
	s_delay_alu instid0(VALU_DEP_3) | instskip(NEXT) | instid1(VALU_DEP_3)
	v_cndmask_b32_e64 v163, v163, 0xffffff8a, vcc_lo
	v_lshl_add_u32 v167, 0x100000, v166, -1
	s_delay_alu instid0(VALU_DEP_3) | instskip(SKIP_1) | instid1(VALU_DEP_4)
	v_lshrrev_b32_e32 v176, v166, v164
	v_lshlrev_b32_e64 v178, v166, 0x80000
	v_add_nc_u32_e32 v166, v166, v163
	s_delay_alu instid0(VALU_DEP_4) | instskip(NEXT) | instid1(VALU_DEP_4)
	v_and_b32_e32 v164, v167, v164
	v_bfe_u32 v177, v176, 20, 1
	s_delay_alu instid0(VALU_DEP_2) | instskip(NEXT) | instid1(VALU_DEP_2)
	v_cmp_eq_u32_e64 s13, v164, v178
	v_add_nc_u32_e32 v167, -1, v177
	s_delay_alu instid0(VALU_DEP_1) | instskip(SKIP_2) | instid1(VALU_DEP_2)
	v_cndmask_b32_e64 v164, 0, v167, s13
	v_lshrrev_b32_e32 v167, 23, v176
	s_mov_b32 s13, exec_lo
	v_add_nc_u32_e32 v164, v164, v176
	s_delay_alu instid0(VALU_DEP_2) | instskip(NEXT) | instid1(VALU_DEP_2)
	v_xor_b32_e32 v167, 1, v167
	v_and_b32_e32 v163, 0xfffff, v164
	s_delay_alu instid0(VALU_DEP_1) | instskip(NEXT) | instid1(VALU_DEP_3)
	v_add_nc_u32_e32 v164, v163, v176
                                        ; implicit-def: $vgpr163
	v_cmpx_ne_u32_e64 v166, v167
	s_xor_b32 s13, exec_lo, s13
; %bb.795:                              ;   in Loop: Header=BB4_394 Depth=4
	s_delay_alu instid0(VALU_DEP_2) | instskip(SKIP_2) | instid1(VALU_DEP_2)
	v_cmp_lt_u32_e32 vcc_lo, 0xffffff, v164
	v_sub_nc_u32_e32 v163, v166, v167
	v_cndmask_b32_e64 v166, 0, 1, vcc_lo
	v_add_co_ci_u32_e32 v163, vcc_lo, 0, v163, vcc_lo
	s_delay_alu instid0(VALU_DEP_2)
	v_lshrrev_b32_e32 v164, v166, v164
; %bb.796:                              ;   in Loop: Header=BB4_394 Depth=4
	s_and_not1_saveexec_b32 s13, s13
; %bb.797:                              ;   in Loop: Header=BB4_394 Depth=4
	s_delay_alu instid0(VALU_DEP_1)
	v_bfe_u32 v163, v164, 23, 1
; %bb.798:                              ;   in Loop: Header=BB4_394 Depth=4
	s_or_b32 exec_lo, exec_lo, s13
	v_lshrrev_b32_e32 v164, 20, v164
	s_delay_alu instid0(VALU_DEP_2) | instskip(SKIP_2) | instid1(VALU_DEP_2)
	v_cmp_gt_i32_e32 vcc_lo, 16, v163
	v_lshrrev_b32_e32 v165, 24, v165
	v_min_i32_e32 v166, 15, v163
	v_dual_cndmask_b32 v164, 7, v164 :: v_dual_and_b32 v165, 0x80, v165
	s_delay_alu instid0(VALU_DEP_1) | instskip(SKIP_1) | instid1(VALU_DEP_2)
	v_or_b32_e32 v163, v163, v164
	v_and_b32_e32 v167, 7, v164
	v_cmp_ne_u32_e32 vcc_lo, 0, v163
	v_lshlrev_b32_e32 v166, 3, v166
	s_delay_alu instid0(VALU_DEP_1) | instskip(NEXT) | instid1(VALU_DEP_1)
	v_or3_b32 v164, v166, v165, v167
	v_cndmask_b32_e32 v163, 0, v164, vcc_lo
.LBB4_799:                              ;   in Loop: Header=BB4_394 Depth=4
	s_or_b32 exec_lo, exec_lo, s37
.LBB4_800:                              ;   in Loop: Header=BB4_394 Depth=4
	s_delay_alu instid0(SALU_CYCLE_1) | instskip(SKIP_3) | instid1(VALU_DEP_2)
	s_or_b32 exec_lo, exec_lo, s36
	v_lshrrev_b32_e32 v165, 16, v23
	v_lshrrev_b32_e32 v164, 16, v19
	s_and_b32 vcc_lo, exec_lo, s35
	v_and_b32_e32 v166, 0xff, v165
	s_delay_alu instid0(VALU_DEP_1)
	v_cmp_lt_i16_e64 s13, 0x7f, v166
	s_cbranch_vccz .LBB4_810
; %bb.801:                              ;   in Loop: Header=BB4_394 Depth=4
	s_mov_b32 s36, 0
                                        ; implicit-def: $sgpr37
	s_delay_alu instid0(VALU_DEP_1) | instskip(NEXT) | instid1(SALU_CYCLE_1)
	s_and_saveexec_b32 vcc_lo, s13
	s_xor_b32 s13, exec_lo, vcc_lo
	s_cbranch_execnz .LBB4_1544
; %bb.802:                              ;   in Loop: Header=BB4_394 Depth=4
	s_or_saveexec_b32 s13, s13
	v_mov_b32_e32 v167, s37
	s_xor_b32 exec_lo, exec_lo, s13
	s_cbranch_execnz .LBB4_1547
.LBB4_803:                              ;   in Loop: Header=BB4_394 Depth=4
	s_or_b32 exec_lo, exec_lo, s13
	s_and_saveexec_b32 s13, s36
	s_cbranch_execz .LBB4_805
.LBB4_804:                              ;   in Loop: Header=BB4_394 Depth=4
	v_bfe_u32 v167, v23, 16, 3
	v_bfe_u32 v178, v23, 19, 4
	v_lshlrev_b32_e32 v179, 24, v165
	s_delay_alu instid0(VALU_DEP_3) | instskip(NEXT) | instid1(VALU_DEP_3)
	v_clz_i32_u32_e32 v176, v167
	v_cmp_eq_u32_e32 vcc_lo, 0, v178
	s_delay_alu instid0(VALU_DEP_2) | instskip(NEXT) | instid1(VALU_DEP_1)
	v_min_u32_e32 v176, 32, v176
	v_subrev_nc_u32_e32 v177, 28, v176
	v_sub_nc_u32_e32 v176, 29, v176
	s_delay_alu instid0(VALU_DEP_1) | instskip(NEXT) | instid1(VALU_DEP_1)
	v_dual_cndmask_b32 v176, v178, v176 :: v_dual_lshlrev_b32 v177, v177, v165
	v_and_b32_e32 v177, 7, v177
	s_delay_alu instid0(VALU_DEP_2) | instskip(NEXT) | instid1(VALU_DEP_2)
	v_lshl_add_u32 v176, v176, 23, 0x3b800000
	v_cndmask_b32_e32 v167, v167, v177, vcc_lo
	v_and_b32_e32 v177, 0x80000000, v179
	s_delay_alu instid0(VALU_DEP_2) | instskip(NEXT) | instid1(VALU_DEP_1)
	v_lshlrev_b32_e32 v167, 20, v167
	v_or3_b32 v167, v177, v176, v167
.LBB4_805:                              ;   in Loop: Header=BB4_394 Depth=4
	s_or_b32 exec_lo, exec_lo, s13
	v_and_b32_e32 v177, 0xff, v164
	s_mov_b32 s13, 0
	s_mov_b32 s37, exec_lo
                                        ; implicit-def: $sgpr36
	s_delay_alu instid0(VALU_DEP_1)
	v_cmpx_lt_i16_e64 0x7f, v177
	s_xor_b32 s37, exec_lo, s37
	s_cbranch_execnz .LBB4_1548
; %bb.806:                              ;   in Loop: Header=BB4_394 Depth=4
	s_or_saveexec_b32 s37, s37
	v_mov_b32_e32 v176, s36
	s_xor_b32 exec_lo, exec_lo, s37
	s_cbranch_execnz .LBB4_1551
.LBB4_807:                              ;   in Loop: Header=BB4_394 Depth=4
	s_or_b32 exec_lo, exec_lo, s37
	s_and_saveexec_b32 s36, s13
	s_cbranch_execz .LBB4_809
.LBB4_808:                              ;   in Loop: Header=BB4_394 Depth=4
	v_bfe_u32 v176, v19, 16, 3
	v_bfe_u32 v179, v19, 19, 4
	v_lshlrev_b32_e32 v180, 24, v164
	s_delay_alu instid0(VALU_DEP_3) | instskip(NEXT) | instid1(VALU_DEP_3)
	v_clz_i32_u32_e32 v177, v176
	v_cmp_eq_u32_e32 vcc_lo, 0, v179
	s_delay_alu instid0(VALU_DEP_2) | instskip(NEXT) | instid1(VALU_DEP_1)
	v_min_u32_e32 v177, 32, v177
	v_subrev_nc_u32_e32 v178, 28, v177
	v_sub_nc_u32_e32 v177, 29, v177
	s_delay_alu instid0(VALU_DEP_1) | instskip(NEXT) | instid1(VALU_DEP_1)
	v_dual_cndmask_b32 v177, v179, v177 :: v_dual_lshlrev_b32 v178, v178, v164
	v_and_b32_e32 v178, 7, v178
	s_delay_alu instid0(VALU_DEP_2) | instskip(NEXT) | instid1(VALU_DEP_2)
	v_lshl_add_u32 v177, v177, 23, 0x3b800000
	v_cndmask_b32_e32 v176, v176, v178, vcc_lo
	v_and_b32_e32 v178, 0x80000000, v180
	s_delay_alu instid0(VALU_DEP_2) | instskip(NEXT) | instid1(VALU_DEP_1)
	v_lshlrev_b32_e32 v176, 20, v176
	v_or3_b32 v176, v178, v177, v176
.LBB4_809:                              ;   in Loop: Header=BB4_394 Depth=4
	s_or_b32 exec_lo, exec_lo, s36
	s_delay_alu instid0(VALU_DEP_1) | instskip(SKIP_1) | instid1(VALU_DEP_1)
	v_dual_max_f32 v176, v176, v176 :: v_dual_max_f32 v167, v167, v167
	s_mov_b32 s13, 0
	v_max_f32_e32 v167, v167, v176
	s_branch .LBB4_811
.LBB4_810:                              ;   in Loop: Header=BB4_394 Depth=4
	s_mov_b32 s13, -1
                                        ; implicit-def: $vgpr167
.LBB4_811:                              ;   in Loop: Header=BB4_394 Depth=4
	s_delay_alu instid0(SALU_CYCLE_1)
	s_and_b32 vcc_lo, exec_lo, s13
	s_cbranch_vccz .LBB4_821
; %bb.812:                              ;   in Loop: Header=BB4_394 Depth=4
	s_mov_b32 s13, 0
	s_mov_b32 s37, exec_lo
                                        ; implicit-def: $sgpr36
	v_cmpx_lt_i16_e64 0x7f, v166
	s_xor_b32 s37, exec_lo, s37
	s_cbranch_execnz .LBB4_1552
; %bb.813:                              ;   in Loop: Header=BB4_394 Depth=4
	s_or_saveexec_b32 s37, s37
	v_mov_b32_e32 v167, s36
	s_xor_b32 exec_lo, exec_lo, s37
	s_cbranch_execnz .LBB4_1555
.LBB4_814:                              ;   in Loop: Header=BB4_394 Depth=4
	s_or_b32 exec_lo, exec_lo, s37
	s_and_saveexec_b32 s36, s13
	s_cbranch_execz .LBB4_816
.LBB4_815:                              ;   in Loop: Header=BB4_394 Depth=4
	v_bfe_u32 v166, v23, 16, 3
	v_bfe_u32 v177, v23, 19, 4
	s_delay_alu instid0(VALU_DEP_2) | instskip(NEXT) | instid1(VALU_DEP_2)
	v_clz_i32_u32_e32 v167, v166
	v_cmp_eq_u32_e32 vcc_lo, 0, v177
	s_delay_alu instid0(VALU_DEP_2) | instskip(NEXT) | instid1(VALU_DEP_1)
	v_min_u32_e32 v167, 32, v167
	v_subrev_nc_u32_e32 v176, 28, v167
	v_sub_nc_u32_e32 v167, 29, v167
	s_delay_alu instid0(VALU_DEP_1) | instskip(NEXT) | instid1(VALU_DEP_1)
	v_dual_cndmask_b32 v167, v177, v167 :: v_dual_lshlrev_b32 v176, v176, v165
	v_and_b32_e32 v176, 7, v176
	v_lshlrev_b32_e32 v165, 24, v165
	s_delay_alu instid0(VALU_DEP_3) | instskip(NEXT) | instid1(VALU_DEP_2)
	v_lshl_add_u32 v167, v167, 23, 0x3b800000
	v_dual_cndmask_b32 v166, v166, v176 :: v_dual_and_b32 v165, 0x80000000, v165
	s_delay_alu instid0(VALU_DEP_1) | instskip(NEXT) | instid1(VALU_DEP_1)
	v_lshlrev_b32_e32 v166, 20, v166
	v_or3_b32 v167, v165, v167, v166
.LBB4_816:                              ;   in Loop: Header=BB4_394 Depth=4
	s_or_b32 exec_lo, exec_lo, s36
	v_and_b32_e32 v166, 0xff, v164
	s_mov_b32 s13, 0
	s_mov_b32 s37, exec_lo
                                        ; implicit-def: $sgpr36
	s_delay_alu instid0(VALU_DEP_1)
	v_cmpx_lt_i16_e64 0x7f, v166
	s_xor_b32 s37, exec_lo, s37
	s_cbranch_execnz .LBB4_1556
; %bb.817:                              ;   in Loop: Header=BB4_394 Depth=4
	s_or_saveexec_b32 s37, s37
	v_mov_b32_e32 v165, s36
	s_xor_b32 exec_lo, exec_lo, s37
	s_cbranch_execnz .LBB4_1559
.LBB4_818:                              ;   in Loop: Header=BB4_394 Depth=4
	s_or_b32 exec_lo, exec_lo, s37
	s_and_saveexec_b32 s36, s13
	s_cbranch_execz .LBB4_820
.LBB4_819:                              ;   in Loop: Header=BB4_394 Depth=4
	v_bfe_u32 v165, v19, 16, 3
	v_bfe_u32 v177, v19, 19, 4
	s_delay_alu instid0(VALU_DEP_2) | instskip(NEXT) | instid1(VALU_DEP_2)
	v_clz_i32_u32_e32 v166, v165
	v_cmp_eq_u32_e32 vcc_lo, 0, v177
	s_delay_alu instid0(VALU_DEP_2) | instskip(NEXT) | instid1(VALU_DEP_1)
	v_min_u32_e32 v166, 32, v166
	v_subrev_nc_u32_e32 v176, 28, v166
	v_sub_nc_u32_e32 v166, 29, v166
	s_delay_alu instid0(VALU_DEP_2) | instskip(SKIP_1) | instid1(VALU_DEP_2)
	v_lshlrev_b32_e32 v176, v176, v164
	v_lshlrev_b32_e32 v164, 24, v164
	v_and_b32_e32 v176, 7, v176
	s_delay_alu instid0(VALU_DEP_2) | instskip(NEXT) | instid1(VALU_DEP_2)
	v_and_b32_e32 v164, 0x80000000, v164
	v_cndmask_b32_e32 v165, v165, v176, vcc_lo
	s_delay_alu instid0(VALU_DEP_1) | instskip(NEXT) | instid1(VALU_DEP_1)
	v_dual_cndmask_b32 v166, v177, v166 :: v_dual_lshlrev_b32 v165, 20, v165
	v_lshl_add_u32 v166, v166, 23, 0x3b800000
	s_delay_alu instid0(VALU_DEP_1)
	v_or3_b32 v165, v164, v166, v165
.LBB4_820:                              ;   in Loop: Header=BB4_394 Depth=4
	s_or_b32 exec_lo, exec_lo, s36
	s_delay_alu instid0(VALU_DEP_1) | instskip(NEXT) | instid1(VALU_DEP_1)
	v_dual_max_f32 v164, v165, v165 :: v_dual_max_f32 v165, v167, v167
	v_min_f32_e32 v167, v165, v164
.LBB4_821:                              ;   in Loop: Header=BB4_394 Depth=4
	s_delay_alu instid0(VALU_DEP_1) | instskip(NEXT) | instid1(VALU_DEP_1)
	v_and_b32_e32 v164, 0x7f800000, v167
	v_cmp_ne_u32_e32 vcc_lo, 0x7f800000, v164
	v_mov_b32_e32 v164, 0x80
	s_and_saveexec_b32 s36, vcc_lo
	s_cbranch_execz .LBB4_829
; %bb.822:                              ;   in Loop: Header=BB4_394 Depth=4
	v_mov_b32_e32 v164, 0
	s_mov_b32 s37, exec_lo
	v_cmpx_ne_u32_e32 0, v167
	s_cbranch_execz .LBB4_828
; %bb.823:                              ;   in Loop: Header=BB4_394 Depth=4
	v_bfe_u32 v164, v167, 23, 8
	s_delay_alu instid0(VALU_DEP_1) | instskip(SKIP_1) | instid1(VALU_DEP_2)
	v_sub_nc_u32_e32 v166, 0x78, v164
	v_cmp_gt_u32_e32 vcc_lo, 0x79, v164
	v_dual_cndmask_b32 v166, 0, v166 :: v_dual_and_b32 v165, 0x7fffff, v167
	s_delay_alu instid0(VALU_DEP_1) | instskip(SKIP_2) | instid1(VALU_DEP_4)
	v_or_b32_e32 v176, 0x800000, v165
	v_cmp_eq_u32_e32 vcc_lo, 0, v164
	v_add_nc_u32_e32 v164, 0xffffff89, v164
	v_cndmask_b32_e64 v166, v166, 0x77, vcc_lo
	s_delay_alu instid0(VALU_DEP_4) | instskip(NEXT) | instid1(VALU_DEP_3)
	v_cndmask_b32_e32 v165, v176, v165, vcc_lo
	v_cndmask_b32_e64 v164, v164, 0xffffff8a, vcc_lo
	s_delay_alu instid0(VALU_DEP_3) | instskip(NEXT) | instid1(VALU_DEP_3)
	v_lshl_add_u32 v176, 0x100000, v166, -1
	v_lshrrev_b32_e32 v177, v166, v165
	v_lshlrev_b32_e64 v179, v166, 0x80000
	s_delay_alu instid0(VALU_DEP_4) | instskip(NEXT) | instid1(VALU_DEP_4)
	v_add_nc_u32_e32 v166, v166, v164
	v_and_b32_e32 v165, v176, v165
	s_delay_alu instid0(VALU_DEP_4) | instskip(NEXT) | instid1(VALU_DEP_2)
	v_bfe_u32 v178, v177, 20, 1
	v_cmp_eq_u32_e64 s13, v165, v179
	s_delay_alu instid0(VALU_DEP_2) | instskip(NEXT) | instid1(VALU_DEP_1)
	v_add_nc_u32_e32 v176, -1, v178
	v_cndmask_b32_e64 v165, 0, v176, s13
	v_lshrrev_b32_e32 v176, 23, v177
	s_mov_b32 s13, exec_lo
	s_delay_alu instid0(VALU_DEP_2) | instskip(NEXT) | instid1(VALU_DEP_2)
	v_add_nc_u32_e32 v165, v165, v177
	v_xor_b32_e32 v176, 1, v176
	s_delay_alu instid0(VALU_DEP_2) | instskip(NEXT) | instid1(VALU_DEP_1)
	v_and_b32_e32 v164, 0xfffff, v165
	v_add_nc_u32_e32 v165, v164, v177
                                        ; implicit-def: $vgpr164
	s_delay_alu instid0(VALU_DEP_3)
	v_cmpx_ne_u32_e64 v166, v176
	s_xor_b32 s13, exec_lo, s13
; %bb.824:                              ;   in Loop: Header=BB4_394 Depth=4
	s_delay_alu instid0(VALU_DEP_2) | instskip(SKIP_2) | instid1(VALU_DEP_2)
	v_cmp_lt_u32_e32 vcc_lo, 0xffffff, v165
	v_sub_nc_u32_e32 v164, v166, v176
	v_cndmask_b32_e64 v166, 0, 1, vcc_lo
	v_add_co_ci_u32_e32 v164, vcc_lo, 0, v164, vcc_lo
	s_delay_alu instid0(VALU_DEP_2)
	v_lshrrev_b32_e32 v165, v166, v165
; %bb.825:                              ;   in Loop: Header=BB4_394 Depth=4
	s_and_not1_saveexec_b32 s13, s13
; %bb.826:                              ;   in Loop: Header=BB4_394 Depth=4
	s_delay_alu instid0(VALU_DEP_1)
	v_bfe_u32 v164, v165, 23, 1
; %bb.827:                              ;   in Loop: Header=BB4_394 Depth=4
	s_or_b32 exec_lo, exec_lo, s13
	v_lshrrev_b32_e32 v165, 20, v165
	s_delay_alu instid0(VALU_DEP_2) | instskip(SKIP_2) | instid1(VALU_DEP_2)
	v_cmp_gt_i32_e32 vcc_lo, 16, v164
	v_min_i32_e32 v166, 15, v164
	v_lshrrev_b32_e32 v167, 24, v167
	v_dual_cndmask_b32 v165, 7, v165 :: v_dual_lshlrev_b32 v166, 3, v166
	s_delay_alu instid0(VALU_DEP_1) | instskip(SKIP_1) | instid1(VALU_DEP_3)
	v_or_b32_e32 v164, v164, v165
	v_and_b32_e32 v176, 7, v165
	v_and_b32_e32 v166, 0xf8, v166
	s_delay_alu instid0(VALU_DEP_3) | instskip(SKIP_1) | instid1(VALU_DEP_1)
	v_cmp_ne_u32_e32 vcc_lo, 0, v164
	v_and_b32_e32 v167, 0x80, v167
	v_or3_b32 v165, v166, v167, v176
	s_delay_alu instid0(VALU_DEP_1)
	v_cndmask_b32_e32 v164, 0, v165, vcc_lo
.LBB4_828:                              ;   in Loop: Header=BB4_394 Depth=4
	s_or_b32 exec_lo, exec_lo, s37
.LBB4_829:                              ;   in Loop: Header=BB4_394 Depth=4
	s_delay_alu instid0(SALU_CYCLE_1) | instskip(SKIP_3) | instid1(VALU_DEP_2)
	s_or_b32 exec_lo, exec_lo, s36
	v_lshrrev_b32_e32 v166, 24, v23
	v_lshrrev_b32_e32 v165, 24, v19
	s_and_b32 vcc_lo, exec_lo, s35
	v_cmp_lt_i16_e64 s13, 0x7f, v166
	s_cbranch_vccz .LBB4_839
; %bb.830:                              ;   in Loop: Header=BB4_394 Depth=4
	s_mov_b32 s36, 0
                                        ; implicit-def: $sgpr37
	s_delay_alu instid0(VALU_DEP_1) | instskip(NEXT) | instid1(SALU_CYCLE_1)
	s_and_saveexec_b32 vcc_lo, s13
	s_xor_b32 s13, exec_lo, vcc_lo
	s_cbranch_execnz .LBB4_1560
; %bb.831:                              ;   in Loop: Header=BB4_394 Depth=4
	s_or_saveexec_b32 s13, s13
	v_mov_b32_e32 v167, s37
	s_xor_b32 exec_lo, exec_lo, s13
	s_cbranch_execnz .LBB4_1563
.LBB4_832:                              ;   in Loop: Header=BB4_394 Depth=4
	s_or_b32 exec_lo, exec_lo, s13
	s_and_saveexec_b32 s13, s36
	s_cbranch_execz .LBB4_834
.LBB4_833:                              ;   in Loop: Header=BB4_394 Depth=4
	v_bfe_u32 v167, v23, 24, 3
	v_bfe_u32 v178, v23, 27, 4
	s_delay_alu instid0(VALU_DEP_2) | instskip(NEXT) | instid1(VALU_DEP_2)
	v_clz_i32_u32_e32 v176, v167
	v_cmp_eq_u32_e32 vcc_lo, 0, v178
	s_delay_alu instid0(VALU_DEP_2) | instskip(NEXT) | instid1(VALU_DEP_1)
	v_min_u32_e32 v176, 32, v176
	v_subrev_nc_u32_e32 v177, 28, v176
	v_sub_nc_u32_e32 v176, 29, v176
	s_delay_alu instid0(VALU_DEP_1) | instskip(NEXT) | instid1(VALU_DEP_1)
	v_dual_cndmask_b32 v176, v178, v176 :: v_dual_lshlrev_b32 v177, v177, v166
	v_and_b32_e32 v177, 7, v177
	s_delay_alu instid0(VALU_DEP_2) | instskip(NEXT) | instid1(VALU_DEP_2)
	v_lshl_add_u32 v176, v176, 23, 0x3b800000
	v_cndmask_b32_e32 v167, v167, v177, vcc_lo
	v_and_b32_e32 v177, 0x80000000, v23
	s_delay_alu instid0(VALU_DEP_2) | instskip(NEXT) | instid1(VALU_DEP_1)
	v_lshlrev_b32_e32 v167, 20, v167
	v_or3_b32 v167, v177, v176, v167
.LBB4_834:                              ;   in Loop: Header=BB4_394 Depth=4
	s_or_b32 exec_lo, exec_lo, s13
	s_mov_b32 s13, 0
	s_mov_b32 s37, exec_lo
                                        ; implicit-def: $sgpr36
	v_cmpx_lt_i16_e64 0x7f, v165
	s_xor_b32 s37, exec_lo, s37
	s_cbranch_execnz .LBB4_1564
; %bb.835:                              ;   in Loop: Header=BB4_394 Depth=4
	s_or_saveexec_b32 s37, s37
	v_mov_b32_e32 v176, s36
	s_xor_b32 exec_lo, exec_lo, s37
	s_cbranch_execnz .LBB4_1567
.LBB4_836:                              ;   in Loop: Header=BB4_394 Depth=4
	s_or_b32 exec_lo, exec_lo, s37
	s_and_saveexec_b32 s36, s13
	s_cbranch_execz .LBB4_838
.LBB4_837:                              ;   in Loop: Header=BB4_394 Depth=4
	v_bfe_u32 v176, v19, 24, 3
	v_bfe_u32 v179, v19, 27, 4
	s_delay_alu instid0(VALU_DEP_2) | instskip(NEXT) | instid1(VALU_DEP_2)
	v_clz_i32_u32_e32 v177, v176
	v_cmp_eq_u32_e32 vcc_lo, 0, v179
	s_delay_alu instid0(VALU_DEP_2) | instskip(NEXT) | instid1(VALU_DEP_1)
	v_min_u32_e32 v177, 32, v177
	v_subrev_nc_u32_e32 v178, 28, v177
	v_sub_nc_u32_e32 v177, 29, v177
	s_delay_alu instid0(VALU_DEP_2) | instskip(NEXT) | instid1(VALU_DEP_1)
	v_lshlrev_b32_e32 v178, v178, v165
	v_dual_cndmask_b32 v177, v179, v177 :: v_dual_and_b32 v178, 7, v178
	s_delay_alu instid0(VALU_DEP_1) | instskip(NEXT) | instid1(VALU_DEP_2)
	v_lshl_add_u32 v177, v177, 23, 0x3b800000
	v_cndmask_b32_e32 v176, v176, v178, vcc_lo
	v_and_b32_e32 v178, 0x80000000, v19
	s_delay_alu instid0(VALU_DEP_2) | instskip(NEXT) | instid1(VALU_DEP_1)
	v_lshlrev_b32_e32 v176, 20, v176
	v_or3_b32 v176, v178, v177, v176
.LBB4_838:                              ;   in Loop: Header=BB4_394 Depth=4
	s_or_b32 exec_lo, exec_lo, s36
	s_delay_alu instid0(VALU_DEP_1) | instskip(SKIP_1) | instid1(VALU_DEP_1)
	v_dual_max_f32 v176, v176, v176 :: v_dual_max_f32 v167, v167, v167
	s_mov_b32 s13, 0
	v_max_f32_e32 v167, v167, v176
	s_branch .LBB4_840
.LBB4_839:                              ;   in Loop: Header=BB4_394 Depth=4
	s_mov_b32 s13, -1
                                        ; implicit-def: $vgpr167
.LBB4_840:                              ;   in Loop: Header=BB4_394 Depth=4
	s_delay_alu instid0(SALU_CYCLE_1)
	s_and_b32 vcc_lo, exec_lo, s13
	s_cbranch_vccz .LBB4_850
; %bb.841:                              ;   in Loop: Header=BB4_394 Depth=4
	s_mov_b32 s13, 0
	s_mov_b32 s37, exec_lo
                                        ; implicit-def: $sgpr36
	v_cmpx_lt_i16_e64 0x7f, v166
	s_xor_b32 s37, exec_lo, s37
	s_cbranch_execnz .LBB4_1568
; %bb.842:                              ;   in Loop: Header=BB4_394 Depth=4
	s_or_saveexec_b32 s37, s37
	v_mov_b32_e32 v167, s36
	s_xor_b32 exec_lo, exec_lo, s37
	s_cbranch_execnz .LBB4_1571
.LBB4_843:                              ;   in Loop: Header=BB4_394 Depth=4
	s_or_b32 exec_lo, exec_lo, s37
	s_and_saveexec_b32 s36, s13
	s_cbranch_execz .LBB4_845
.LBB4_844:                              ;   in Loop: Header=BB4_394 Depth=4
	v_bfe_u32 v167, v23, 24, 3
	s_delay_alu instid0(VALU_DEP_1) | instskip(NEXT) | instid1(VALU_DEP_1)
	v_clz_i32_u32_e32 v176, v167
	v_min_u32_e32 v176, 32, v176
	s_delay_alu instid0(VALU_DEP_1) | instskip(SKIP_1) | instid1(VALU_DEP_2)
	v_subrev_nc_u32_e32 v177, 28, v176
	v_sub_nc_u32_e32 v176, 29, v176
	v_lshlrev_b32_e32 v166, v177, v166
	v_bfe_u32 v177, v23, 27, 4
	v_and_b32_e32 v23, 0x80000000, v23
	s_delay_alu instid0(VALU_DEP_3) | instskip(NEXT) | instid1(VALU_DEP_3)
	v_and_b32_e32 v166, 7, v166
	v_cmp_eq_u32_e32 vcc_lo, 0, v177
	v_cndmask_b32_e32 v176, v177, v176, vcc_lo
	s_delay_alu instid0(VALU_DEP_3) | instskip(NEXT) | instid1(VALU_DEP_2)
	v_cndmask_b32_e32 v166, v167, v166, vcc_lo
	v_lshl_add_u32 v167, v176, 23, 0x3b800000
	s_delay_alu instid0(VALU_DEP_2) | instskip(NEXT) | instid1(VALU_DEP_1)
	v_lshlrev_b32_e32 v166, 20, v166
	v_or3_b32 v167, v23, v167, v166
.LBB4_845:                              ;   in Loop: Header=BB4_394 Depth=4
	s_or_b32 exec_lo, exec_lo, s36
	s_mov_b32 s13, 0
	s_mov_b32 s37, exec_lo
                                        ; implicit-def: $sgpr36
	v_cmpx_lt_i16_e64 0x7f, v165
	s_xor_b32 s37, exec_lo, s37
	s_cbranch_execnz .LBB4_1572
; %bb.846:                              ;   in Loop: Header=BB4_394 Depth=4
	s_or_saveexec_b32 s37, s37
	v_mov_b32_e32 v23, s36
	s_xor_b32 exec_lo, exec_lo, s37
	s_cbranch_execnz .LBB4_1575
.LBB4_847:                              ;   in Loop: Header=BB4_394 Depth=4
	s_or_b32 exec_lo, exec_lo, s37
	s_and_saveexec_b32 s36, s13
	s_cbranch_execz .LBB4_849
.LBB4_848:                              ;   in Loop: Header=BB4_394 Depth=4
	v_bfe_u32 v23, v19, 24, 3
	s_delay_alu instid0(VALU_DEP_1) | instskip(NEXT) | instid1(VALU_DEP_1)
	v_clz_i32_u32_e32 v166, v23
	v_min_u32_e32 v166, 32, v166
	s_delay_alu instid0(VALU_DEP_1) | instskip(SKIP_1) | instid1(VALU_DEP_2)
	v_subrev_nc_u32_e32 v176, 28, v166
	v_sub_nc_u32_e32 v166, 29, v166
	v_lshlrev_b32_e32 v165, v176, v165
	v_bfe_u32 v176, v19, 27, 4
	v_and_b32_e32 v19, 0x80000000, v19
	s_delay_alu instid0(VALU_DEP_2) | instskip(NEXT) | instid1(VALU_DEP_4)
	v_cmp_eq_u32_e32 vcc_lo, 0, v176
	v_dual_cndmask_b32 v166, v176, v166 :: v_dual_and_b32 v165, 7, v165
	s_delay_alu instid0(VALU_DEP_1) | instskip(NEXT) | instid1(VALU_DEP_2)
	v_cndmask_b32_e32 v23, v23, v165, vcc_lo
	v_lshl_add_u32 v165, v166, 23, 0x3b800000
	s_delay_alu instid0(VALU_DEP_2) | instskip(NEXT) | instid1(VALU_DEP_1)
	v_lshlrev_b32_e32 v23, 20, v23
	v_or3_b32 v23, v19, v165, v23
.LBB4_849:                              ;   in Loop: Header=BB4_394 Depth=4
	s_or_b32 exec_lo, exec_lo, s36
	s_delay_alu instid0(VALU_DEP_1) | instskip(SKIP_1) | instid1(VALU_DEP_1)
	v_max_f32_e32 v19, v23, v23
	v_max_f32_e32 v23, v167, v167
	v_min_f32_e32 v167, v23, v19
.LBB4_850:                              ;   in Loop: Header=BB4_394 Depth=4
	s_delay_alu instid0(VALU_DEP_1) | instskip(NEXT) | instid1(VALU_DEP_1)
	v_and_b32_e32 v19, 0x7f800000, v167
	v_cmp_ne_u32_e32 vcc_lo, 0x7f800000, v19
	v_mov_b32_e32 v19, 0x8000
	s_and_saveexec_b32 s36, vcc_lo
	s_cbranch_execz .LBB4_858
; %bb.851:                              ;   in Loop: Header=BB4_394 Depth=4
	v_mov_b32_e32 v19, 0
	s_mov_b32 s37, exec_lo
	v_cmpx_ne_u32_e32 0, v167
	s_cbranch_execz .LBB4_857
; %bb.852:                              ;   in Loop: Header=BB4_394 Depth=4
	v_bfe_u32 v19, v167, 23, 8
	v_and_b32_e32 v23, 0x7fffff, v167
	s_delay_alu instid0(VALU_DEP_2) | instskip(SKIP_1) | instid1(VALU_DEP_3)
	v_sub_nc_u32_e32 v165, 0x78, v19
	v_cmp_gt_u32_e32 vcc_lo, 0x79, v19
	v_or_b32_e32 v166, 0x800000, v23
	s_delay_alu instid0(VALU_DEP_3) | instskip(SKIP_2) | instid1(VALU_DEP_3)
	v_cndmask_b32_e32 v165, 0, v165, vcc_lo
	v_cmp_eq_u32_e32 vcc_lo, 0, v19
	v_add_nc_u32_e32 v19, 0xffffff89, v19
	v_cndmask_b32_e64 v165, v165, 0x77, vcc_lo
	v_cndmask_b32_e32 v23, v166, v23, vcc_lo
	s_delay_alu instid0(VALU_DEP_3) | instskip(NEXT) | instid1(VALU_DEP_3)
	v_cndmask_b32_e64 v19, v19, 0xffffff8a, vcc_lo
	v_lshl_add_u32 v166, 0x100000, v165, -1
	s_delay_alu instid0(VALU_DEP_3) | instskip(SKIP_1) | instid1(VALU_DEP_4)
	v_lshrrev_b32_e32 v176, v165, v23
	v_lshlrev_b32_e64 v178, v165, 0x80000
	v_add_nc_u32_e32 v165, v165, v19
	s_delay_alu instid0(VALU_DEP_4) | instskip(NEXT) | instid1(VALU_DEP_4)
	v_and_b32_e32 v23, v166, v23
	v_bfe_u32 v177, v176, 20, 1
	s_delay_alu instid0(VALU_DEP_2) | instskip(NEXT) | instid1(VALU_DEP_2)
	v_cmp_eq_u32_e64 s13, v23, v178
	v_add_nc_u32_e32 v166, -1, v177
	s_delay_alu instid0(VALU_DEP_1) | instskip(SKIP_2) | instid1(VALU_DEP_2)
	v_cndmask_b32_e64 v23, 0, v166, s13
	v_lshrrev_b32_e32 v166, 23, v176
	s_mov_b32 s13, exec_lo
	v_add_nc_u32_e32 v23, v23, v176
	s_delay_alu instid0(VALU_DEP_2) | instskip(NEXT) | instid1(VALU_DEP_2)
	v_xor_b32_e32 v166, 1, v166
	v_and_b32_e32 v19, 0xfffff, v23
	s_delay_alu instid0(VALU_DEP_1) | instskip(NEXT) | instid1(VALU_DEP_3)
	v_add_nc_u32_e32 v23, v19, v176
                                        ; implicit-def: $vgpr19
	v_cmpx_ne_u32_e64 v165, v166
	s_xor_b32 s13, exec_lo, s13
; %bb.853:                              ;   in Loop: Header=BB4_394 Depth=4
	s_delay_alu instid0(VALU_DEP_2) | instskip(SKIP_2) | instid1(VALU_DEP_2)
	v_cmp_lt_u32_e32 vcc_lo, 0xffffff, v23
	v_sub_nc_u32_e32 v19, v165, v166
	v_cndmask_b32_e64 v165, 0, 1, vcc_lo
	v_add_co_ci_u32_e32 v19, vcc_lo, 0, v19, vcc_lo
	s_delay_alu instid0(VALU_DEP_2)
	v_lshrrev_b32_e32 v23, v165, v23
; %bb.854:                              ;   in Loop: Header=BB4_394 Depth=4
	s_and_not1_saveexec_b32 s13, s13
; %bb.855:                              ;   in Loop: Header=BB4_394 Depth=4
	s_delay_alu instid0(VALU_DEP_1)
	v_bfe_u32 v19, v23, 23, 1
; %bb.856:                              ;   in Loop: Header=BB4_394 Depth=4
	s_or_b32 exec_lo, exec_lo, s13
	v_lshrrev_b32_e32 v23, 20, v23
	s_delay_alu instid0(VALU_DEP_2) | instskip(SKIP_2) | instid1(VALU_DEP_3)
	v_min_i32_e32 v165, 15, v19
	v_cmp_gt_i32_e32 vcc_lo, 16, v19
	v_lshrrev_b32_e32 v166, 24, v167
	v_lshlrev_b32_e32 v165, 3, v165
	s_delay_alu instid0(VALU_DEP_2) | instskip(NEXT) | instid1(VALU_DEP_2)
	v_dual_cndmask_b32 v23, 7, v23 :: v_dual_and_b32 v166, 0x80, v166
	v_and_b32_e32 v165, 0xf8, v165
	s_delay_alu instid0(VALU_DEP_2) | instskip(SKIP_1) | instid1(VALU_DEP_2)
	v_and_b32_e32 v167, 7, v23
	v_or_b32_e32 v19, v19, v23
	v_or3_b32 v165, v166, v165, v167
	s_delay_alu instid0(VALU_DEP_2) | instskip(NEXT) | instid1(VALU_DEP_2)
	v_cmp_ne_u32_e32 vcc_lo, 0, v19
	v_lshlrev_b32_e32 v23, 8, v165
	s_delay_alu instid0(VALU_DEP_1)
	v_cndmask_b32_e32 v19, 0, v23, vcc_lo
.LBB4_857:                              ;   in Loop: Header=BB4_394 Depth=4
	s_or_b32 exec_lo, exec_lo, s37
.LBB4_858:                              ;   in Loop: Header=BB4_394 Depth=4
	s_delay_alu instid0(SALU_CYCLE_1) | instskip(SKIP_2) | instid1(VALU_DEP_1)
	s_or_b32 exec_lo, exec_lo, s36
	v_and_b32_e32 v23, 0xff, v12
	s_and_not1_b32 vcc_lo, exec_lo, s35
	v_cmp_lt_i16_e64 s13, 0x7f, v23
	s_cbranch_vccnz .LBB4_868
; %bb.859:                              ;   in Loop: Header=BB4_394 Depth=4
	s_mov_b32 s36, 0
                                        ; implicit-def: $sgpr37
	s_delay_alu instid0(VALU_DEP_1) | instskip(NEXT) | instid1(SALU_CYCLE_1)
	s_and_saveexec_b32 vcc_lo, s13
	s_xor_b32 s13, exec_lo, vcc_lo
	s_cbranch_execnz .LBB4_1576
; %bb.860:                              ;   in Loop: Header=BB4_394 Depth=4
	s_or_saveexec_b32 s13, s13
	v_mov_b32_e32 v165, s37
	s_xor_b32 exec_lo, exec_lo, s13
	s_cbranch_execnz .LBB4_1579
.LBB4_861:                              ;   in Loop: Header=BB4_394 Depth=4
	s_or_b32 exec_lo, exec_lo, s13
	s_and_saveexec_b32 s13, s36
	s_cbranch_execz .LBB4_863
.LBB4_862:                              ;   in Loop: Header=BB4_394 Depth=4
	v_bfe_u32 v176, v12, 3, 4
	v_lshlrev_b32_e32 v177, 24, v12
	s_delay_alu instid0(VALU_DEP_2) | instskip(SKIP_1) | instid1(VALU_DEP_1)
	v_cmp_eq_u32_e32 vcc_lo, 0, v176
	v_and_b32_e32 v165, 7, v12
	v_clz_i32_u32_e32 v166, v165
	s_delay_alu instid0(VALU_DEP_1) | instskip(NEXT) | instid1(VALU_DEP_1)
	v_min_u32_e32 v166, 32, v166
	v_subrev_nc_u32_e32 v167, 28, v166
	v_sub_nc_u32_e32 v166, 29, v166
	s_delay_alu instid0(VALU_DEP_1) | instskip(NEXT) | instid1(VALU_DEP_1)
	v_dual_cndmask_b32 v166, v176, v166 :: v_dual_lshlrev_b32 v167, v167, v12
	v_and_b32_e32 v167, 7, v167
	s_delay_alu instid0(VALU_DEP_2) | instskip(NEXT) | instid1(VALU_DEP_2)
	v_lshl_add_u32 v166, v166, 23, 0x3b800000
	v_cndmask_b32_e32 v165, v165, v167, vcc_lo
	v_and_b32_e32 v167, 0x80000000, v177
	s_delay_alu instid0(VALU_DEP_2) | instskip(NEXT) | instid1(VALU_DEP_1)
	v_lshlrev_b32_e32 v165, 20, v165
	v_or3_b32 v165, v167, v166, v165
.LBB4_863:                              ;   in Loop: Header=BB4_394 Depth=4
	s_or_b32 exec_lo, exec_lo, s13
	s_waitcnt vmcnt(0)
	v_and_b32_e32 v167, 0xff, v8
	s_mov_b32 s13, 0
	s_mov_b32 s37, exec_lo
                                        ; implicit-def: $sgpr36
	s_delay_alu instid0(VALU_DEP_1)
	v_cmpx_lt_i16_e64 0x7f, v167
	s_xor_b32 s37, exec_lo, s37
	s_cbranch_execnz .LBB4_1580
; %bb.864:                              ;   in Loop: Header=BB4_394 Depth=4
	s_or_saveexec_b32 s37, s37
	v_mov_b32_e32 v166, s36
	s_xor_b32 exec_lo, exec_lo, s37
	s_cbranch_execnz .LBB4_1583
.LBB4_865:                              ;   in Loop: Header=BB4_394 Depth=4
	s_or_b32 exec_lo, exec_lo, s37
	s_and_saveexec_b32 s36, s13
	s_cbranch_execz .LBB4_867
.LBB4_866:                              ;   in Loop: Header=BB4_394 Depth=4
	v_bfe_u32 v177, v8, 3, 4
	v_lshlrev_b32_e32 v178, 24, v8
	s_delay_alu instid0(VALU_DEP_2) | instskip(SKIP_1) | instid1(VALU_DEP_1)
	v_cmp_eq_u32_e32 vcc_lo, 0, v177
	v_and_b32_e32 v166, 7, v8
	v_clz_i32_u32_e32 v167, v166
	s_delay_alu instid0(VALU_DEP_1) | instskip(NEXT) | instid1(VALU_DEP_1)
	v_min_u32_e32 v167, 32, v167
	v_subrev_nc_u32_e32 v176, 28, v167
	v_sub_nc_u32_e32 v167, 29, v167
	s_delay_alu instid0(VALU_DEP_1) | instskip(NEXT) | instid1(VALU_DEP_1)
	v_dual_cndmask_b32 v167, v177, v167 :: v_dual_lshlrev_b32 v176, v176, v8
	v_and_b32_e32 v176, 7, v176
	s_delay_alu instid0(VALU_DEP_2) | instskip(NEXT) | instid1(VALU_DEP_2)
	v_lshl_add_u32 v167, v167, 23, 0x3b800000
	v_cndmask_b32_e32 v166, v166, v176, vcc_lo
	v_and_b32_e32 v176, 0x80000000, v178
	s_delay_alu instid0(VALU_DEP_2) | instskip(NEXT) | instid1(VALU_DEP_1)
	v_lshlrev_b32_e32 v166, 20, v166
	v_or3_b32 v166, v176, v167, v166
.LBB4_867:                              ;   in Loop: Header=BB4_394 Depth=4
	s_or_b32 exec_lo, exec_lo, s36
	s_delay_alu instid0(VALU_DEP_1) | instskip(SKIP_1) | instid1(VALU_DEP_1)
	v_dual_max_f32 v166, v166, v166 :: v_dual_max_f32 v165, v165, v165
	s_mov_b32 s13, 0
	v_max_f32_e32 v165, v165, v166
	s_branch .LBB4_869
.LBB4_868:                              ;   in Loop: Header=BB4_394 Depth=4
	s_mov_b32 s13, -1
                                        ; implicit-def: $vgpr165
.LBB4_869:                              ;   in Loop: Header=BB4_394 Depth=4
	s_delay_alu instid0(SALU_CYCLE_1)
	s_and_b32 vcc_lo, exec_lo, s13
	s_cbranch_vccz .LBB4_879
; %bb.870:                              ;   in Loop: Header=BB4_394 Depth=4
	s_mov_b32 s13, 0
	s_mov_b32 s37, exec_lo
                                        ; implicit-def: $sgpr36
	v_cmpx_lt_i16_e32 0x7f, v23
	s_xor_b32 s37, exec_lo, s37
	s_cbranch_execnz .LBB4_1584
; %bb.871:                              ;   in Loop: Header=BB4_394 Depth=4
	s_or_saveexec_b32 s37, s37
	v_mov_b32_e32 v165, s36
	s_xor_b32 exec_lo, exec_lo, s37
	s_cbranch_execnz .LBB4_1587
.LBB4_872:                              ;   in Loop: Header=BB4_394 Depth=4
	s_or_b32 exec_lo, exec_lo, s37
	s_and_saveexec_b32 s36, s13
	s_cbranch_execz .LBB4_874
.LBB4_873:                              ;   in Loop: Header=BB4_394 Depth=4
	v_and_b32_e32 v23, 7, v12
	v_bfe_u32 v167, v12, 3, 4
	s_delay_alu instid0(VALU_DEP_2) | instskip(NEXT) | instid1(VALU_DEP_2)
	v_clz_i32_u32_e32 v165, v23
	v_cmp_eq_u32_e32 vcc_lo, 0, v167
	s_delay_alu instid0(VALU_DEP_2) | instskip(NEXT) | instid1(VALU_DEP_1)
	v_min_u32_e32 v165, 32, v165
	v_subrev_nc_u32_e32 v166, 28, v165
	v_sub_nc_u32_e32 v165, 29, v165
	s_delay_alu instid0(VALU_DEP_1) | instskip(NEXT) | instid1(VALU_DEP_1)
	v_dual_cndmask_b32 v165, v167, v165 :: v_dual_lshlrev_b32 v166, v166, v12
	v_and_b32_e32 v166, 7, v166
	v_lshlrev_b32_e32 v176, 24, v12
	s_delay_alu instid0(VALU_DEP_3) | instskip(NEXT) | instid1(VALU_DEP_2)
	v_lshl_add_u32 v165, v165, 23, 0x3b800000
	v_dual_cndmask_b32 v23, v23, v166 :: v_dual_and_b32 v166, 0x80000000, v176
	s_delay_alu instid0(VALU_DEP_1) | instskip(NEXT) | instid1(VALU_DEP_1)
	v_lshlrev_b32_e32 v23, 20, v23
	v_or3_b32 v165, v166, v165, v23
.LBB4_874:                              ;   in Loop: Header=BB4_394 Depth=4
	s_or_b32 exec_lo, exec_lo, s36
	s_waitcnt vmcnt(0)
	v_and_b32_e32 v166, 0xff, v8
	s_mov_b32 s13, 0
	s_mov_b32 s37, exec_lo
                                        ; implicit-def: $sgpr36
	s_delay_alu instid0(VALU_DEP_1)
	v_cmpx_lt_i16_e64 0x7f, v166
	s_xor_b32 s37, exec_lo, s37
	s_cbranch_execnz .LBB4_1588
; %bb.875:                              ;   in Loop: Header=BB4_394 Depth=4
	s_or_saveexec_b32 s37, s37
	v_mov_b32_e32 v23, s36
	s_xor_b32 exec_lo, exec_lo, s37
	s_cbranch_execnz .LBB4_1591
.LBB4_876:                              ;   in Loop: Header=BB4_394 Depth=4
	s_or_b32 exec_lo, exec_lo, s37
	s_and_saveexec_b32 s36, s13
	s_cbranch_execz .LBB4_878
.LBB4_877:                              ;   in Loop: Header=BB4_394 Depth=4
	v_bfe_u32 v176, v8, 3, 4
	v_lshlrev_b32_e32 v177, 24, v8
	s_delay_alu instid0(VALU_DEP_2) | instskip(SKIP_1) | instid1(VALU_DEP_1)
	v_cmp_eq_u32_e32 vcc_lo, 0, v176
	v_and_b32_e32 v23, 7, v8
	v_clz_i32_u32_e32 v166, v23
	s_delay_alu instid0(VALU_DEP_1) | instskip(NEXT) | instid1(VALU_DEP_1)
	v_min_u32_e32 v166, 32, v166
	v_subrev_nc_u32_e32 v167, 28, v166
	v_sub_nc_u32_e32 v166, 29, v166
	s_delay_alu instid0(VALU_DEP_1) | instskip(NEXT) | instid1(VALU_DEP_1)
	v_dual_cndmask_b32 v166, v176, v166 :: v_dual_lshlrev_b32 v167, v167, v8
	v_and_b32_e32 v167, 7, v167
	s_delay_alu instid0(VALU_DEP_2) | instskip(NEXT) | instid1(VALU_DEP_2)
	v_lshl_add_u32 v166, v166, 23, 0x3b800000
	v_cndmask_b32_e32 v23, v23, v167, vcc_lo
	v_and_b32_e32 v167, 0x80000000, v177
	s_delay_alu instid0(VALU_DEP_2) | instskip(NEXT) | instid1(VALU_DEP_1)
	v_lshlrev_b32_e32 v23, 20, v23
	v_or3_b32 v23, v167, v166, v23
.LBB4_878:                              ;   in Loop: Header=BB4_394 Depth=4
	s_or_b32 exec_lo, exec_lo, s36
	s_delay_alu instid0(VALU_DEP_1) | instskip(SKIP_1) | instid1(VALU_DEP_1)
	v_max_f32_e32 v23, v23, v23
	v_max_f32_e32 v165, v165, v165
	v_min_f32_e32 v165, v165, v23
.LBB4_879:                              ;   in Loop: Header=BB4_394 Depth=4
	s_delay_alu instid0(VALU_DEP_1) | instskip(NEXT) | instid1(VALU_DEP_1)
	v_and_b32_e32 v23, 0x7f800000, v165
	v_cmp_ne_u32_e32 vcc_lo, 0x7f800000, v23
	v_mov_b32_e32 v23, 0x80
	s_and_saveexec_b32 s36, vcc_lo
	s_cbranch_execz .LBB4_887
; %bb.880:                              ;   in Loop: Header=BB4_394 Depth=4
	v_mov_b32_e32 v23, 0
	s_mov_b32 s37, exec_lo
	v_cmpx_ne_u32_e32 0, v165
	s_cbranch_execz .LBB4_886
; %bb.881:                              ;   in Loop: Header=BB4_394 Depth=4
	v_bfe_u32 v23, v165, 23, 8
	s_delay_alu instid0(VALU_DEP_1) | instskip(SKIP_1) | instid1(VALU_DEP_2)
	v_sub_nc_u32_e32 v167, 0x78, v23
	v_cmp_gt_u32_e32 vcc_lo, 0x79, v23
	v_dual_cndmask_b32 v167, 0, v167 :: v_dual_and_b32 v166, 0x7fffff, v165
	s_delay_alu instid0(VALU_DEP_1) | instskip(SKIP_2) | instid1(VALU_DEP_4)
	v_or_b32_e32 v176, 0x800000, v166
	v_cmp_eq_u32_e32 vcc_lo, 0, v23
	v_add_nc_u32_e32 v23, 0xffffff89, v23
	v_cndmask_b32_e64 v167, v167, 0x77, vcc_lo
	s_delay_alu instid0(VALU_DEP_4) | instskip(NEXT) | instid1(VALU_DEP_3)
	v_cndmask_b32_e32 v166, v176, v166, vcc_lo
	v_cndmask_b32_e64 v23, v23, 0xffffff8a, vcc_lo
	s_delay_alu instid0(VALU_DEP_3) | instskip(NEXT) | instid1(VALU_DEP_3)
	v_lshl_add_u32 v176, 0x100000, v167, -1
	v_lshrrev_b32_e32 v177, v167, v166
	v_lshlrev_b32_e64 v179, v167, 0x80000
	s_delay_alu instid0(VALU_DEP_4) | instskip(NEXT) | instid1(VALU_DEP_4)
	v_add_nc_u32_e32 v167, v167, v23
	v_and_b32_e32 v166, v176, v166
	s_delay_alu instid0(VALU_DEP_4) | instskip(NEXT) | instid1(VALU_DEP_2)
	v_bfe_u32 v178, v177, 20, 1
	v_cmp_eq_u32_e64 s13, v166, v179
	s_delay_alu instid0(VALU_DEP_2) | instskip(NEXT) | instid1(VALU_DEP_1)
	v_add_nc_u32_e32 v176, -1, v178
	v_cndmask_b32_e64 v166, 0, v176, s13
	v_lshrrev_b32_e32 v176, 23, v177
	s_mov_b32 s13, exec_lo
	s_delay_alu instid0(VALU_DEP_2) | instskip(NEXT) | instid1(VALU_DEP_2)
	v_add_nc_u32_e32 v166, v166, v177
	v_xor_b32_e32 v176, 1, v176
	s_delay_alu instid0(VALU_DEP_2) | instskip(NEXT) | instid1(VALU_DEP_1)
	v_and_b32_e32 v23, 0xfffff, v166
	v_add_nc_u32_e32 v166, v23, v177
                                        ; implicit-def: $vgpr23
	s_delay_alu instid0(VALU_DEP_3)
	v_cmpx_ne_u32_e64 v167, v176
	s_xor_b32 s13, exec_lo, s13
; %bb.882:                              ;   in Loop: Header=BB4_394 Depth=4
	s_delay_alu instid0(VALU_DEP_2) | instskip(SKIP_2) | instid1(VALU_DEP_2)
	v_cmp_lt_u32_e32 vcc_lo, 0xffffff, v166
	v_sub_nc_u32_e32 v23, v167, v176
	v_cndmask_b32_e64 v167, 0, 1, vcc_lo
	v_add_co_ci_u32_e32 v23, vcc_lo, 0, v23, vcc_lo
	s_delay_alu instid0(VALU_DEP_2)
	v_lshrrev_b32_e32 v166, v167, v166
; %bb.883:                              ;   in Loop: Header=BB4_394 Depth=4
	s_and_not1_saveexec_b32 s13, s13
; %bb.884:                              ;   in Loop: Header=BB4_394 Depth=4
	s_delay_alu instid0(VALU_DEP_1)
	v_bfe_u32 v23, v166, 23, 1
; %bb.885:                              ;   in Loop: Header=BB4_394 Depth=4
	s_or_b32 exec_lo, exec_lo, s13
	v_lshrrev_b32_e32 v166, 20, v166
	s_delay_alu instid0(VALU_DEP_2) | instskip(SKIP_2) | instid1(VALU_DEP_2)
	v_cmp_gt_i32_e32 vcc_lo, 16, v23
	v_lshrrev_b32_e32 v165, 24, v165
	v_min_i32_e32 v167, 15, v23
	v_dual_cndmask_b32 v166, 7, v166 :: v_dual_and_b32 v165, 0x80, v165
	s_delay_alu instid0(VALU_DEP_2) | instskip(NEXT) | instid1(VALU_DEP_2)
	v_lshlrev_b32_e32 v167, 3, v167
	v_or_b32_e32 v23, v23, v166
	s_delay_alu instid0(VALU_DEP_1) | instskip(SKIP_1) | instid1(VALU_DEP_1)
	v_cmp_ne_u32_e32 vcc_lo, 0, v23
	v_and_b32_e32 v176, 7, v166
	v_or3_b32 v165, v167, v165, v176
	s_delay_alu instid0(VALU_DEP_1)
	v_cndmask_b32_e32 v23, 0, v165, vcc_lo
.LBB4_886:                              ;   in Loop: Header=BB4_394 Depth=4
	s_or_b32 exec_lo, exec_lo, s37
.LBB4_887:                              ;   in Loop: Header=BB4_394 Depth=4
	s_delay_alu instid0(SALU_CYCLE_1) | instskip(SKIP_4) | instid1(VALU_DEP_2)
	s_or_b32 exec_lo, exec_lo, s36
	v_lshrrev_b16 v166, 8, v12
	s_waitcnt vmcnt(0)
	v_lshrrev_b16 v165, 8, v8
	s_and_not1_b32 vcc_lo, exec_lo, s35
	v_cmp_lt_i16_e64 s13, 0x7f, v166
	s_cbranch_vccnz .LBB4_897
; %bb.888:                              ;   in Loop: Header=BB4_394 Depth=4
	s_mov_b32 s36, 0
                                        ; implicit-def: $sgpr37
	s_delay_alu instid0(VALU_DEP_1) | instskip(NEXT) | instid1(SALU_CYCLE_1)
	s_and_saveexec_b32 vcc_lo, s13
	s_xor_b32 s13, exec_lo, vcc_lo
	s_cbranch_execnz .LBB4_1592
; %bb.889:                              ;   in Loop: Header=BB4_394 Depth=4
	s_or_saveexec_b32 s13, s13
	v_mov_b32_e32 v167, s37
	s_xor_b32 exec_lo, exec_lo, s13
	s_cbranch_execnz .LBB4_1595
.LBB4_890:                              ;   in Loop: Header=BB4_394 Depth=4
	s_or_b32 exec_lo, exec_lo, s13
	s_and_saveexec_b32 s13, s36
	s_cbranch_execz .LBB4_892
.LBB4_891:                              ;   in Loop: Header=BB4_394 Depth=4
	v_and_b32_e32 v167, 0xffff, v166
	s_delay_alu instid0(VALU_DEP_1) | instskip(NEXT) | instid1(VALU_DEP_1)
	v_and_b32_e32 v176, 7, v167
	v_clz_i32_u32_e32 v177, v176
	s_delay_alu instid0(VALU_DEP_1) | instskip(NEXT) | instid1(VALU_DEP_1)
	v_min_u32_e32 v177, 32, v177
	v_subrev_nc_u32_e32 v178, 28, v177
	v_sub_nc_u32_e32 v177, 29, v177
	s_delay_alu instid0(VALU_DEP_2) | instskip(SKIP_1) | instid1(VALU_DEP_2)
	v_lshlrev_b32_e32 v178, v178, v167
	v_bfe_u32 v167, v167, 3, 4
	v_and_b32_e32 v178, 7, v178
	s_delay_alu instid0(VALU_DEP_2) | instskip(SKIP_1) | instid1(VALU_DEP_3)
	v_cmp_eq_u32_e32 vcc_lo, 0, v167
	v_cndmask_b32_e32 v167, v167, v177, vcc_lo
	v_dual_cndmask_b32 v176, v176, v178 :: v_dual_lshlrev_b32 v179, 16, v12
	s_delay_alu instid0(VALU_DEP_2) | instskip(NEXT) | instid1(VALU_DEP_2)
	v_lshl_add_u32 v167, v167, 23, 0x3b800000
	v_and_b32_e32 v177, 0x80000000, v179
	s_delay_alu instid0(VALU_DEP_3) | instskip(NEXT) | instid1(VALU_DEP_1)
	v_lshlrev_b32_e32 v176, 20, v176
	v_or3_b32 v167, v177, v167, v176
.LBB4_892:                              ;   in Loop: Header=BB4_394 Depth=4
	s_or_b32 exec_lo, exec_lo, s13
	s_mov_b32 s13, 0
	s_mov_b32 s37, exec_lo
                                        ; implicit-def: $sgpr36
	v_cmpx_lt_i16_e64 0x7f, v165
	s_xor_b32 s37, exec_lo, s37
	s_cbranch_execnz .LBB4_1596
; %bb.893:                              ;   in Loop: Header=BB4_394 Depth=4
	s_or_saveexec_b32 s37, s37
	v_mov_b32_e32 v176, s36
	s_xor_b32 exec_lo, exec_lo, s37
	s_cbranch_execnz .LBB4_1599
.LBB4_894:                              ;   in Loop: Header=BB4_394 Depth=4
	s_or_b32 exec_lo, exec_lo, s37
	s_and_saveexec_b32 s36, s13
	s_cbranch_execz .LBB4_896
.LBB4_895:                              ;   in Loop: Header=BB4_394 Depth=4
	v_and_b32_e32 v176, 0xffff, v165
	v_lshlrev_b32_e32 v180, 16, v8
	s_delay_alu instid0(VALU_DEP_2) | instskip(NEXT) | instid1(VALU_DEP_1)
	v_and_b32_e32 v177, 7, v176
	v_clz_i32_u32_e32 v178, v177
	s_delay_alu instid0(VALU_DEP_1) | instskip(NEXT) | instid1(VALU_DEP_1)
	v_min_u32_e32 v178, 32, v178
	v_subrev_nc_u32_e32 v179, 28, v178
	v_sub_nc_u32_e32 v178, 29, v178
	s_delay_alu instid0(VALU_DEP_2) | instskip(SKIP_1) | instid1(VALU_DEP_2)
	v_lshlrev_b32_e32 v179, v179, v176
	v_bfe_u32 v176, v176, 3, 4
	v_and_b32_e32 v179, 7, v179
	s_delay_alu instid0(VALU_DEP_2) | instskip(NEXT) | instid1(VALU_DEP_2)
	v_cmp_eq_u32_e32 vcc_lo, 0, v176
	v_dual_cndmask_b32 v176, v176, v178 :: v_dual_cndmask_b32 v177, v177, v179
	v_and_b32_e32 v178, 0x80000000, v180
	s_delay_alu instid0(VALU_DEP_2) | instskip(NEXT) | instid1(VALU_DEP_3)
	v_lshl_add_u32 v176, v176, 23, 0x3b800000
	v_lshlrev_b32_e32 v177, 20, v177
	s_delay_alu instid0(VALU_DEP_1)
	v_or3_b32 v176, v178, v176, v177
.LBB4_896:                              ;   in Loop: Header=BB4_394 Depth=4
	s_or_b32 exec_lo, exec_lo, s36
	s_delay_alu instid0(VALU_DEP_1) | instskip(SKIP_1) | instid1(VALU_DEP_1)
	v_dual_max_f32 v176, v176, v176 :: v_dual_max_f32 v167, v167, v167
	s_mov_b32 s13, 0
	v_max_f32_e32 v167, v167, v176
	s_branch .LBB4_898
.LBB4_897:                              ;   in Loop: Header=BB4_394 Depth=4
	s_mov_b32 s13, -1
                                        ; implicit-def: $vgpr167
.LBB4_898:                              ;   in Loop: Header=BB4_394 Depth=4
	s_delay_alu instid0(SALU_CYCLE_1)
	s_and_b32 vcc_lo, exec_lo, s13
	s_cbranch_vccz .LBB4_908
; %bb.899:                              ;   in Loop: Header=BB4_394 Depth=4
	s_mov_b32 s13, 0
	s_mov_b32 s37, exec_lo
                                        ; implicit-def: $sgpr36
	v_cmpx_lt_i16_e64 0x7f, v166
	s_xor_b32 s37, exec_lo, s37
	s_cbranch_execnz .LBB4_1600
; %bb.900:                              ;   in Loop: Header=BB4_394 Depth=4
	s_or_saveexec_b32 s37, s37
	v_mov_b32_e32 v167, s36
	s_xor_b32 exec_lo, exec_lo, s37
	s_cbranch_execnz .LBB4_1603
.LBB4_901:                              ;   in Loop: Header=BB4_394 Depth=4
	s_or_b32 exec_lo, exec_lo, s37
	s_and_saveexec_b32 s36, s13
	s_cbranch_execz .LBB4_903
.LBB4_902:                              ;   in Loop: Header=BB4_394 Depth=4
	v_and_b32_e32 v166, 0xffff, v166
	v_lshlrev_b32_e32 v178, 16, v12
	s_delay_alu instid0(VALU_DEP_2) | instskip(NEXT) | instid1(VALU_DEP_1)
	v_and_b32_e32 v167, 7, v166
	v_clz_i32_u32_e32 v176, v167
	s_delay_alu instid0(VALU_DEP_1) | instskip(NEXT) | instid1(VALU_DEP_1)
	v_min_u32_e32 v176, 32, v176
	v_subrev_nc_u32_e32 v177, 28, v176
	v_sub_nc_u32_e32 v176, 29, v176
	s_delay_alu instid0(VALU_DEP_2) | instskip(SKIP_1) | instid1(VALU_DEP_2)
	v_lshlrev_b32_e32 v177, v177, v166
	v_bfe_u32 v166, v166, 3, 4
	v_and_b32_e32 v177, 7, v177
	s_delay_alu instid0(VALU_DEP_2) | instskip(NEXT) | instid1(VALU_DEP_2)
	v_cmp_eq_u32_e32 vcc_lo, 0, v166
	v_dual_cndmask_b32 v166, v166, v176 :: v_dual_cndmask_b32 v167, v167, v177
	v_and_b32_e32 v176, 0x80000000, v178
	s_delay_alu instid0(VALU_DEP_2) | instskip(NEXT) | instid1(VALU_DEP_3)
	v_lshl_add_u32 v166, v166, 23, 0x3b800000
	v_lshlrev_b32_e32 v167, 20, v167
	s_delay_alu instid0(VALU_DEP_1)
	v_or3_b32 v167, v176, v166, v167
.LBB4_903:                              ;   in Loop: Header=BB4_394 Depth=4
	s_or_b32 exec_lo, exec_lo, s36
	s_mov_b32 s13, 0
	s_mov_b32 s37, exec_lo
                                        ; implicit-def: $sgpr36
	v_cmpx_lt_i16_e64 0x7f, v165
	s_xor_b32 s37, exec_lo, s37
	s_cbranch_execnz .LBB4_1604
; %bb.904:                              ;   in Loop: Header=BB4_394 Depth=4
	s_or_saveexec_b32 s37, s37
	v_mov_b32_e32 v166, s36
	s_xor_b32 exec_lo, exec_lo, s37
	s_cbranch_execnz .LBB4_1607
.LBB4_905:                              ;   in Loop: Header=BB4_394 Depth=4
	s_or_b32 exec_lo, exec_lo, s37
	s_and_saveexec_b32 s36, s13
	s_cbranch_execz .LBB4_907
.LBB4_906:                              ;   in Loop: Header=BB4_394 Depth=4
	v_and_b32_e32 v165, 0xffff, v165
	v_lshlrev_b32_e32 v178, 16, v8
	s_delay_alu instid0(VALU_DEP_2) | instskip(NEXT) | instid1(VALU_DEP_1)
	v_and_b32_e32 v166, 7, v165
	v_clz_i32_u32_e32 v176, v166
	s_delay_alu instid0(VALU_DEP_1) | instskip(NEXT) | instid1(VALU_DEP_1)
	v_min_u32_e32 v176, 32, v176
	v_subrev_nc_u32_e32 v177, 28, v176
	v_sub_nc_u32_e32 v176, 29, v176
	s_delay_alu instid0(VALU_DEP_2) | instskip(SKIP_1) | instid1(VALU_DEP_2)
	v_lshlrev_b32_e32 v177, v177, v165
	v_bfe_u32 v165, v165, 3, 4
	v_and_b32_e32 v177, 7, v177
	s_delay_alu instid0(VALU_DEP_2) | instskip(NEXT) | instid1(VALU_DEP_2)
	v_cmp_eq_u32_e32 vcc_lo, 0, v165
	v_dual_cndmask_b32 v165, v165, v176 :: v_dual_cndmask_b32 v166, v166, v177
	v_and_b32_e32 v176, 0x80000000, v178
	s_delay_alu instid0(VALU_DEP_2) | instskip(NEXT) | instid1(VALU_DEP_3)
	v_lshl_add_u32 v165, v165, 23, 0x3b800000
	v_lshlrev_b32_e32 v166, 20, v166
	s_delay_alu instid0(VALU_DEP_1)
	v_or3_b32 v166, v176, v165, v166
.LBB4_907:                              ;   in Loop: Header=BB4_394 Depth=4
	s_or_b32 exec_lo, exec_lo, s36
	s_delay_alu instid0(VALU_DEP_1) | instskip(NEXT) | instid1(VALU_DEP_1)
	v_dual_max_f32 v165, v166, v166 :: v_dual_max_f32 v166, v167, v167
	v_min_f32_e32 v167, v166, v165
.LBB4_908:                              ;   in Loop: Header=BB4_394 Depth=4
	s_delay_alu instid0(VALU_DEP_1) | instskip(NEXT) | instid1(VALU_DEP_1)
	v_and_b32_e32 v165, 0x7f800000, v167
	v_cmp_ne_u32_e32 vcc_lo, 0x7f800000, v165
	v_mov_b32_e32 v165, 0x80
	s_and_saveexec_b32 s36, vcc_lo
	s_cbranch_execz .LBB4_916
; %bb.909:                              ;   in Loop: Header=BB4_394 Depth=4
	v_mov_b32_e32 v165, 0
	s_mov_b32 s37, exec_lo
	v_cmpx_ne_u32_e32 0, v167
	s_cbranch_execz .LBB4_915
; %bb.910:                              ;   in Loop: Header=BB4_394 Depth=4
	v_bfe_u32 v165, v167, 23, 8
	v_and_b32_e32 v166, 0x7fffff, v167
	s_delay_alu instid0(VALU_DEP_2) | instskip(SKIP_1) | instid1(VALU_DEP_3)
	v_sub_nc_u32_e32 v176, 0x78, v165
	v_cmp_gt_u32_e32 vcc_lo, 0x79, v165
	v_or_b32_e32 v177, 0x800000, v166
	s_delay_alu instid0(VALU_DEP_3) | instskip(SKIP_2) | instid1(VALU_DEP_3)
	v_cndmask_b32_e32 v176, 0, v176, vcc_lo
	v_cmp_eq_u32_e32 vcc_lo, 0, v165
	v_add_nc_u32_e32 v165, 0xffffff89, v165
	v_cndmask_b32_e64 v176, v176, 0x77, vcc_lo
	v_cndmask_b32_e32 v166, v177, v166, vcc_lo
	s_delay_alu instid0(VALU_DEP_3) | instskip(NEXT) | instid1(VALU_DEP_3)
	v_cndmask_b32_e64 v165, v165, 0xffffff8a, vcc_lo
	v_lshl_add_u32 v177, 0x100000, v176, -1
	s_delay_alu instid0(VALU_DEP_3) | instskip(SKIP_1) | instid1(VALU_DEP_4)
	v_lshrrev_b32_e32 v178, v176, v166
	v_lshlrev_b32_e64 v180, v176, 0x80000
	v_add_nc_u32_e32 v176, v176, v165
	s_delay_alu instid0(VALU_DEP_4) | instskip(NEXT) | instid1(VALU_DEP_4)
	v_and_b32_e32 v166, v177, v166
	v_bfe_u32 v179, v178, 20, 1
	s_delay_alu instid0(VALU_DEP_2) | instskip(NEXT) | instid1(VALU_DEP_2)
	v_cmp_eq_u32_e64 s13, v166, v180
	v_add_nc_u32_e32 v177, -1, v179
	s_delay_alu instid0(VALU_DEP_1) | instskip(SKIP_2) | instid1(VALU_DEP_2)
	v_cndmask_b32_e64 v166, 0, v177, s13
	v_lshrrev_b32_e32 v177, 23, v178
	s_mov_b32 s13, exec_lo
	v_add_nc_u32_e32 v166, v166, v178
	s_delay_alu instid0(VALU_DEP_2) | instskip(NEXT) | instid1(VALU_DEP_2)
	v_xor_b32_e32 v177, 1, v177
	v_and_b32_e32 v165, 0xfffff, v166
	s_delay_alu instid0(VALU_DEP_1) | instskip(NEXT) | instid1(VALU_DEP_3)
	v_add_nc_u32_e32 v166, v165, v178
                                        ; implicit-def: $vgpr165
	v_cmpx_ne_u32_e64 v176, v177
	s_xor_b32 s13, exec_lo, s13
; %bb.911:                              ;   in Loop: Header=BB4_394 Depth=4
	s_delay_alu instid0(VALU_DEP_2) | instskip(SKIP_2) | instid1(VALU_DEP_2)
	v_cmp_lt_u32_e32 vcc_lo, 0xffffff, v166
	v_sub_nc_u32_e32 v165, v176, v177
	v_cndmask_b32_e64 v176, 0, 1, vcc_lo
	v_add_co_ci_u32_e32 v165, vcc_lo, 0, v165, vcc_lo
	s_delay_alu instid0(VALU_DEP_2)
	v_lshrrev_b32_e32 v166, v176, v166
; %bb.912:                              ;   in Loop: Header=BB4_394 Depth=4
	s_and_not1_saveexec_b32 s13, s13
; %bb.913:                              ;   in Loop: Header=BB4_394 Depth=4
	s_delay_alu instid0(VALU_DEP_1)
	v_bfe_u32 v165, v166, 23, 1
; %bb.914:                              ;   in Loop: Header=BB4_394 Depth=4
	s_or_b32 exec_lo, exec_lo, s13
	v_lshrrev_b32_e32 v166, 20, v166
	s_delay_alu instid0(VALU_DEP_2) | instskip(SKIP_2) | instid1(VALU_DEP_2)
	v_cmp_gt_i32_e32 vcc_lo, 16, v165
	v_lshrrev_b32_e32 v167, 24, v167
	v_min_i32_e32 v176, 15, v165
	v_dual_cndmask_b32 v166, 7, v166 :: v_dual_and_b32 v167, 0x80, v167
	s_delay_alu instid0(VALU_DEP_1) | instskip(SKIP_1) | instid1(VALU_DEP_2)
	v_or_b32_e32 v165, v165, v166
	v_and_b32_e32 v177, 7, v166
	v_cmp_ne_u32_e32 vcc_lo, 0, v165
	v_lshlrev_b32_e32 v176, 3, v176
	s_delay_alu instid0(VALU_DEP_1) | instskip(NEXT) | instid1(VALU_DEP_1)
	v_or3_b32 v166, v176, v167, v177
	v_cndmask_b32_e32 v165, 0, v166, vcc_lo
.LBB4_915:                              ;   in Loop: Header=BB4_394 Depth=4
	s_or_b32 exec_lo, exec_lo, s37
.LBB4_916:                              ;   in Loop: Header=BB4_394 Depth=4
	s_delay_alu instid0(SALU_CYCLE_1) | instskip(SKIP_3) | instid1(VALU_DEP_2)
	s_or_b32 exec_lo, exec_lo, s36
	v_lshrrev_b32_e32 v167, 16, v12
	v_lshrrev_b32_e32 v166, 16, v8
	s_and_not1_b32 vcc_lo, exec_lo, s35
	v_and_b32_e32 v176, 0xff, v167
	s_delay_alu instid0(VALU_DEP_1)
	v_cmp_lt_i16_e64 s13, 0x7f, v176
	s_cbranch_vccnz .LBB4_926
; %bb.917:                              ;   in Loop: Header=BB4_394 Depth=4
	s_mov_b32 s36, 0
                                        ; implicit-def: $sgpr37
	s_delay_alu instid0(VALU_DEP_1) | instskip(NEXT) | instid1(SALU_CYCLE_1)
	s_and_saveexec_b32 vcc_lo, s13
	s_xor_b32 s13, exec_lo, vcc_lo
	s_cbranch_execnz .LBB4_1608
; %bb.918:                              ;   in Loop: Header=BB4_394 Depth=4
	s_or_saveexec_b32 s13, s13
	v_mov_b32_e32 v177, s37
	s_xor_b32 exec_lo, exec_lo, s13
	s_cbranch_execnz .LBB4_1611
.LBB4_919:                              ;   in Loop: Header=BB4_394 Depth=4
	s_or_b32 exec_lo, exec_lo, s13
	s_and_saveexec_b32 s13, s36
	s_cbranch_execz .LBB4_921
.LBB4_920:                              ;   in Loop: Header=BB4_394 Depth=4
	v_bfe_u32 v177, v12, 16, 3
	v_bfe_u32 v180, v12, 19, 4
	v_lshlrev_b32_e32 v181, 24, v167
	s_delay_alu instid0(VALU_DEP_3) | instskip(NEXT) | instid1(VALU_DEP_3)
	v_clz_i32_u32_e32 v178, v177
	v_cmp_eq_u32_e32 vcc_lo, 0, v180
	s_delay_alu instid0(VALU_DEP_2) | instskip(NEXT) | instid1(VALU_DEP_1)
	v_min_u32_e32 v178, 32, v178
	v_subrev_nc_u32_e32 v179, 28, v178
	v_sub_nc_u32_e32 v178, 29, v178
	s_delay_alu instid0(VALU_DEP_1) | instskip(NEXT) | instid1(VALU_DEP_1)
	v_dual_cndmask_b32 v178, v180, v178 :: v_dual_lshlrev_b32 v179, v179, v167
	v_and_b32_e32 v179, 7, v179
	s_delay_alu instid0(VALU_DEP_2) | instskip(NEXT) | instid1(VALU_DEP_2)
	v_lshl_add_u32 v178, v178, 23, 0x3b800000
	v_cndmask_b32_e32 v177, v177, v179, vcc_lo
	v_and_b32_e32 v179, 0x80000000, v181
	s_delay_alu instid0(VALU_DEP_2) | instskip(NEXT) | instid1(VALU_DEP_1)
	v_lshlrev_b32_e32 v177, 20, v177
	v_or3_b32 v177, v179, v178, v177
.LBB4_921:                              ;   in Loop: Header=BB4_394 Depth=4
	s_or_b32 exec_lo, exec_lo, s13
	v_and_b32_e32 v179, 0xff, v166
	s_mov_b32 s13, 0
	s_mov_b32 s37, exec_lo
                                        ; implicit-def: $sgpr36
	s_delay_alu instid0(VALU_DEP_1)
	v_cmpx_lt_i16_e64 0x7f, v179
	s_xor_b32 s37, exec_lo, s37
	s_cbranch_execnz .LBB4_1612
; %bb.922:                              ;   in Loop: Header=BB4_394 Depth=4
	s_or_saveexec_b32 s37, s37
	v_mov_b32_e32 v178, s36
	s_xor_b32 exec_lo, exec_lo, s37
	s_cbranch_execnz .LBB4_1615
.LBB4_923:                              ;   in Loop: Header=BB4_394 Depth=4
	s_or_b32 exec_lo, exec_lo, s37
	s_and_saveexec_b32 s36, s13
	s_cbranch_execz .LBB4_925
.LBB4_924:                              ;   in Loop: Header=BB4_394 Depth=4
	v_bfe_u32 v178, v8, 16, 3
	v_bfe_u32 v181, v8, 19, 4
	v_lshlrev_b32_e32 v182, 24, v166
	s_delay_alu instid0(VALU_DEP_3) | instskip(NEXT) | instid1(VALU_DEP_3)
	v_clz_i32_u32_e32 v179, v178
	v_cmp_eq_u32_e32 vcc_lo, 0, v181
	s_delay_alu instid0(VALU_DEP_2) | instskip(NEXT) | instid1(VALU_DEP_1)
	v_min_u32_e32 v179, 32, v179
	v_subrev_nc_u32_e32 v180, 28, v179
	v_sub_nc_u32_e32 v179, 29, v179
	s_delay_alu instid0(VALU_DEP_1) | instskip(NEXT) | instid1(VALU_DEP_1)
	v_dual_cndmask_b32 v179, v181, v179 :: v_dual_lshlrev_b32 v180, v180, v166
	v_and_b32_e32 v180, 7, v180
	s_delay_alu instid0(VALU_DEP_2) | instskip(NEXT) | instid1(VALU_DEP_2)
	v_lshl_add_u32 v179, v179, 23, 0x3b800000
	v_cndmask_b32_e32 v178, v178, v180, vcc_lo
	v_and_b32_e32 v180, 0x80000000, v182
	s_delay_alu instid0(VALU_DEP_2) | instskip(NEXT) | instid1(VALU_DEP_1)
	v_lshlrev_b32_e32 v178, 20, v178
	v_or3_b32 v178, v180, v179, v178
.LBB4_925:                              ;   in Loop: Header=BB4_394 Depth=4
	s_or_b32 exec_lo, exec_lo, s36
	s_delay_alu instid0(VALU_DEP_1) | instskip(SKIP_1) | instid1(VALU_DEP_1)
	v_dual_max_f32 v178, v178, v178 :: v_dual_max_f32 v177, v177, v177
	s_mov_b32 s13, 0
	v_max_f32_e32 v177, v177, v178
	s_branch .LBB4_927
.LBB4_926:                              ;   in Loop: Header=BB4_394 Depth=4
	s_mov_b32 s13, -1
                                        ; implicit-def: $vgpr177
.LBB4_927:                              ;   in Loop: Header=BB4_394 Depth=4
	s_delay_alu instid0(SALU_CYCLE_1)
	s_and_b32 vcc_lo, exec_lo, s13
	s_cbranch_vccz .LBB4_937
; %bb.928:                              ;   in Loop: Header=BB4_394 Depth=4
	s_mov_b32 s13, 0
	s_mov_b32 s37, exec_lo
                                        ; implicit-def: $sgpr36
	v_cmpx_lt_i16_e64 0x7f, v176
	s_xor_b32 s37, exec_lo, s37
	s_cbranch_execnz .LBB4_1616
; %bb.929:                              ;   in Loop: Header=BB4_394 Depth=4
	s_or_saveexec_b32 s37, s37
	v_mov_b32_e32 v177, s36
	s_xor_b32 exec_lo, exec_lo, s37
	s_cbranch_execnz .LBB4_1619
.LBB4_930:                              ;   in Loop: Header=BB4_394 Depth=4
	s_or_b32 exec_lo, exec_lo, s37
	s_and_saveexec_b32 s36, s13
	s_cbranch_execz .LBB4_932
.LBB4_931:                              ;   in Loop: Header=BB4_394 Depth=4
	v_bfe_u32 v176, v12, 16, 3
	v_bfe_u32 v179, v12, 19, 4
	s_delay_alu instid0(VALU_DEP_2) | instskip(NEXT) | instid1(VALU_DEP_2)
	v_clz_i32_u32_e32 v177, v176
	v_cmp_eq_u32_e32 vcc_lo, 0, v179
	s_delay_alu instid0(VALU_DEP_2) | instskip(NEXT) | instid1(VALU_DEP_1)
	v_min_u32_e32 v177, 32, v177
	v_subrev_nc_u32_e32 v178, 28, v177
	v_sub_nc_u32_e32 v177, 29, v177
	s_delay_alu instid0(VALU_DEP_1) | instskip(NEXT) | instid1(VALU_DEP_1)
	v_dual_cndmask_b32 v177, v179, v177 :: v_dual_lshlrev_b32 v178, v178, v167
	v_and_b32_e32 v178, 7, v178
	v_lshlrev_b32_e32 v167, 24, v167
	s_delay_alu instid0(VALU_DEP_3) | instskip(NEXT) | instid1(VALU_DEP_2)
	v_lshl_add_u32 v177, v177, 23, 0x3b800000
	v_dual_cndmask_b32 v176, v176, v178 :: v_dual_and_b32 v167, 0x80000000, v167
	s_delay_alu instid0(VALU_DEP_1) | instskip(NEXT) | instid1(VALU_DEP_1)
	v_lshlrev_b32_e32 v176, 20, v176
	v_or3_b32 v177, v167, v177, v176
.LBB4_932:                              ;   in Loop: Header=BB4_394 Depth=4
	s_or_b32 exec_lo, exec_lo, s36
	v_and_b32_e32 v176, 0xff, v166
	s_mov_b32 s13, 0
	s_mov_b32 s37, exec_lo
                                        ; implicit-def: $sgpr36
	s_delay_alu instid0(VALU_DEP_1)
	v_cmpx_lt_i16_e64 0x7f, v176
	s_xor_b32 s37, exec_lo, s37
	s_cbranch_execnz .LBB4_1620
; %bb.933:                              ;   in Loop: Header=BB4_394 Depth=4
	s_or_saveexec_b32 s37, s37
	v_mov_b32_e32 v167, s36
	s_xor_b32 exec_lo, exec_lo, s37
	s_cbranch_execnz .LBB4_1623
.LBB4_934:                              ;   in Loop: Header=BB4_394 Depth=4
	s_or_b32 exec_lo, exec_lo, s37
	s_and_saveexec_b32 s36, s13
	s_cbranch_execz .LBB4_936
.LBB4_935:                              ;   in Loop: Header=BB4_394 Depth=4
	v_bfe_u32 v167, v8, 16, 3
	v_bfe_u32 v179, v8, 19, 4
	s_delay_alu instid0(VALU_DEP_2) | instskip(NEXT) | instid1(VALU_DEP_2)
	v_clz_i32_u32_e32 v176, v167
	v_cmp_eq_u32_e32 vcc_lo, 0, v179
	s_delay_alu instid0(VALU_DEP_2) | instskip(NEXT) | instid1(VALU_DEP_1)
	v_min_u32_e32 v176, 32, v176
	v_subrev_nc_u32_e32 v178, 28, v176
	v_sub_nc_u32_e32 v176, 29, v176
	s_delay_alu instid0(VALU_DEP_2) | instskip(SKIP_1) | instid1(VALU_DEP_2)
	v_lshlrev_b32_e32 v178, v178, v166
	v_lshlrev_b32_e32 v166, 24, v166
	v_and_b32_e32 v178, 7, v178
	s_delay_alu instid0(VALU_DEP_2) | instskip(NEXT) | instid1(VALU_DEP_2)
	v_and_b32_e32 v166, 0x80000000, v166
	v_cndmask_b32_e32 v167, v167, v178, vcc_lo
	s_delay_alu instid0(VALU_DEP_1) | instskip(NEXT) | instid1(VALU_DEP_1)
	v_dual_cndmask_b32 v176, v179, v176 :: v_dual_lshlrev_b32 v167, 20, v167
	v_lshl_add_u32 v176, v176, 23, 0x3b800000
	s_delay_alu instid0(VALU_DEP_1)
	v_or3_b32 v167, v166, v176, v167
.LBB4_936:                              ;   in Loop: Header=BB4_394 Depth=4
	s_or_b32 exec_lo, exec_lo, s36
	s_delay_alu instid0(VALU_DEP_1) | instskip(NEXT) | instid1(VALU_DEP_1)
	v_dual_max_f32 v166, v167, v167 :: v_dual_max_f32 v167, v177, v177
	v_min_f32_e32 v177, v167, v166
.LBB4_937:                              ;   in Loop: Header=BB4_394 Depth=4
	s_delay_alu instid0(VALU_DEP_1) | instskip(NEXT) | instid1(VALU_DEP_1)
	v_and_b32_e32 v166, 0x7f800000, v177
	v_cmp_ne_u32_e32 vcc_lo, 0x7f800000, v166
	v_mov_b32_e32 v166, 0x80
	s_and_saveexec_b32 s36, vcc_lo
	s_cbranch_execz .LBB4_945
; %bb.938:                              ;   in Loop: Header=BB4_394 Depth=4
	v_mov_b32_e32 v166, 0
	s_mov_b32 s37, exec_lo
	v_cmpx_ne_u32_e32 0, v177
	s_cbranch_execz .LBB4_944
; %bb.939:                              ;   in Loop: Header=BB4_394 Depth=4
	v_bfe_u32 v166, v177, 23, 8
	s_delay_alu instid0(VALU_DEP_1) | instskip(SKIP_1) | instid1(VALU_DEP_2)
	v_sub_nc_u32_e32 v176, 0x78, v166
	v_cmp_gt_u32_e32 vcc_lo, 0x79, v166
	v_dual_cndmask_b32 v176, 0, v176 :: v_dual_and_b32 v167, 0x7fffff, v177
	s_delay_alu instid0(VALU_DEP_1) | instskip(SKIP_2) | instid1(VALU_DEP_4)
	v_or_b32_e32 v178, 0x800000, v167
	v_cmp_eq_u32_e32 vcc_lo, 0, v166
	v_add_nc_u32_e32 v166, 0xffffff89, v166
	v_cndmask_b32_e64 v176, v176, 0x77, vcc_lo
	s_delay_alu instid0(VALU_DEP_4) | instskip(NEXT) | instid1(VALU_DEP_3)
	v_cndmask_b32_e32 v167, v178, v167, vcc_lo
	v_cndmask_b32_e64 v166, v166, 0xffffff8a, vcc_lo
	s_delay_alu instid0(VALU_DEP_3) | instskip(NEXT) | instid1(VALU_DEP_3)
	v_lshl_add_u32 v178, 0x100000, v176, -1
	v_lshrrev_b32_e32 v179, v176, v167
	v_lshlrev_b32_e64 v181, v176, 0x80000
	s_delay_alu instid0(VALU_DEP_4) | instskip(NEXT) | instid1(VALU_DEP_4)
	v_add_nc_u32_e32 v176, v176, v166
	v_and_b32_e32 v167, v178, v167
	s_delay_alu instid0(VALU_DEP_4) | instskip(NEXT) | instid1(VALU_DEP_2)
	v_bfe_u32 v180, v179, 20, 1
	v_cmp_eq_u32_e64 s13, v167, v181
	s_delay_alu instid0(VALU_DEP_2) | instskip(NEXT) | instid1(VALU_DEP_1)
	v_add_nc_u32_e32 v178, -1, v180
	v_cndmask_b32_e64 v167, 0, v178, s13
	v_lshrrev_b32_e32 v178, 23, v179
	s_mov_b32 s13, exec_lo
	s_delay_alu instid0(VALU_DEP_2) | instskip(NEXT) | instid1(VALU_DEP_2)
	v_add_nc_u32_e32 v167, v167, v179
	v_xor_b32_e32 v178, 1, v178
	s_delay_alu instid0(VALU_DEP_2) | instskip(NEXT) | instid1(VALU_DEP_1)
	v_and_b32_e32 v166, 0xfffff, v167
	v_add_nc_u32_e32 v167, v166, v179
                                        ; implicit-def: $vgpr166
	s_delay_alu instid0(VALU_DEP_3)
	v_cmpx_ne_u32_e64 v176, v178
	s_xor_b32 s13, exec_lo, s13
; %bb.940:                              ;   in Loop: Header=BB4_394 Depth=4
	s_delay_alu instid0(VALU_DEP_2) | instskip(SKIP_2) | instid1(VALU_DEP_2)
	v_cmp_lt_u32_e32 vcc_lo, 0xffffff, v167
	v_sub_nc_u32_e32 v166, v176, v178
	v_cndmask_b32_e64 v176, 0, 1, vcc_lo
	v_add_co_ci_u32_e32 v166, vcc_lo, 0, v166, vcc_lo
	s_delay_alu instid0(VALU_DEP_2)
	v_lshrrev_b32_e32 v167, v176, v167
; %bb.941:                              ;   in Loop: Header=BB4_394 Depth=4
	s_and_not1_saveexec_b32 s13, s13
; %bb.942:                              ;   in Loop: Header=BB4_394 Depth=4
	s_delay_alu instid0(VALU_DEP_1)
	v_bfe_u32 v166, v167, 23, 1
; %bb.943:                              ;   in Loop: Header=BB4_394 Depth=4
	s_or_b32 exec_lo, exec_lo, s13
	v_lshrrev_b32_e32 v167, 20, v167
	s_delay_alu instid0(VALU_DEP_2) | instskip(SKIP_2) | instid1(VALU_DEP_2)
	v_cmp_gt_i32_e32 vcc_lo, 16, v166
	v_lshrrev_b32_e32 v176, 24, v177
	v_min_i32_e32 v177, 15, v166
	v_dual_cndmask_b32 v167, 7, v167 :: v_dual_and_b32 v176, 0x80, v176
	s_delay_alu instid0(VALU_DEP_1) | instskip(SKIP_1) | instid1(VALU_DEP_2)
	v_or_b32_e32 v166, v166, v167
	v_and_b32_e32 v178, 7, v167
	v_cmp_ne_u32_e32 vcc_lo, 0, v166
	v_lshlrev_b32_e32 v177, 3, v177
	s_delay_alu instid0(VALU_DEP_1) | instskip(NEXT) | instid1(VALU_DEP_1)
	v_or3_b32 v167, v177, v176, v178
	v_cndmask_b32_e32 v166, 0, v167, vcc_lo
.LBB4_944:                              ;   in Loop: Header=BB4_394 Depth=4
	s_or_b32 exec_lo, exec_lo, s37
.LBB4_945:                              ;   in Loop: Header=BB4_394 Depth=4
	s_delay_alu instid0(SALU_CYCLE_1) | instskip(SKIP_3) | instid1(VALU_DEP_2)
	s_or_b32 exec_lo, exec_lo, s36
	v_lshrrev_b32_e32 v176, 24, v12
	v_lshrrev_b32_e32 v167, 24, v8
	s_and_not1_b32 vcc_lo, exec_lo, s35
	v_cmp_lt_i16_e64 s13, 0x7f, v176
	s_cbranch_vccnz .LBB4_955
; %bb.946:                              ;   in Loop: Header=BB4_394 Depth=4
	s_mov_b32 s36, 0
                                        ; implicit-def: $sgpr37
	s_delay_alu instid0(VALU_DEP_1) | instskip(NEXT) | instid1(SALU_CYCLE_1)
	s_and_saveexec_b32 vcc_lo, s13
	s_xor_b32 s13, exec_lo, vcc_lo
	s_cbranch_execnz .LBB4_1624
; %bb.947:                              ;   in Loop: Header=BB4_394 Depth=4
	s_or_saveexec_b32 s13, s13
	v_mov_b32_e32 v177, s37
	s_xor_b32 exec_lo, exec_lo, s13
	s_cbranch_execnz .LBB4_1627
.LBB4_948:                              ;   in Loop: Header=BB4_394 Depth=4
	s_or_b32 exec_lo, exec_lo, s13
	s_and_saveexec_b32 s13, s36
	s_cbranch_execz .LBB4_950
.LBB4_949:                              ;   in Loop: Header=BB4_394 Depth=4
	v_bfe_u32 v177, v12, 24, 3
	v_bfe_u32 v180, v12, 27, 4
	s_delay_alu instid0(VALU_DEP_2) | instskip(NEXT) | instid1(VALU_DEP_2)
	v_clz_i32_u32_e32 v178, v177
	v_cmp_eq_u32_e32 vcc_lo, 0, v180
	s_delay_alu instid0(VALU_DEP_2) | instskip(NEXT) | instid1(VALU_DEP_1)
	v_min_u32_e32 v178, 32, v178
	v_subrev_nc_u32_e32 v179, 28, v178
	v_sub_nc_u32_e32 v178, 29, v178
	s_delay_alu instid0(VALU_DEP_1) | instskip(NEXT) | instid1(VALU_DEP_1)
	v_dual_cndmask_b32 v178, v180, v178 :: v_dual_lshlrev_b32 v179, v179, v176
	v_and_b32_e32 v179, 7, v179
	s_delay_alu instid0(VALU_DEP_2) | instskip(NEXT) | instid1(VALU_DEP_2)
	v_lshl_add_u32 v178, v178, 23, 0x3b800000
	v_cndmask_b32_e32 v177, v177, v179, vcc_lo
	v_and_b32_e32 v179, 0x80000000, v12
	s_delay_alu instid0(VALU_DEP_2) | instskip(NEXT) | instid1(VALU_DEP_1)
	v_lshlrev_b32_e32 v177, 20, v177
	v_or3_b32 v177, v179, v178, v177
.LBB4_950:                              ;   in Loop: Header=BB4_394 Depth=4
	s_or_b32 exec_lo, exec_lo, s13
	s_mov_b32 s13, 0
	s_mov_b32 s37, exec_lo
                                        ; implicit-def: $sgpr36
	v_cmpx_lt_i16_e64 0x7f, v167
	s_xor_b32 s37, exec_lo, s37
	s_cbranch_execnz .LBB4_1628
; %bb.951:                              ;   in Loop: Header=BB4_394 Depth=4
	s_or_saveexec_b32 s37, s37
	v_mov_b32_e32 v178, s36
	s_xor_b32 exec_lo, exec_lo, s37
	s_cbranch_execnz .LBB4_1631
.LBB4_952:                              ;   in Loop: Header=BB4_394 Depth=4
	s_or_b32 exec_lo, exec_lo, s37
	s_and_saveexec_b32 s36, s13
	s_cbranch_execz .LBB4_954
.LBB4_953:                              ;   in Loop: Header=BB4_394 Depth=4
	v_bfe_u32 v178, v8, 24, 3
	v_bfe_u32 v181, v8, 27, 4
	s_delay_alu instid0(VALU_DEP_2) | instskip(NEXT) | instid1(VALU_DEP_2)
	v_clz_i32_u32_e32 v179, v178
	v_cmp_eq_u32_e32 vcc_lo, 0, v181
	s_delay_alu instid0(VALU_DEP_2) | instskip(NEXT) | instid1(VALU_DEP_1)
	v_min_u32_e32 v179, 32, v179
	v_subrev_nc_u32_e32 v180, 28, v179
	v_sub_nc_u32_e32 v179, 29, v179
	s_delay_alu instid0(VALU_DEP_2) | instskip(NEXT) | instid1(VALU_DEP_1)
	v_lshlrev_b32_e32 v180, v180, v167
	v_dual_cndmask_b32 v179, v181, v179 :: v_dual_and_b32 v180, 7, v180
	s_delay_alu instid0(VALU_DEP_1) | instskip(NEXT) | instid1(VALU_DEP_2)
	v_lshl_add_u32 v179, v179, 23, 0x3b800000
	v_cndmask_b32_e32 v178, v178, v180, vcc_lo
	v_and_b32_e32 v180, 0x80000000, v8
	s_delay_alu instid0(VALU_DEP_2) | instskip(NEXT) | instid1(VALU_DEP_1)
	v_lshlrev_b32_e32 v178, 20, v178
	v_or3_b32 v178, v180, v179, v178
.LBB4_954:                              ;   in Loop: Header=BB4_394 Depth=4
	s_or_b32 exec_lo, exec_lo, s36
	s_delay_alu instid0(VALU_DEP_1) | instskip(SKIP_1) | instid1(VALU_DEP_1)
	v_dual_max_f32 v178, v178, v178 :: v_dual_max_f32 v177, v177, v177
	s_mov_b32 s13, 0
	v_max_f32_e32 v177, v177, v178
	s_branch .LBB4_956
.LBB4_955:                              ;   in Loop: Header=BB4_394 Depth=4
	s_mov_b32 s13, -1
                                        ; implicit-def: $vgpr177
.LBB4_956:                              ;   in Loop: Header=BB4_394 Depth=4
	s_delay_alu instid0(SALU_CYCLE_1)
	s_and_b32 vcc_lo, exec_lo, s13
	s_cbranch_vccz .LBB4_966
; %bb.957:                              ;   in Loop: Header=BB4_394 Depth=4
	s_mov_b32 s13, 0
	s_mov_b32 s37, exec_lo
                                        ; implicit-def: $sgpr36
	v_cmpx_lt_i16_e64 0x7f, v176
	s_xor_b32 s37, exec_lo, s37
	s_cbranch_execnz .LBB4_1632
; %bb.958:                              ;   in Loop: Header=BB4_394 Depth=4
	s_or_saveexec_b32 s37, s37
	v_mov_b32_e32 v177, s36
	s_xor_b32 exec_lo, exec_lo, s37
	s_cbranch_execnz .LBB4_1635
.LBB4_959:                              ;   in Loop: Header=BB4_394 Depth=4
	s_or_b32 exec_lo, exec_lo, s37
	s_and_saveexec_b32 s36, s13
	s_cbranch_execz .LBB4_961
.LBB4_960:                              ;   in Loop: Header=BB4_394 Depth=4
	v_bfe_u32 v177, v12, 24, 3
	s_delay_alu instid0(VALU_DEP_1) | instskip(NEXT) | instid1(VALU_DEP_1)
	v_clz_i32_u32_e32 v178, v177
	v_min_u32_e32 v178, 32, v178
	s_delay_alu instid0(VALU_DEP_1) | instskip(SKIP_1) | instid1(VALU_DEP_2)
	v_subrev_nc_u32_e32 v179, 28, v178
	v_sub_nc_u32_e32 v178, 29, v178
	v_lshlrev_b32_e32 v176, v179, v176
	v_bfe_u32 v179, v12, 27, 4
	v_and_b32_e32 v12, 0x80000000, v12
	s_delay_alu instid0(VALU_DEP_3) | instskip(NEXT) | instid1(VALU_DEP_3)
	v_and_b32_e32 v176, 7, v176
	v_cmp_eq_u32_e32 vcc_lo, 0, v179
	v_cndmask_b32_e32 v178, v179, v178, vcc_lo
	s_delay_alu instid0(VALU_DEP_3) | instskip(NEXT) | instid1(VALU_DEP_2)
	v_cndmask_b32_e32 v176, v177, v176, vcc_lo
	v_lshl_add_u32 v177, v178, 23, 0x3b800000
	s_delay_alu instid0(VALU_DEP_2) | instskip(NEXT) | instid1(VALU_DEP_1)
	v_lshlrev_b32_e32 v176, 20, v176
	v_or3_b32 v177, v12, v177, v176
.LBB4_961:                              ;   in Loop: Header=BB4_394 Depth=4
	s_or_b32 exec_lo, exec_lo, s36
	s_mov_b32 s13, 0
	s_mov_b32 s37, exec_lo
                                        ; implicit-def: $sgpr36
	v_cmpx_lt_i16_e64 0x7f, v167
	s_xor_b32 s37, exec_lo, s37
	s_cbranch_execnz .LBB4_1636
; %bb.962:                              ;   in Loop: Header=BB4_394 Depth=4
	s_or_saveexec_b32 s37, s37
	v_mov_b32_e32 v12, s36
	s_xor_b32 exec_lo, exec_lo, s37
	s_cbranch_execnz .LBB4_1639
.LBB4_963:                              ;   in Loop: Header=BB4_394 Depth=4
	s_or_b32 exec_lo, exec_lo, s37
	s_and_saveexec_b32 s36, s13
	s_cbranch_execz .LBB4_965
.LBB4_964:                              ;   in Loop: Header=BB4_394 Depth=4
	v_bfe_u32 v12, v8, 24, 3
	s_delay_alu instid0(VALU_DEP_1) | instskip(NEXT) | instid1(VALU_DEP_1)
	v_clz_i32_u32_e32 v176, v12
	v_min_u32_e32 v176, 32, v176
	s_delay_alu instid0(VALU_DEP_1) | instskip(SKIP_1) | instid1(VALU_DEP_2)
	v_subrev_nc_u32_e32 v178, 28, v176
	v_sub_nc_u32_e32 v176, 29, v176
	v_lshlrev_b32_e32 v167, v178, v167
	v_bfe_u32 v178, v8, 27, 4
	v_and_b32_e32 v8, 0x80000000, v8
	s_delay_alu instid0(VALU_DEP_2) | instskip(NEXT) | instid1(VALU_DEP_4)
	v_cmp_eq_u32_e32 vcc_lo, 0, v178
	v_dual_cndmask_b32 v176, v178, v176 :: v_dual_and_b32 v167, 7, v167
	s_delay_alu instid0(VALU_DEP_1) | instskip(NEXT) | instid1(VALU_DEP_2)
	v_cndmask_b32_e32 v12, v12, v167, vcc_lo
	v_lshl_add_u32 v167, v176, 23, 0x3b800000
	s_delay_alu instid0(VALU_DEP_2) | instskip(NEXT) | instid1(VALU_DEP_1)
	v_lshlrev_b32_e32 v12, 20, v12
	v_or3_b32 v12, v8, v167, v12
.LBB4_965:                              ;   in Loop: Header=BB4_394 Depth=4
	s_or_b32 exec_lo, exec_lo, s36
	s_delay_alu instid0(VALU_DEP_1) | instskip(SKIP_1) | instid1(VALU_DEP_1)
	v_max_f32_e32 v8, v12, v12
	v_max_f32_e32 v12, v177, v177
	v_min_f32_e32 v177, v12, v8
.LBB4_966:                              ;   in Loop: Header=BB4_394 Depth=4
	s_delay_alu instid0(VALU_DEP_1) | instskip(NEXT) | instid1(VALU_DEP_1)
	v_and_b32_e32 v8, 0x7f800000, v177
	v_cmp_ne_u32_e32 vcc_lo, 0x7f800000, v8
	v_mov_b32_e32 v8, 0x80
	s_and_saveexec_b32 s36, vcc_lo
	s_cbranch_execz .LBB4_974
; %bb.967:                              ;   in Loop: Header=BB4_394 Depth=4
	v_mov_b32_e32 v8, 0
	s_mov_b32 s37, exec_lo
	v_cmpx_ne_u32_e32 0, v177
	s_cbranch_execz .LBB4_973
; %bb.968:                              ;   in Loop: Header=BB4_394 Depth=4
	v_bfe_u32 v8, v177, 23, 8
	s_delay_alu instid0(VALU_DEP_1) | instskip(SKIP_1) | instid1(VALU_DEP_2)
	v_sub_nc_u32_e32 v167, 0x78, v8
	v_cmp_gt_u32_e32 vcc_lo, 0x79, v8
	v_dual_cndmask_b32 v167, 0, v167 :: v_dual_and_b32 v12, 0x7fffff, v177
	s_delay_alu instid0(VALU_DEP_1) | instskip(SKIP_2) | instid1(VALU_DEP_4)
	v_or_b32_e32 v176, 0x800000, v12
	v_cmp_eq_u32_e32 vcc_lo, 0, v8
	v_add_nc_u32_e32 v8, 0xffffff89, v8
	v_cndmask_b32_e64 v167, v167, 0x77, vcc_lo
	s_delay_alu instid0(VALU_DEP_4) | instskip(NEXT) | instid1(VALU_DEP_3)
	v_cndmask_b32_e32 v12, v176, v12, vcc_lo
	v_cndmask_b32_e64 v8, v8, 0xffffff8a, vcc_lo
	s_delay_alu instid0(VALU_DEP_3) | instskip(NEXT) | instid1(VALU_DEP_3)
	v_lshl_add_u32 v176, 0x100000, v167, -1
	v_lshrrev_b32_e32 v178, v167, v12
	v_lshlrev_b32_e64 v180, v167, 0x80000
	s_delay_alu instid0(VALU_DEP_4) | instskip(NEXT) | instid1(VALU_DEP_4)
	v_add_nc_u32_e32 v167, v167, v8
	v_and_b32_e32 v12, v176, v12
	s_delay_alu instid0(VALU_DEP_4) | instskip(NEXT) | instid1(VALU_DEP_2)
	v_bfe_u32 v179, v178, 20, 1
	v_cmp_eq_u32_e64 s13, v12, v180
	s_delay_alu instid0(VALU_DEP_2) | instskip(NEXT) | instid1(VALU_DEP_1)
	v_add_nc_u32_e32 v176, -1, v179
	v_cndmask_b32_e64 v12, 0, v176, s13
	v_lshrrev_b32_e32 v176, 23, v178
	s_mov_b32 s13, exec_lo
	s_delay_alu instid0(VALU_DEP_2) | instskip(NEXT) | instid1(VALU_DEP_2)
	v_add_nc_u32_e32 v12, v12, v178
	v_xor_b32_e32 v176, 1, v176
	s_delay_alu instid0(VALU_DEP_2) | instskip(NEXT) | instid1(VALU_DEP_1)
	v_and_b32_e32 v8, 0xfffff, v12
	v_add_nc_u32_e32 v12, v8, v178
                                        ; implicit-def: $vgpr8
	s_delay_alu instid0(VALU_DEP_3)
	v_cmpx_ne_u32_e64 v167, v176
	s_xor_b32 s13, exec_lo, s13
; %bb.969:                              ;   in Loop: Header=BB4_394 Depth=4
	s_delay_alu instid0(VALU_DEP_2) | instskip(SKIP_2) | instid1(VALU_DEP_2)
	v_cmp_lt_u32_e32 vcc_lo, 0xffffff, v12
	v_sub_nc_u32_e32 v8, v167, v176
	v_cndmask_b32_e64 v167, 0, 1, vcc_lo
	v_add_co_ci_u32_e32 v8, vcc_lo, 0, v8, vcc_lo
	s_delay_alu instid0(VALU_DEP_2)
	v_lshrrev_b32_e32 v12, v167, v12
; %bb.970:                              ;   in Loop: Header=BB4_394 Depth=4
	s_and_not1_saveexec_b32 s13, s13
; %bb.971:                              ;   in Loop: Header=BB4_394 Depth=4
	s_delay_alu instid0(VALU_DEP_1)
	v_bfe_u32 v8, v12, 23, 1
; %bb.972:                              ;   in Loop: Header=BB4_394 Depth=4
	s_or_b32 exec_lo, exec_lo, s13
	v_lshrrev_b32_e32 v12, 20, v12
	s_delay_alu instid0(VALU_DEP_2) | instskip(SKIP_2) | instid1(VALU_DEP_2)
	v_cmp_gt_i32_e32 vcc_lo, 16, v8
	v_lshrrev_b32_e32 v167, 24, v177
	v_min_i32_e32 v176, 15, v8
	v_dual_cndmask_b32 v12, 7, v12 :: v_dual_and_b32 v167, 0x80, v167
	s_delay_alu instid0(VALU_DEP_2) | instskip(NEXT) | instid1(VALU_DEP_2)
	v_lshlrev_b32_e32 v176, 3, v176
	v_and_b32_e32 v177, 7, v12
	v_or_b32_e32 v8, v8, v12
	s_delay_alu instid0(VALU_DEP_2) | instskip(NEXT) | instid1(VALU_DEP_2)
	v_or3_b32 v12, v176, v167, v177
	v_cmp_ne_u32_e32 vcc_lo, 0, v8
	s_delay_alu instid0(VALU_DEP_2)
	v_cndmask_b32_e32 v8, 0, v12, vcc_lo
.LBB4_973:                              ;   in Loop: Header=BB4_394 Depth=4
	s_or_b32 exec_lo, exec_lo, s37
.LBB4_974:                              ;   in Loop: Header=BB4_394 Depth=4
	s_delay_alu instid0(SALU_CYCLE_1) | instskip(SKIP_2) | instid1(VALU_DEP_1)
	s_or_b32 exec_lo, exec_lo, s36
	v_and_b32_e32 v12, 0xff, v13
	s_and_not1_b32 vcc_lo, exec_lo, s35
	v_cmp_lt_i16_e64 s13, 0x7f, v12
	s_cbranch_vccnz .LBB4_984
; %bb.975:                              ;   in Loop: Header=BB4_394 Depth=4
	s_mov_b32 s36, 0
                                        ; implicit-def: $sgpr37
	s_delay_alu instid0(VALU_DEP_1) | instskip(NEXT) | instid1(SALU_CYCLE_1)
	s_and_saveexec_b32 vcc_lo, s13
	s_xor_b32 s13, exec_lo, vcc_lo
	s_cbranch_execnz .LBB4_1640
; %bb.976:                              ;   in Loop: Header=BB4_394 Depth=4
	s_or_saveexec_b32 s13, s13
	v_mov_b32_e32 v167, s37
	s_xor_b32 exec_lo, exec_lo, s13
	s_cbranch_execnz .LBB4_1643
.LBB4_977:                              ;   in Loop: Header=BB4_394 Depth=4
	s_or_b32 exec_lo, exec_lo, s13
	s_and_saveexec_b32 s13, s36
	s_cbranch_execz .LBB4_979
.LBB4_978:                              ;   in Loop: Header=BB4_394 Depth=4
	v_bfe_u32 v178, v13, 3, 4
	v_lshlrev_b32_e32 v179, 24, v13
	s_delay_alu instid0(VALU_DEP_2) | instskip(SKIP_1) | instid1(VALU_DEP_1)
	v_cmp_eq_u32_e32 vcc_lo, 0, v178
	v_and_b32_e32 v167, 7, v13
	v_clz_i32_u32_e32 v176, v167
	s_delay_alu instid0(VALU_DEP_1) | instskip(NEXT) | instid1(VALU_DEP_1)
	v_min_u32_e32 v176, 32, v176
	v_subrev_nc_u32_e32 v177, 28, v176
	v_sub_nc_u32_e32 v176, 29, v176
	s_delay_alu instid0(VALU_DEP_1) | instskip(NEXT) | instid1(VALU_DEP_1)
	v_dual_cndmask_b32 v176, v178, v176 :: v_dual_lshlrev_b32 v177, v177, v13
	v_and_b32_e32 v177, 7, v177
	s_delay_alu instid0(VALU_DEP_2) | instskip(NEXT) | instid1(VALU_DEP_2)
	v_lshl_add_u32 v176, v176, 23, 0x3b800000
	v_cndmask_b32_e32 v167, v167, v177, vcc_lo
	v_and_b32_e32 v177, 0x80000000, v179
	s_delay_alu instid0(VALU_DEP_2) | instskip(NEXT) | instid1(VALU_DEP_1)
	v_lshlrev_b32_e32 v167, 20, v167
	v_or3_b32 v167, v177, v176, v167
.LBB4_979:                              ;   in Loop: Header=BB4_394 Depth=4
	s_or_b32 exec_lo, exec_lo, s13
	v_and_b32_e32 v177, 0xff, v9
	s_mov_b32 s13, 0
	s_mov_b32 s37, exec_lo
                                        ; implicit-def: $sgpr36
	s_delay_alu instid0(VALU_DEP_1)
	v_cmpx_lt_i16_e64 0x7f, v177
	s_xor_b32 s37, exec_lo, s37
	s_cbranch_execnz .LBB4_1644
; %bb.980:                              ;   in Loop: Header=BB4_394 Depth=4
	s_or_saveexec_b32 s37, s37
	v_mov_b32_e32 v176, s36
	s_xor_b32 exec_lo, exec_lo, s37
	s_cbranch_execnz .LBB4_1647
.LBB4_981:                              ;   in Loop: Header=BB4_394 Depth=4
	s_or_b32 exec_lo, exec_lo, s37
	s_and_saveexec_b32 s36, s13
	s_cbranch_execz .LBB4_983
.LBB4_982:                              ;   in Loop: Header=BB4_394 Depth=4
	v_and_b32_e32 v176, 7, v9
	v_bfe_u32 v179, v9, 3, 4
	v_lshlrev_b32_e32 v180, 24, v9
	s_delay_alu instid0(VALU_DEP_3) | instskip(NEXT) | instid1(VALU_DEP_3)
	v_clz_i32_u32_e32 v177, v176
	v_cmp_eq_u32_e32 vcc_lo, 0, v179
	s_delay_alu instid0(VALU_DEP_2) | instskip(NEXT) | instid1(VALU_DEP_1)
	v_min_u32_e32 v177, 32, v177
	v_subrev_nc_u32_e32 v178, 28, v177
	v_sub_nc_u32_e32 v177, 29, v177
	s_delay_alu instid0(VALU_DEP_2) | instskip(NEXT) | instid1(VALU_DEP_1)
	v_lshlrev_b32_e32 v178, v178, v9
	v_dual_cndmask_b32 v177, v179, v177 :: v_dual_and_b32 v178, 7, v178
	s_delay_alu instid0(VALU_DEP_1) | instskip(NEXT) | instid1(VALU_DEP_2)
	v_lshl_add_u32 v177, v177, 23, 0x3b800000
	v_cndmask_b32_e32 v176, v176, v178, vcc_lo
	v_and_b32_e32 v178, 0x80000000, v180
	s_delay_alu instid0(VALU_DEP_2) | instskip(NEXT) | instid1(VALU_DEP_1)
	v_lshlrev_b32_e32 v176, 20, v176
	v_or3_b32 v176, v178, v177, v176
.LBB4_983:                              ;   in Loop: Header=BB4_394 Depth=4
	s_or_b32 exec_lo, exec_lo, s36
	s_delay_alu instid0(VALU_DEP_1) | instskip(SKIP_1) | instid1(VALU_DEP_1)
	v_dual_max_f32 v176, v176, v176 :: v_dual_max_f32 v167, v167, v167
	s_mov_b32 s13, 0
	v_max_f32_e32 v167, v167, v176
	s_branch .LBB4_985
.LBB4_984:                              ;   in Loop: Header=BB4_394 Depth=4
	s_mov_b32 s13, -1
                                        ; implicit-def: $vgpr167
.LBB4_985:                              ;   in Loop: Header=BB4_394 Depth=4
	s_delay_alu instid0(SALU_CYCLE_1)
	s_and_b32 vcc_lo, exec_lo, s13
	s_cbranch_vccz .LBB4_995
; %bb.986:                              ;   in Loop: Header=BB4_394 Depth=4
	s_mov_b32 s13, 0
	s_mov_b32 s37, exec_lo
                                        ; implicit-def: $sgpr36
	v_cmpx_lt_i16_e32 0x7f, v12
	s_xor_b32 s37, exec_lo, s37
	s_cbranch_execnz .LBB4_1648
; %bb.987:                              ;   in Loop: Header=BB4_394 Depth=4
	s_or_saveexec_b32 s37, s37
	v_mov_b32_e32 v167, s36
	s_xor_b32 exec_lo, exec_lo, s37
	s_cbranch_execnz .LBB4_1651
.LBB4_988:                              ;   in Loop: Header=BB4_394 Depth=4
	s_or_b32 exec_lo, exec_lo, s37
	s_and_saveexec_b32 s36, s13
	s_cbranch_execz .LBB4_990
.LBB4_989:                              ;   in Loop: Header=BB4_394 Depth=4
	v_bfe_u32 v177, v13, 3, 4
	v_lshlrev_b32_e32 v178, 24, v13
	s_delay_alu instid0(VALU_DEP_2) | instskip(SKIP_1) | instid1(VALU_DEP_1)
	v_cmp_eq_u32_e32 vcc_lo, 0, v177
	v_and_b32_e32 v12, 7, v13
	v_clz_i32_u32_e32 v167, v12
	s_delay_alu instid0(VALU_DEP_1) | instskip(NEXT) | instid1(VALU_DEP_1)
	v_min_u32_e32 v167, 32, v167
	v_subrev_nc_u32_e32 v176, 28, v167
	v_sub_nc_u32_e32 v167, 29, v167
	s_delay_alu instid0(VALU_DEP_1) | instskip(NEXT) | instid1(VALU_DEP_1)
	v_dual_cndmask_b32 v167, v177, v167 :: v_dual_lshlrev_b32 v176, v176, v13
	v_and_b32_e32 v176, 7, v176
	s_delay_alu instid0(VALU_DEP_2) | instskip(NEXT) | instid1(VALU_DEP_2)
	v_lshl_add_u32 v167, v167, 23, 0x3b800000
	v_cndmask_b32_e32 v12, v12, v176, vcc_lo
	v_and_b32_e32 v176, 0x80000000, v178
	s_delay_alu instid0(VALU_DEP_2) | instskip(NEXT) | instid1(VALU_DEP_1)
	v_lshlrev_b32_e32 v12, 20, v12
	v_or3_b32 v167, v176, v167, v12
.LBB4_990:                              ;   in Loop: Header=BB4_394 Depth=4
	s_or_b32 exec_lo, exec_lo, s36
	v_and_b32_e32 v176, 0xff, v9
	s_mov_b32 s13, 0
	s_mov_b32 s37, exec_lo
                                        ; implicit-def: $sgpr36
	s_delay_alu instid0(VALU_DEP_1)
	v_cmpx_lt_i16_e64 0x7f, v176
	s_xor_b32 s37, exec_lo, s37
	s_cbranch_execnz .LBB4_1652
; %bb.991:                              ;   in Loop: Header=BB4_394 Depth=4
	s_or_saveexec_b32 s37, s37
	v_mov_b32_e32 v12, s36
	s_xor_b32 exec_lo, exec_lo, s37
	s_cbranch_execnz .LBB4_1655
.LBB4_992:                              ;   in Loop: Header=BB4_394 Depth=4
	s_or_b32 exec_lo, exec_lo, s37
	s_and_saveexec_b32 s36, s13
	s_cbranch_execz .LBB4_994
.LBB4_993:                              ;   in Loop: Header=BB4_394 Depth=4
	v_and_b32_e32 v12, 7, v9
	v_bfe_u32 v178, v9, 3, 4
	v_lshlrev_b32_e32 v179, 24, v9
	s_delay_alu instid0(VALU_DEP_3) | instskip(NEXT) | instid1(VALU_DEP_3)
	v_clz_i32_u32_e32 v176, v12
	v_cmp_eq_u32_e32 vcc_lo, 0, v178
	s_delay_alu instid0(VALU_DEP_2) | instskip(NEXT) | instid1(VALU_DEP_1)
	v_min_u32_e32 v176, 32, v176
	v_subrev_nc_u32_e32 v177, 28, v176
	v_sub_nc_u32_e32 v176, 29, v176
	s_delay_alu instid0(VALU_DEP_1) | instskip(NEXT) | instid1(VALU_DEP_1)
	v_dual_cndmask_b32 v176, v178, v176 :: v_dual_lshlrev_b32 v177, v177, v9
	v_and_b32_e32 v177, 7, v177
	s_delay_alu instid0(VALU_DEP_2) | instskip(NEXT) | instid1(VALU_DEP_2)
	v_lshl_add_u32 v176, v176, 23, 0x3b800000
	v_dual_cndmask_b32 v12, v12, v177 :: v_dual_and_b32 v177, 0x80000000, v179
	s_delay_alu instid0(VALU_DEP_1) | instskip(NEXT) | instid1(VALU_DEP_1)
	v_lshlrev_b32_e32 v12, 20, v12
	v_or3_b32 v12, v177, v176, v12
.LBB4_994:                              ;   in Loop: Header=BB4_394 Depth=4
	s_or_b32 exec_lo, exec_lo, s36
	s_delay_alu instid0(VALU_DEP_1) | instskip(NEXT) | instid1(VALU_DEP_1)
	v_dual_max_f32 v12, v12, v12 :: v_dual_max_f32 v167, v167, v167
	v_min_f32_e32 v167, v167, v12
.LBB4_995:                              ;   in Loop: Header=BB4_394 Depth=4
	s_delay_alu instid0(VALU_DEP_1) | instskip(NEXT) | instid1(VALU_DEP_1)
	v_and_b32_e32 v12, 0x7f800000, v167
	v_cmp_ne_u32_e32 vcc_lo, 0x7f800000, v12
	v_mov_b32_e32 v12, 0x80
	s_and_saveexec_b32 s36, vcc_lo
	s_cbranch_execz .LBB4_1003
; %bb.996:                              ;   in Loop: Header=BB4_394 Depth=4
	v_mov_b32_e32 v12, 0
	s_mov_b32 s37, exec_lo
	v_cmpx_ne_u32_e32 0, v167
	s_cbranch_execz .LBB4_1002
; %bb.997:                              ;   in Loop: Header=BB4_394 Depth=4
	v_bfe_u32 v12, v167, 23, 8
	s_delay_alu instid0(VALU_DEP_1) | instskip(SKIP_1) | instid1(VALU_DEP_2)
	v_sub_nc_u32_e32 v177, 0x78, v12
	v_cmp_gt_u32_e32 vcc_lo, 0x79, v12
	v_dual_cndmask_b32 v177, 0, v177 :: v_dual_and_b32 v176, 0x7fffff, v167
	s_delay_alu instid0(VALU_DEP_1) | instskip(SKIP_2) | instid1(VALU_DEP_4)
	v_or_b32_e32 v178, 0x800000, v176
	v_cmp_eq_u32_e32 vcc_lo, 0, v12
	v_add_nc_u32_e32 v12, 0xffffff89, v12
	v_cndmask_b32_e64 v177, v177, 0x77, vcc_lo
	s_delay_alu instid0(VALU_DEP_4) | instskip(NEXT) | instid1(VALU_DEP_3)
	v_cndmask_b32_e32 v176, v178, v176, vcc_lo
	v_cndmask_b32_e64 v12, v12, 0xffffff8a, vcc_lo
	s_delay_alu instid0(VALU_DEP_3) | instskip(NEXT) | instid1(VALU_DEP_3)
	v_lshl_add_u32 v178, 0x100000, v177, -1
	v_lshrrev_b32_e32 v179, v177, v176
	v_lshlrev_b32_e64 v181, v177, 0x80000
	s_delay_alu instid0(VALU_DEP_4) | instskip(NEXT) | instid1(VALU_DEP_4)
	v_add_nc_u32_e32 v177, v177, v12
	v_and_b32_e32 v176, v178, v176
	s_delay_alu instid0(VALU_DEP_4) | instskip(NEXT) | instid1(VALU_DEP_2)
	v_bfe_u32 v180, v179, 20, 1
	v_cmp_eq_u32_e64 s13, v176, v181
	s_delay_alu instid0(VALU_DEP_2) | instskip(NEXT) | instid1(VALU_DEP_1)
	v_add_nc_u32_e32 v178, -1, v180
	v_cndmask_b32_e64 v176, 0, v178, s13
	v_lshrrev_b32_e32 v178, 23, v179
	s_mov_b32 s13, exec_lo
	s_delay_alu instid0(VALU_DEP_2) | instskip(NEXT) | instid1(VALU_DEP_2)
	v_add_nc_u32_e32 v176, v176, v179
	v_xor_b32_e32 v178, 1, v178
	s_delay_alu instid0(VALU_DEP_2) | instskip(NEXT) | instid1(VALU_DEP_1)
	v_and_b32_e32 v12, 0xfffff, v176
	v_add_nc_u32_e32 v176, v12, v179
                                        ; implicit-def: $vgpr12
	s_delay_alu instid0(VALU_DEP_3)
	v_cmpx_ne_u32_e64 v177, v178
	s_xor_b32 s13, exec_lo, s13
; %bb.998:                              ;   in Loop: Header=BB4_394 Depth=4
	s_delay_alu instid0(VALU_DEP_2) | instskip(SKIP_2) | instid1(VALU_DEP_2)
	v_cmp_lt_u32_e32 vcc_lo, 0xffffff, v176
	v_sub_nc_u32_e32 v12, v177, v178
	v_cndmask_b32_e64 v177, 0, 1, vcc_lo
	v_add_co_ci_u32_e32 v12, vcc_lo, 0, v12, vcc_lo
	s_delay_alu instid0(VALU_DEP_2)
	v_lshrrev_b32_e32 v176, v177, v176
; %bb.999:                              ;   in Loop: Header=BB4_394 Depth=4
	s_and_not1_saveexec_b32 s13, s13
; %bb.1000:                             ;   in Loop: Header=BB4_394 Depth=4
	s_delay_alu instid0(VALU_DEP_1)
	v_bfe_u32 v12, v176, 23, 1
; %bb.1001:                             ;   in Loop: Header=BB4_394 Depth=4
	s_or_b32 exec_lo, exec_lo, s13
	v_lshrrev_b32_e32 v176, 20, v176
	s_delay_alu instid0(VALU_DEP_2) | instskip(SKIP_2) | instid1(VALU_DEP_2)
	v_cmp_gt_i32_e32 vcc_lo, 16, v12
	v_lshrrev_b32_e32 v167, 24, v167
	v_min_i32_e32 v177, 15, v12
	v_dual_cndmask_b32 v176, 7, v176 :: v_dual_and_b32 v167, 0x80, v167
	s_delay_alu instid0(VALU_DEP_1) | instskip(SKIP_1) | instid1(VALU_DEP_2)
	v_or_b32_e32 v12, v12, v176
	v_and_b32_e32 v178, 7, v176
	v_cmp_ne_u32_e32 vcc_lo, 0, v12
	v_lshlrev_b32_e32 v177, 3, v177
	s_delay_alu instid0(VALU_DEP_1) | instskip(NEXT) | instid1(VALU_DEP_1)
	v_or3_b32 v167, v177, v167, v178
	v_cndmask_b32_e32 v12, 0, v167, vcc_lo
.LBB4_1002:                             ;   in Loop: Header=BB4_394 Depth=4
	s_or_b32 exec_lo, exec_lo, s37
.LBB4_1003:                             ;   in Loop: Header=BB4_394 Depth=4
	s_delay_alu instid0(SALU_CYCLE_1) | instskip(SKIP_3) | instid1(VALU_DEP_2)
	s_or_b32 exec_lo, exec_lo, s36
	v_lshrrev_b16 v176, 8, v13
	v_lshrrev_b16 v167, 8, v9
	s_and_not1_b32 vcc_lo, exec_lo, s35
	v_cmp_lt_i16_e64 s13, 0x7f, v176
	s_cbranch_vccnz .LBB4_1013
; %bb.1004:                             ;   in Loop: Header=BB4_394 Depth=4
	s_mov_b32 s36, 0
                                        ; implicit-def: $sgpr37
	s_delay_alu instid0(VALU_DEP_1) | instskip(NEXT) | instid1(SALU_CYCLE_1)
	s_and_saveexec_b32 vcc_lo, s13
	s_xor_b32 s13, exec_lo, vcc_lo
	s_cbranch_execnz .LBB4_1656
; %bb.1005:                             ;   in Loop: Header=BB4_394 Depth=4
	s_or_saveexec_b32 s13, s13
	v_mov_b32_e32 v177, s37
	s_xor_b32 exec_lo, exec_lo, s13
	s_cbranch_execnz .LBB4_1659
.LBB4_1006:                             ;   in Loop: Header=BB4_394 Depth=4
	s_or_b32 exec_lo, exec_lo, s13
	s_and_saveexec_b32 s13, s36
	s_cbranch_execz .LBB4_1008
.LBB4_1007:                             ;   in Loop: Header=BB4_394 Depth=4
	v_and_b32_e32 v177, 0xffff, v176
	s_delay_alu instid0(VALU_DEP_1) | instskip(NEXT) | instid1(VALU_DEP_1)
	v_and_b32_e32 v178, 7, v177
	v_clz_i32_u32_e32 v179, v178
	s_delay_alu instid0(VALU_DEP_1) | instskip(NEXT) | instid1(VALU_DEP_1)
	v_min_u32_e32 v179, 32, v179
	v_subrev_nc_u32_e32 v180, 28, v179
	v_sub_nc_u32_e32 v179, 29, v179
	s_delay_alu instid0(VALU_DEP_2) | instskip(SKIP_1) | instid1(VALU_DEP_2)
	v_lshlrev_b32_e32 v180, v180, v177
	v_bfe_u32 v177, v177, 3, 4
	v_and_b32_e32 v180, 7, v180
	s_delay_alu instid0(VALU_DEP_2) | instskip(SKIP_1) | instid1(VALU_DEP_3)
	v_cmp_eq_u32_e32 vcc_lo, 0, v177
	v_cndmask_b32_e32 v177, v177, v179, vcc_lo
	v_dual_cndmask_b32 v178, v178, v180 :: v_dual_lshlrev_b32 v181, 16, v13
	s_delay_alu instid0(VALU_DEP_2) | instskip(NEXT) | instid1(VALU_DEP_2)
	v_lshl_add_u32 v177, v177, 23, 0x3b800000
	v_and_b32_e32 v179, 0x80000000, v181
	s_delay_alu instid0(VALU_DEP_3) | instskip(NEXT) | instid1(VALU_DEP_1)
	v_lshlrev_b32_e32 v178, 20, v178
	v_or3_b32 v177, v179, v177, v178
.LBB4_1008:                             ;   in Loop: Header=BB4_394 Depth=4
	s_or_b32 exec_lo, exec_lo, s13
	s_mov_b32 s13, 0
	s_mov_b32 s37, exec_lo
                                        ; implicit-def: $sgpr36
	v_cmpx_lt_i16_e64 0x7f, v167
	s_xor_b32 s37, exec_lo, s37
	s_cbranch_execnz .LBB4_1660
; %bb.1009:                             ;   in Loop: Header=BB4_394 Depth=4
	s_or_saveexec_b32 s37, s37
	v_mov_b32_e32 v178, s36
	s_xor_b32 exec_lo, exec_lo, s37
	s_cbranch_execnz .LBB4_1663
.LBB4_1010:                             ;   in Loop: Header=BB4_394 Depth=4
	s_or_b32 exec_lo, exec_lo, s37
	s_and_saveexec_b32 s36, s13
	s_cbranch_execz .LBB4_1012
.LBB4_1011:                             ;   in Loop: Header=BB4_394 Depth=4
	v_and_b32_e32 v178, 0xffff, v167
	v_lshlrev_b32_e32 v182, 16, v9
	s_delay_alu instid0(VALU_DEP_2) | instskip(NEXT) | instid1(VALU_DEP_1)
	v_and_b32_e32 v179, 7, v178
	v_clz_i32_u32_e32 v180, v179
	s_delay_alu instid0(VALU_DEP_1) | instskip(NEXT) | instid1(VALU_DEP_1)
	v_min_u32_e32 v180, 32, v180
	v_subrev_nc_u32_e32 v181, 28, v180
	v_sub_nc_u32_e32 v180, 29, v180
	s_delay_alu instid0(VALU_DEP_2) | instskip(SKIP_1) | instid1(VALU_DEP_2)
	v_lshlrev_b32_e32 v181, v181, v178
	v_bfe_u32 v178, v178, 3, 4
	v_and_b32_e32 v181, 7, v181
	s_delay_alu instid0(VALU_DEP_2) | instskip(NEXT) | instid1(VALU_DEP_2)
	v_cmp_eq_u32_e32 vcc_lo, 0, v178
	v_dual_cndmask_b32 v178, v178, v180 :: v_dual_cndmask_b32 v179, v179, v181
	v_and_b32_e32 v180, 0x80000000, v182
	s_delay_alu instid0(VALU_DEP_2) | instskip(NEXT) | instid1(VALU_DEP_3)
	v_lshl_add_u32 v178, v178, 23, 0x3b800000
	v_lshlrev_b32_e32 v179, 20, v179
	s_delay_alu instid0(VALU_DEP_1)
	v_or3_b32 v178, v180, v178, v179
.LBB4_1012:                             ;   in Loop: Header=BB4_394 Depth=4
	s_or_b32 exec_lo, exec_lo, s36
	s_delay_alu instid0(VALU_DEP_1) | instskip(SKIP_1) | instid1(VALU_DEP_1)
	v_dual_max_f32 v178, v178, v178 :: v_dual_max_f32 v177, v177, v177
	s_mov_b32 s13, 0
	v_max_f32_e32 v177, v177, v178
	s_branch .LBB4_1014
.LBB4_1013:                             ;   in Loop: Header=BB4_394 Depth=4
	s_mov_b32 s13, -1
                                        ; implicit-def: $vgpr177
.LBB4_1014:                             ;   in Loop: Header=BB4_394 Depth=4
	s_delay_alu instid0(SALU_CYCLE_1)
	s_and_b32 vcc_lo, exec_lo, s13
	s_cbranch_vccz .LBB4_1024
; %bb.1015:                             ;   in Loop: Header=BB4_394 Depth=4
	s_mov_b32 s13, 0
	s_mov_b32 s37, exec_lo
                                        ; implicit-def: $sgpr36
	v_cmpx_lt_i16_e64 0x7f, v176
	s_xor_b32 s37, exec_lo, s37
	s_cbranch_execnz .LBB4_1664
; %bb.1016:                             ;   in Loop: Header=BB4_394 Depth=4
	s_or_saveexec_b32 s37, s37
	v_mov_b32_e32 v177, s36
	s_xor_b32 exec_lo, exec_lo, s37
	s_cbranch_execnz .LBB4_1667
.LBB4_1017:                             ;   in Loop: Header=BB4_394 Depth=4
	s_or_b32 exec_lo, exec_lo, s37
	s_and_saveexec_b32 s36, s13
	s_cbranch_execz .LBB4_1019
.LBB4_1018:                             ;   in Loop: Header=BB4_394 Depth=4
	v_and_b32_e32 v176, 0xffff, v176
	v_lshlrev_b32_e32 v180, 16, v13
	s_delay_alu instid0(VALU_DEP_2) | instskip(NEXT) | instid1(VALU_DEP_1)
	v_and_b32_e32 v177, 7, v176
	v_clz_i32_u32_e32 v178, v177
	s_delay_alu instid0(VALU_DEP_1) | instskip(NEXT) | instid1(VALU_DEP_1)
	v_min_u32_e32 v178, 32, v178
	v_subrev_nc_u32_e32 v179, 28, v178
	v_sub_nc_u32_e32 v178, 29, v178
	s_delay_alu instid0(VALU_DEP_2) | instskip(SKIP_1) | instid1(VALU_DEP_2)
	v_lshlrev_b32_e32 v179, v179, v176
	v_bfe_u32 v176, v176, 3, 4
	v_and_b32_e32 v179, 7, v179
	s_delay_alu instid0(VALU_DEP_2) | instskip(NEXT) | instid1(VALU_DEP_2)
	v_cmp_eq_u32_e32 vcc_lo, 0, v176
	v_dual_cndmask_b32 v176, v176, v178 :: v_dual_cndmask_b32 v177, v177, v179
	v_and_b32_e32 v178, 0x80000000, v180
	s_delay_alu instid0(VALU_DEP_2) | instskip(NEXT) | instid1(VALU_DEP_3)
	v_lshl_add_u32 v176, v176, 23, 0x3b800000
	v_lshlrev_b32_e32 v177, 20, v177
	s_delay_alu instid0(VALU_DEP_1)
	v_or3_b32 v177, v178, v176, v177
.LBB4_1019:                             ;   in Loop: Header=BB4_394 Depth=4
	s_or_b32 exec_lo, exec_lo, s36
	s_mov_b32 s13, 0
	s_mov_b32 s37, exec_lo
                                        ; implicit-def: $sgpr36
	v_cmpx_lt_i16_e64 0x7f, v167
	s_xor_b32 s37, exec_lo, s37
	s_cbranch_execnz .LBB4_1668
; %bb.1020:                             ;   in Loop: Header=BB4_394 Depth=4
	s_or_saveexec_b32 s37, s37
	v_mov_b32_e32 v176, s36
	s_xor_b32 exec_lo, exec_lo, s37
	s_cbranch_execnz .LBB4_1671
.LBB4_1021:                             ;   in Loop: Header=BB4_394 Depth=4
	s_or_b32 exec_lo, exec_lo, s37
	s_and_saveexec_b32 s36, s13
	s_cbranch_execz .LBB4_1023
.LBB4_1022:                             ;   in Loop: Header=BB4_394 Depth=4
	v_and_b32_e32 v167, 0xffff, v167
	v_lshlrev_b32_e32 v180, 16, v9
	s_delay_alu instid0(VALU_DEP_2) | instskip(NEXT) | instid1(VALU_DEP_1)
	v_and_b32_e32 v176, 7, v167
	v_clz_i32_u32_e32 v178, v176
	s_delay_alu instid0(VALU_DEP_1) | instskip(NEXT) | instid1(VALU_DEP_1)
	v_min_u32_e32 v178, 32, v178
	v_subrev_nc_u32_e32 v179, 28, v178
	v_sub_nc_u32_e32 v178, 29, v178
	s_delay_alu instid0(VALU_DEP_2) | instskip(SKIP_1) | instid1(VALU_DEP_2)
	v_lshlrev_b32_e32 v179, v179, v167
	v_bfe_u32 v167, v167, 3, 4
	v_and_b32_e32 v179, 7, v179
	s_delay_alu instid0(VALU_DEP_2) | instskip(NEXT) | instid1(VALU_DEP_2)
	v_cmp_eq_u32_e32 vcc_lo, 0, v167
	v_dual_cndmask_b32 v167, v167, v178 :: v_dual_cndmask_b32 v176, v176, v179
	v_and_b32_e32 v178, 0x80000000, v180
	s_delay_alu instid0(VALU_DEP_2) | instskip(NEXT) | instid1(VALU_DEP_3)
	v_lshl_add_u32 v167, v167, 23, 0x3b800000
	v_lshlrev_b32_e32 v176, 20, v176
	s_delay_alu instid0(VALU_DEP_1)
	v_or3_b32 v176, v178, v167, v176
.LBB4_1023:                             ;   in Loop: Header=BB4_394 Depth=4
	s_or_b32 exec_lo, exec_lo, s36
	s_delay_alu instid0(VALU_DEP_1) | instskip(NEXT) | instid1(VALU_DEP_1)
	v_dual_max_f32 v167, v176, v176 :: v_dual_max_f32 v176, v177, v177
	v_min_f32_e32 v177, v176, v167
.LBB4_1024:                             ;   in Loop: Header=BB4_394 Depth=4
	s_delay_alu instid0(VALU_DEP_1) | instskip(NEXT) | instid1(VALU_DEP_1)
	v_and_b32_e32 v167, 0x7f800000, v177
	v_cmp_ne_u32_e32 vcc_lo, 0x7f800000, v167
	v_mov_b32_e32 v167, 0x80
	s_and_saveexec_b32 s36, vcc_lo
	s_cbranch_execz .LBB4_1032
; %bb.1025:                             ;   in Loop: Header=BB4_394 Depth=4
	v_mov_b32_e32 v167, 0
	s_mov_b32 s37, exec_lo
	v_cmpx_ne_u32_e32 0, v177
	s_cbranch_execz .LBB4_1031
; %bb.1026:                             ;   in Loop: Header=BB4_394 Depth=4
	v_bfe_u32 v167, v177, 23, 8
	v_and_b32_e32 v176, 0x7fffff, v177
	s_delay_alu instid0(VALU_DEP_2) | instskip(SKIP_1) | instid1(VALU_DEP_3)
	v_sub_nc_u32_e32 v178, 0x78, v167
	v_cmp_gt_u32_e32 vcc_lo, 0x79, v167
	v_or_b32_e32 v179, 0x800000, v176
	s_delay_alu instid0(VALU_DEP_3) | instskip(SKIP_2) | instid1(VALU_DEP_3)
	v_cndmask_b32_e32 v178, 0, v178, vcc_lo
	v_cmp_eq_u32_e32 vcc_lo, 0, v167
	v_add_nc_u32_e32 v167, 0xffffff89, v167
	v_cndmask_b32_e64 v178, v178, 0x77, vcc_lo
	v_cndmask_b32_e32 v176, v179, v176, vcc_lo
	s_delay_alu instid0(VALU_DEP_3) | instskip(NEXT) | instid1(VALU_DEP_3)
	v_cndmask_b32_e64 v167, v167, 0xffffff8a, vcc_lo
	v_lshl_add_u32 v179, 0x100000, v178, -1
	s_delay_alu instid0(VALU_DEP_3) | instskip(SKIP_1) | instid1(VALU_DEP_4)
	v_lshrrev_b32_e32 v180, v178, v176
	v_lshlrev_b32_e64 v182, v178, 0x80000
	v_add_nc_u32_e32 v178, v178, v167
	s_delay_alu instid0(VALU_DEP_4) | instskip(NEXT) | instid1(VALU_DEP_4)
	v_and_b32_e32 v176, v179, v176
	v_bfe_u32 v181, v180, 20, 1
	s_delay_alu instid0(VALU_DEP_2) | instskip(NEXT) | instid1(VALU_DEP_2)
	v_cmp_eq_u32_e64 s13, v176, v182
	v_add_nc_u32_e32 v179, -1, v181
	s_delay_alu instid0(VALU_DEP_1) | instskip(SKIP_2) | instid1(VALU_DEP_2)
	v_cndmask_b32_e64 v176, 0, v179, s13
	v_lshrrev_b32_e32 v179, 23, v180
	s_mov_b32 s13, exec_lo
	v_add_nc_u32_e32 v176, v176, v180
	s_delay_alu instid0(VALU_DEP_2) | instskip(NEXT) | instid1(VALU_DEP_2)
	v_xor_b32_e32 v179, 1, v179
	v_and_b32_e32 v167, 0xfffff, v176
	s_delay_alu instid0(VALU_DEP_1) | instskip(NEXT) | instid1(VALU_DEP_3)
	v_add_nc_u32_e32 v176, v167, v180
                                        ; implicit-def: $vgpr167
	v_cmpx_ne_u32_e64 v178, v179
	s_xor_b32 s13, exec_lo, s13
; %bb.1027:                             ;   in Loop: Header=BB4_394 Depth=4
	s_delay_alu instid0(VALU_DEP_2) | instskip(SKIP_2) | instid1(VALU_DEP_2)
	v_cmp_lt_u32_e32 vcc_lo, 0xffffff, v176
	v_sub_nc_u32_e32 v167, v178, v179
	v_cndmask_b32_e64 v178, 0, 1, vcc_lo
	v_add_co_ci_u32_e32 v167, vcc_lo, 0, v167, vcc_lo
	s_delay_alu instid0(VALU_DEP_2)
	v_lshrrev_b32_e32 v176, v178, v176
; %bb.1028:                             ;   in Loop: Header=BB4_394 Depth=4
	s_and_not1_saveexec_b32 s13, s13
; %bb.1029:                             ;   in Loop: Header=BB4_394 Depth=4
	s_delay_alu instid0(VALU_DEP_1)
	v_bfe_u32 v167, v176, 23, 1
; %bb.1030:                             ;   in Loop: Header=BB4_394 Depth=4
	s_or_b32 exec_lo, exec_lo, s13
	v_lshrrev_b32_e32 v176, 20, v176
	s_delay_alu instid0(VALU_DEP_2) | instskip(SKIP_2) | instid1(VALU_DEP_2)
	v_cmp_gt_i32_e32 vcc_lo, 16, v167
	v_lshrrev_b32_e32 v177, 24, v177
	v_min_i32_e32 v178, 15, v167
	v_dual_cndmask_b32 v176, 7, v176 :: v_dual_and_b32 v177, 0x80, v177
	s_delay_alu instid0(VALU_DEP_1) | instskip(SKIP_1) | instid1(VALU_DEP_2)
	v_or_b32_e32 v167, v167, v176
	v_and_b32_e32 v179, 7, v176
	v_cmp_ne_u32_e32 vcc_lo, 0, v167
	v_lshlrev_b32_e32 v178, 3, v178
	s_delay_alu instid0(VALU_DEP_1) | instskip(NEXT) | instid1(VALU_DEP_1)
	v_or3_b32 v176, v178, v177, v179
	v_cndmask_b32_e32 v167, 0, v176, vcc_lo
.LBB4_1031:                             ;   in Loop: Header=BB4_394 Depth=4
	s_or_b32 exec_lo, exec_lo, s37
.LBB4_1032:                             ;   in Loop: Header=BB4_394 Depth=4
	s_delay_alu instid0(SALU_CYCLE_1) | instskip(SKIP_3) | instid1(VALU_DEP_2)
	s_or_b32 exec_lo, exec_lo, s36
	v_lshrrev_b32_e32 v177, 16, v13
	v_lshrrev_b32_e32 v176, 16, v9
	s_and_not1_b32 vcc_lo, exec_lo, s35
	v_and_b32_e32 v178, 0xff, v177
	s_delay_alu instid0(VALU_DEP_1)
	v_cmp_lt_i16_e64 s13, 0x7f, v178
	s_cbranch_vccnz .LBB4_1042
; %bb.1033:                             ;   in Loop: Header=BB4_394 Depth=4
	s_mov_b32 s36, 0
                                        ; implicit-def: $sgpr37
	s_delay_alu instid0(VALU_DEP_1) | instskip(NEXT) | instid1(SALU_CYCLE_1)
	s_and_saveexec_b32 vcc_lo, s13
	s_xor_b32 s13, exec_lo, vcc_lo
	s_cbranch_execnz .LBB4_1672
; %bb.1034:                             ;   in Loop: Header=BB4_394 Depth=4
	s_or_saveexec_b32 s13, s13
	v_mov_b32_e32 v179, s37
	s_xor_b32 exec_lo, exec_lo, s13
	s_cbranch_execnz .LBB4_1675
.LBB4_1035:                             ;   in Loop: Header=BB4_394 Depth=4
	s_or_b32 exec_lo, exec_lo, s13
	s_and_saveexec_b32 s13, s36
	s_cbranch_execz .LBB4_1037
.LBB4_1036:                             ;   in Loop: Header=BB4_394 Depth=4
	v_bfe_u32 v179, v13, 16, 3
	v_bfe_u32 v182, v13, 19, 4
	v_lshlrev_b32_e32 v183, 24, v177
	s_delay_alu instid0(VALU_DEP_3) | instskip(NEXT) | instid1(VALU_DEP_3)
	v_clz_i32_u32_e32 v180, v179
	v_cmp_eq_u32_e32 vcc_lo, 0, v182
	s_delay_alu instid0(VALU_DEP_2) | instskip(NEXT) | instid1(VALU_DEP_1)
	v_min_u32_e32 v180, 32, v180
	v_subrev_nc_u32_e32 v181, 28, v180
	v_sub_nc_u32_e32 v180, 29, v180
	s_delay_alu instid0(VALU_DEP_1) | instskip(NEXT) | instid1(VALU_DEP_1)
	v_dual_cndmask_b32 v180, v182, v180 :: v_dual_lshlrev_b32 v181, v181, v177
	v_and_b32_e32 v181, 7, v181
	s_delay_alu instid0(VALU_DEP_2) | instskip(NEXT) | instid1(VALU_DEP_2)
	v_lshl_add_u32 v180, v180, 23, 0x3b800000
	v_cndmask_b32_e32 v179, v179, v181, vcc_lo
	v_and_b32_e32 v181, 0x80000000, v183
	s_delay_alu instid0(VALU_DEP_2) | instskip(NEXT) | instid1(VALU_DEP_1)
	v_lshlrev_b32_e32 v179, 20, v179
	v_or3_b32 v179, v181, v180, v179
.LBB4_1037:                             ;   in Loop: Header=BB4_394 Depth=4
	s_or_b32 exec_lo, exec_lo, s13
	v_and_b32_e32 v181, 0xff, v176
	s_mov_b32 s13, 0
	s_mov_b32 s37, exec_lo
                                        ; implicit-def: $sgpr36
	s_delay_alu instid0(VALU_DEP_1)
	v_cmpx_lt_i16_e64 0x7f, v181
	s_xor_b32 s37, exec_lo, s37
	s_cbranch_execnz .LBB4_1676
; %bb.1038:                             ;   in Loop: Header=BB4_394 Depth=4
	s_or_saveexec_b32 s37, s37
	v_mov_b32_e32 v180, s36
	s_xor_b32 exec_lo, exec_lo, s37
	s_cbranch_execnz .LBB4_1679
.LBB4_1039:                             ;   in Loop: Header=BB4_394 Depth=4
	s_or_b32 exec_lo, exec_lo, s37
	s_and_saveexec_b32 s36, s13
	s_cbranch_execz .LBB4_1041
.LBB4_1040:                             ;   in Loop: Header=BB4_394 Depth=4
	v_bfe_u32 v180, v9, 16, 3
	v_bfe_u32 v183, v9, 19, 4
	v_lshlrev_b32_e32 v40, 24, v176
	s_delay_alu instid0(VALU_DEP_3) | instskip(NEXT) | instid1(VALU_DEP_3)
	v_clz_i32_u32_e32 v181, v180
	v_cmp_eq_u32_e32 vcc_lo, 0, v183
	s_delay_alu instid0(VALU_DEP_2) | instskip(NEXT) | instid1(VALU_DEP_1)
	v_min_u32_e32 v181, 32, v181
	v_subrev_nc_u32_e32 v182, 28, v181
	v_sub_nc_u32_e32 v181, 29, v181
	s_delay_alu instid0(VALU_DEP_1) | instskip(NEXT) | instid1(VALU_DEP_1)
	v_dual_cndmask_b32 v181, v183, v181 :: v_dual_lshlrev_b32 v182, v182, v176
	v_and_b32_e32 v182, 7, v182
	s_delay_alu instid0(VALU_DEP_2) | instskip(NEXT) | instid1(VALU_DEP_2)
	v_lshl_add_u32 v181, v181, 23, 0x3b800000
	v_cndmask_b32_e32 v180, v180, v182, vcc_lo
	v_and_b32_e32 v182, 0x80000000, v40
	s_delay_alu instid0(VALU_DEP_2) | instskip(NEXT) | instid1(VALU_DEP_1)
	v_lshlrev_b32_e32 v180, 20, v180
	v_or3_b32 v180, v182, v181, v180
.LBB4_1041:                             ;   in Loop: Header=BB4_394 Depth=4
	s_or_b32 exec_lo, exec_lo, s36
	s_delay_alu instid0(VALU_DEP_1) | instskip(SKIP_1) | instid1(VALU_DEP_1)
	v_dual_max_f32 v180, v180, v180 :: v_dual_max_f32 v179, v179, v179
	s_mov_b32 s13, 0
	v_max_f32_e32 v179, v179, v180
	s_branch .LBB4_1043
.LBB4_1042:                             ;   in Loop: Header=BB4_394 Depth=4
	s_mov_b32 s13, -1
                                        ; implicit-def: $vgpr179
.LBB4_1043:                             ;   in Loop: Header=BB4_394 Depth=4
	s_delay_alu instid0(SALU_CYCLE_1)
	s_and_b32 vcc_lo, exec_lo, s13
	s_cbranch_vccz .LBB4_1053
; %bb.1044:                             ;   in Loop: Header=BB4_394 Depth=4
	s_mov_b32 s13, 0
	s_mov_b32 s37, exec_lo
                                        ; implicit-def: $sgpr36
	v_cmpx_lt_i16_e64 0x7f, v178
	s_xor_b32 s37, exec_lo, s37
	s_cbranch_execnz .LBB4_1680
; %bb.1045:                             ;   in Loop: Header=BB4_394 Depth=4
	s_or_saveexec_b32 s37, s37
	v_mov_b32_e32 v179, s36
	s_xor_b32 exec_lo, exec_lo, s37
	s_cbranch_execnz .LBB4_1683
.LBB4_1046:                             ;   in Loop: Header=BB4_394 Depth=4
	s_or_b32 exec_lo, exec_lo, s37
	s_and_saveexec_b32 s36, s13
	s_cbranch_execz .LBB4_1048
.LBB4_1047:                             ;   in Loop: Header=BB4_394 Depth=4
	v_bfe_u32 v178, v13, 16, 3
	v_bfe_u32 v181, v13, 19, 4
	s_delay_alu instid0(VALU_DEP_2) | instskip(NEXT) | instid1(VALU_DEP_2)
	v_clz_i32_u32_e32 v179, v178
	v_cmp_eq_u32_e32 vcc_lo, 0, v181
	s_delay_alu instid0(VALU_DEP_2) | instskip(NEXT) | instid1(VALU_DEP_1)
	v_min_u32_e32 v179, 32, v179
	v_subrev_nc_u32_e32 v180, 28, v179
	v_sub_nc_u32_e32 v179, 29, v179
	s_delay_alu instid0(VALU_DEP_1) | instskip(NEXT) | instid1(VALU_DEP_1)
	v_dual_cndmask_b32 v179, v181, v179 :: v_dual_lshlrev_b32 v180, v180, v177
	v_and_b32_e32 v180, 7, v180
	v_lshlrev_b32_e32 v177, 24, v177
	s_delay_alu instid0(VALU_DEP_3) | instskip(NEXT) | instid1(VALU_DEP_2)
	v_lshl_add_u32 v179, v179, 23, 0x3b800000
	v_dual_cndmask_b32 v178, v178, v180 :: v_dual_and_b32 v177, 0x80000000, v177
	s_delay_alu instid0(VALU_DEP_1) | instskip(NEXT) | instid1(VALU_DEP_1)
	v_lshlrev_b32_e32 v178, 20, v178
	v_or3_b32 v179, v177, v179, v178
.LBB4_1048:                             ;   in Loop: Header=BB4_394 Depth=4
	s_or_b32 exec_lo, exec_lo, s36
	v_and_b32_e32 v178, 0xff, v176
	s_mov_b32 s13, 0
	s_mov_b32 s37, exec_lo
                                        ; implicit-def: $sgpr36
	s_delay_alu instid0(VALU_DEP_1)
	v_cmpx_lt_i16_e64 0x7f, v178
	s_xor_b32 s37, exec_lo, s37
	s_cbranch_execnz .LBB4_1684
; %bb.1049:                             ;   in Loop: Header=BB4_394 Depth=4
	s_or_saveexec_b32 s37, s37
	v_mov_b32_e32 v177, s36
	s_xor_b32 exec_lo, exec_lo, s37
	s_cbranch_execnz .LBB4_1687
.LBB4_1050:                             ;   in Loop: Header=BB4_394 Depth=4
	s_or_b32 exec_lo, exec_lo, s37
	s_and_saveexec_b32 s36, s13
	s_cbranch_execz .LBB4_1052
.LBB4_1051:                             ;   in Loop: Header=BB4_394 Depth=4
	v_bfe_u32 v177, v9, 16, 3
	v_bfe_u32 v181, v9, 19, 4
	s_delay_alu instid0(VALU_DEP_2) | instskip(NEXT) | instid1(VALU_DEP_2)
	v_clz_i32_u32_e32 v178, v177
	v_cmp_eq_u32_e32 vcc_lo, 0, v181
	s_delay_alu instid0(VALU_DEP_2) | instskip(NEXT) | instid1(VALU_DEP_1)
	v_min_u32_e32 v178, 32, v178
	v_subrev_nc_u32_e32 v180, 28, v178
	v_sub_nc_u32_e32 v178, 29, v178
	s_delay_alu instid0(VALU_DEP_2) | instskip(SKIP_1) | instid1(VALU_DEP_2)
	v_lshlrev_b32_e32 v180, v180, v176
	v_lshlrev_b32_e32 v176, 24, v176
	v_and_b32_e32 v180, 7, v180
	s_delay_alu instid0(VALU_DEP_2) | instskip(NEXT) | instid1(VALU_DEP_2)
	v_and_b32_e32 v176, 0x80000000, v176
	v_cndmask_b32_e32 v177, v177, v180, vcc_lo
	s_delay_alu instid0(VALU_DEP_1) | instskip(NEXT) | instid1(VALU_DEP_1)
	v_dual_cndmask_b32 v178, v181, v178 :: v_dual_lshlrev_b32 v177, 20, v177
	v_lshl_add_u32 v178, v178, 23, 0x3b800000
	s_delay_alu instid0(VALU_DEP_1)
	v_or3_b32 v177, v176, v178, v177
.LBB4_1052:                             ;   in Loop: Header=BB4_394 Depth=4
	s_or_b32 exec_lo, exec_lo, s36
	s_delay_alu instid0(VALU_DEP_1) | instskip(NEXT) | instid1(VALU_DEP_1)
	v_dual_max_f32 v176, v177, v177 :: v_dual_max_f32 v177, v179, v179
	v_min_f32_e32 v179, v177, v176
.LBB4_1053:                             ;   in Loop: Header=BB4_394 Depth=4
	s_delay_alu instid0(VALU_DEP_1) | instskip(NEXT) | instid1(VALU_DEP_1)
	v_and_b32_e32 v176, 0x7f800000, v179
	v_cmp_ne_u32_e32 vcc_lo, 0x7f800000, v176
	v_mov_b32_e32 v176, 0x80
	s_and_saveexec_b32 s36, vcc_lo
	s_cbranch_execz .LBB4_1061
; %bb.1054:                             ;   in Loop: Header=BB4_394 Depth=4
	v_mov_b32_e32 v176, 0
	s_mov_b32 s37, exec_lo
	v_cmpx_ne_u32_e32 0, v179
	s_cbranch_execz .LBB4_1060
; %bb.1055:                             ;   in Loop: Header=BB4_394 Depth=4
	v_bfe_u32 v176, v179, 23, 8
	s_delay_alu instid0(VALU_DEP_1) | instskip(SKIP_1) | instid1(VALU_DEP_2)
	v_sub_nc_u32_e32 v178, 0x78, v176
	v_cmp_gt_u32_e32 vcc_lo, 0x79, v176
	v_dual_cndmask_b32 v178, 0, v178 :: v_dual_and_b32 v177, 0x7fffff, v179
	s_delay_alu instid0(VALU_DEP_1) | instskip(SKIP_2) | instid1(VALU_DEP_4)
	v_or_b32_e32 v180, 0x800000, v177
	v_cmp_eq_u32_e32 vcc_lo, 0, v176
	v_add_nc_u32_e32 v176, 0xffffff89, v176
	v_cndmask_b32_e64 v178, v178, 0x77, vcc_lo
	s_delay_alu instid0(VALU_DEP_4) | instskip(NEXT) | instid1(VALU_DEP_3)
	v_cndmask_b32_e32 v177, v180, v177, vcc_lo
	v_cndmask_b32_e64 v176, v176, 0xffffff8a, vcc_lo
	s_delay_alu instid0(VALU_DEP_3) | instskip(NEXT) | instid1(VALU_DEP_3)
	v_lshl_add_u32 v180, 0x100000, v178, -1
	v_lshrrev_b32_e32 v181, v178, v177
	v_lshlrev_b32_e64 v183, v178, 0x80000
	s_delay_alu instid0(VALU_DEP_4) | instskip(NEXT) | instid1(VALU_DEP_4)
	v_add_nc_u32_e32 v178, v178, v176
	v_and_b32_e32 v177, v180, v177
	s_delay_alu instid0(VALU_DEP_4) | instskip(NEXT) | instid1(VALU_DEP_2)
	v_bfe_u32 v182, v181, 20, 1
	v_cmp_eq_u32_e64 s13, v177, v183
	s_delay_alu instid0(VALU_DEP_2) | instskip(NEXT) | instid1(VALU_DEP_1)
	v_add_nc_u32_e32 v180, -1, v182
	v_cndmask_b32_e64 v177, 0, v180, s13
	v_lshrrev_b32_e32 v180, 23, v181
	s_mov_b32 s13, exec_lo
	s_delay_alu instid0(VALU_DEP_2) | instskip(NEXT) | instid1(VALU_DEP_2)
	v_add_nc_u32_e32 v177, v177, v181
	v_xor_b32_e32 v180, 1, v180
	s_delay_alu instid0(VALU_DEP_2) | instskip(NEXT) | instid1(VALU_DEP_1)
	v_and_b32_e32 v176, 0xfffff, v177
	v_add_nc_u32_e32 v177, v176, v181
                                        ; implicit-def: $vgpr176
	s_delay_alu instid0(VALU_DEP_3)
	v_cmpx_ne_u32_e64 v178, v180
	s_xor_b32 s13, exec_lo, s13
; %bb.1056:                             ;   in Loop: Header=BB4_394 Depth=4
	s_delay_alu instid0(VALU_DEP_2) | instskip(SKIP_2) | instid1(VALU_DEP_2)
	v_cmp_lt_u32_e32 vcc_lo, 0xffffff, v177
	v_sub_nc_u32_e32 v176, v178, v180
	v_cndmask_b32_e64 v178, 0, 1, vcc_lo
	v_add_co_ci_u32_e32 v176, vcc_lo, 0, v176, vcc_lo
	s_delay_alu instid0(VALU_DEP_2)
	v_lshrrev_b32_e32 v177, v178, v177
; %bb.1057:                             ;   in Loop: Header=BB4_394 Depth=4
	s_and_not1_saveexec_b32 s13, s13
; %bb.1058:                             ;   in Loop: Header=BB4_394 Depth=4
	s_delay_alu instid0(VALU_DEP_1)
	v_bfe_u32 v176, v177, 23, 1
; %bb.1059:                             ;   in Loop: Header=BB4_394 Depth=4
	s_or_b32 exec_lo, exec_lo, s13
	v_lshrrev_b32_e32 v177, 20, v177
	s_delay_alu instid0(VALU_DEP_2) | instskip(SKIP_2) | instid1(VALU_DEP_2)
	v_cmp_gt_i32_e32 vcc_lo, 16, v176
	v_min_i32_e32 v178, 15, v176
	v_lshrrev_b32_e32 v179, 24, v179
	v_dual_cndmask_b32 v177, 7, v177 :: v_dual_lshlrev_b32 v178, 3, v178
	s_delay_alu instid0(VALU_DEP_1) | instskip(SKIP_1) | instid1(VALU_DEP_3)
	v_or_b32_e32 v176, v176, v177
	v_and_b32_e32 v180, 7, v177
	v_and_b32_e32 v178, 0xf8, v178
	s_delay_alu instid0(VALU_DEP_3) | instskip(SKIP_1) | instid1(VALU_DEP_1)
	v_cmp_ne_u32_e32 vcc_lo, 0, v176
	v_and_b32_e32 v179, 0x80, v179
	v_or3_b32 v177, v178, v179, v180
	s_delay_alu instid0(VALU_DEP_1)
	v_cndmask_b32_e32 v176, 0, v177, vcc_lo
.LBB4_1060:                             ;   in Loop: Header=BB4_394 Depth=4
	s_or_b32 exec_lo, exec_lo, s37
.LBB4_1061:                             ;   in Loop: Header=BB4_394 Depth=4
	s_delay_alu instid0(SALU_CYCLE_1) | instskip(SKIP_3) | instid1(VALU_DEP_2)
	s_or_b32 exec_lo, exec_lo, s36
	v_lshrrev_b32_e32 v178, 24, v13
	v_lshrrev_b32_e32 v177, 24, v9
	s_and_not1_b32 vcc_lo, exec_lo, s35
	v_cmp_lt_i16_e64 s13, 0x7f, v178
	s_cbranch_vccnz .LBB4_1071
; %bb.1062:                             ;   in Loop: Header=BB4_394 Depth=4
	s_mov_b32 s36, 0
                                        ; implicit-def: $sgpr37
	s_delay_alu instid0(VALU_DEP_1) | instskip(NEXT) | instid1(SALU_CYCLE_1)
	s_and_saveexec_b32 vcc_lo, s13
	s_xor_b32 s13, exec_lo, vcc_lo
	s_cbranch_execnz .LBB4_1688
; %bb.1063:                             ;   in Loop: Header=BB4_394 Depth=4
	s_or_saveexec_b32 s13, s13
	v_mov_b32_e32 v179, s37
	s_xor_b32 exec_lo, exec_lo, s13
	s_cbranch_execnz .LBB4_1691
.LBB4_1064:                             ;   in Loop: Header=BB4_394 Depth=4
	s_or_b32 exec_lo, exec_lo, s13
	s_and_saveexec_b32 s13, s36
	s_cbranch_execz .LBB4_1066
.LBB4_1065:                             ;   in Loop: Header=BB4_394 Depth=4
	v_bfe_u32 v179, v13, 24, 3
	v_bfe_u32 v182, v13, 27, 4
	s_delay_alu instid0(VALU_DEP_2) | instskip(NEXT) | instid1(VALU_DEP_2)
	v_clz_i32_u32_e32 v180, v179
	v_cmp_eq_u32_e32 vcc_lo, 0, v182
	s_delay_alu instid0(VALU_DEP_2) | instskip(NEXT) | instid1(VALU_DEP_1)
	v_min_u32_e32 v180, 32, v180
	v_subrev_nc_u32_e32 v181, 28, v180
	v_sub_nc_u32_e32 v180, 29, v180
	s_delay_alu instid0(VALU_DEP_1) | instskip(NEXT) | instid1(VALU_DEP_1)
	v_dual_cndmask_b32 v180, v182, v180 :: v_dual_lshlrev_b32 v181, v181, v178
	v_and_b32_e32 v181, 7, v181
	s_delay_alu instid0(VALU_DEP_2) | instskip(NEXT) | instid1(VALU_DEP_2)
	v_lshl_add_u32 v180, v180, 23, 0x3b800000
	v_cndmask_b32_e32 v179, v179, v181, vcc_lo
	v_and_b32_e32 v181, 0x80000000, v13
	s_delay_alu instid0(VALU_DEP_2) | instskip(NEXT) | instid1(VALU_DEP_1)
	v_lshlrev_b32_e32 v179, 20, v179
	v_or3_b32 v179, v181, v180, v179
.LBB4_1066:                             ;   in Loop: Header=BB4_394 Depth=4
	s_or_b32 exec_lo, exec_lo, s13
	s_mov_b32 s13, 0
	s_mov_b32 s37, exec_lo
                                        ; implicit-def: $sgpr36
	v_cmpx_lt_i16_e64 0x7f, v177
	s_xor_b32 s37, exec_lo, s37
	s_cbranch_execnz .LBB4_1692
; %bb.1067:                             ;   in Loop: Header=BB4_394 Depth=4
	s_or_saveexec_b32 s37, s37
	v_mov_b32_e32 v180, s36
	s_xor_b32 exec_lo, exec_lo, s37
	s_cbranch_execnz .LBB4_1695
.LBB4_1068:                             ;   in Loop: Header=BB4_394 Depth=4
	s_or_b32 exec_lo, exec_lo, s37
	s_and_saveexec_b32 s36, s13
	s_cbranch_execz .LBB4_1070
.LBB4_1069:                             ;   in Loop: Header=BB4_394 Depth=4
	v_bfe_u32 v180, v9, 24, 3
	v_bfe_u32 v183, v9, 27, 4
	s_delay_alu instid0(VALU_DEP_2) | instskip(NEXT) | instid1(VALU_DEP_2)
	v_clz_i32_u32_e32 v181, v180
	v_cmp_eq_u32_e32 vcc_lo, 0, v183
	s_delay_alu instid0(VALU_DEP_2) | instskip(NEXT) | instid1(VALU_DEP_1)
	v_min_u32_e32 v181, 32, v181
	v_subrev_nc_u32_e32 v182, 28, v181
	v_sub_nc_u32_e32 v181, 29, v181
	s_delay_alu instid0(VALU_DEP_2) | instskip(NEXT) | instid1(VALU_DEP_1)
	v_lshlrev_b32_e32 v182, v182, v177
	v_dual_cndmask_b32 v181, v183, v181 :: v_dual_and_b32 v182, 7, v182
	s_delay_alu instid0(VALU_DEP_1) | instskip(NEXT) | instid1(VALU_DEP_2)
	v_lshl_add_u32 v181, v181, 23, 0x3b800000
	v_cndmask_b32_e32 v180, v180, v182, vcc_lo
	v_and_b32_e32 v182, 0x80000000, v9
	s_delay_alu instid0(VALU_DEP_2) | instskip(NEXT) | instid1(VALU_DEP_1)
	v_lshlrev_b32_e32 v180, 20, v180
	v_or3_b32 v180, v182, v181, v180
.LBB4_1070:                             ;   in Loop: Header=BB4_394 Depth=4
	s_or_b32 exec_lo, exec_lo, s36
	s_delay_alu instid0(VALU_DEP_1) | instskip(SKIP_1) | instid1(VALU_DEP_1)
	v_dual_max_f32 v180, v180, v180 :: v_dual_max_f32 v179, v179, v179
	s_mov_b32 s13, 0
	v_max_f32_e32 v179, v179, v180
	s_branch .LBB4_1072
.LBB4_1071:                             ;   in Loop: Header=BB4_394 Depth=4
	s_mov_b32 s13, -1
                                        ; implicit-def: $vgpr179
.LBB4_1072:                             ;   in Loop: Header=BB4_394 Depth=4
	s_delay_alu instid0(SALU_CYCLE_1)
	s_and_b32 vcc_lo, exec_lo, s13
	s_cbranch_vccz .LBB4_1082
; %bb.1073:                             ;   in Loop: Header=BB4_394 Depth=4
	s_mov_b32 s13, 0
	s_mov_b32 s37, exec_lo
                                        ; implicit-def: $sgpr36
	v_cmpx_lt_i16_e64 0x7f, v178
	s_xor_b32 s37, exec_lo, s37
	s_cbranch_execnz .LBB4_1696
; %bb.1074:                             ;   in Loop: Header=BB4_394 Depth=4
	s_or_saveexec_b32 s37, s37
	v_mov_b32_e32 v179, s36
	s_xor_b32 exec_lo, exec_lo, s37
	s_cbranch_execnz .LBB4_1699
.LBB4_1075:                             ;   in Loop: Header=BB4_394 Depth=4
	s_or_b32 exec_lo, exec_lo, s37
	s_and_saveexec_b32 s36, s13
	s_cbranch_execz .LBB4_1077
.LBB4_1076:                             ;   in Loop: Header=BB4_394 Depth=4
	v_bfe_u32 v179, v13, 24, 3
	s_delay_alu instid0(VALU_DEP_1) | instskip(NEXT) | instid1(VALU_DEP_1)
	v_clz_i32_u32_e32 v180, v179
	v_min_u32_e32 v180, 32, v180
	s_delay_alu instid0(VALU_DEP_1) | instskip(SKIP_1) | instid1(VALU_DEP_2)
	v_subrev_nc_u32_e32 v181, 28, v180
	v_sub_nc_u32_e32 v180, 29, v180
	v_lshlrev_b32_e32 v178, v181, v178
	v_bfe_u32 v181, v13, 27, 4
	v_and_b32_e32 v13, 0x80000000, v13
	s_delay_alu instid0(VALU_DEP_3) | instskip(NEXT) | instid1(VALU_DEP_3)
	v_and_b32_e32 v178, 7, v178
	v_cmp_eq_u32_e32 vcc_lo, 0, v181
	v_cndmask_b32_e32 v180, v181, v180, vcc_lo
	s_delay_alu instid0(VALU_DEP_3) | instskip(NEXT) | instid1(VALU_DEP_2)
	v_cndmask_b32_e32 v178, v179, v178, vcc_lo
	v_lshl_add_u32 v179, v180, 23, 0x3b800000
	s_delay_alu instid0(VALU_DEP_2) | instskip(NEXT) | instid1(VALU_DEP_1)
	v_lshlrev_b32_e32 v178, 20, v178
	v_or3_b32 v179, v13, v179, v178
.LBB4_1077:                             ;   in Loop: Header=BB4_394 Depth=4
	s_or_b32 exec_lo, exec_lo, s36
	s_mov_b32 s13, 0
	s_mov_b32 s37, exec_lo
                                        ; implicit-def: $sgpr36
	v_cmpx_lt_i16_e64 0x7f, v177
	s_xor_b32 s37, exec_lo, s37
	s_cbranch_execnz .LBB4_1700
; %bb.1078:                             ;   in Loop: Header=BB4_394 Depth=4
	s_or_saveexec_b32 s37, s37
	v_mov_b32_e32 v13, s36
	s_xor_b32 exec_lo, exec_lo, s37
	s_cbranch_execnz .LBB4_1703
.LBB4_1079:                             ;   in Loop: Header=BB4_394 Depth=4
	s_or_b32 exec_lo, exec_lo, s37
	s_and_saveexec_b32 s36, s13
	s_cbranch_execz .LBB4_1081
.LBB4_1080:                             ;   in Loop: Header=BB4_394 Depth=4
	v_bfe_u32 v13, v9, 24, 3
	s_delay_alu instid0(VALU_DEP_1) | instskip(NEXT) | instid1(VALU_DEP_1)
	v_clz_i32_u32_e32 v178, v13
	v_min_u32_e32 v178, 32, v178
	s_delay_alu instid0(VALU_DEP_1) | instskip(SKIP_1) | instid1(VALU_DEP_2)
	v_subrev_nc_u32_e32 v180, 28, v178
	v_sub_nc_u32_e32 v178, 29, v178
	v_lshlrev_b32_e32 v177, v180, v177
	v_bfe_u32 v180, v9, 27, 4
	v_and_b32_e32 v9, 0x80000000, v9
	s_delay_alu instid0(VALU_DEP_2) | instskip(NEXT) | instid1(VALU_DEP_4)
	v_cmp_eq_u32_e32 vcc_lo, 0, v180
	v_dual_cndmask_b32 v178, v180, v178 :: v_dual_and_b32 v177, 7, v177
	s_delay_alu instid0(VALU_DEP_1) | instskip(NEXT) | instid1(VALU_DEP_2)
	v_cndmask_b32_e32 v13, v13, v177, vcc_lo
	v_lshl_add_u32 v177, v178, 23, 0x3b800000
	s_delay_alu instid0(VALU_DEP_2) | instskip(NEXT) | instid1(VALU_DEP_1)
	v_lshlrev_b32_e32 v13, 20, v13
	v_or3_b32 v13, v9, v177, v13
.LBB4_1081:                             ;   in Loop: Header=BB4_394 Depth=4
	s_or_b32 exec_lo, exec_lo, s36
	s_delay_alu instid0(VALU_DEP_1) | instskip(SKIP_1) | instid1(VALU_DEP_1)
	v_max_f32_e32 v9, v13, v13
	v_max_f32_e32 v13, v179, v179
	v_min_f32_e32 v179, v13, v9
.LBB4_1082:                             ;   in Loop: Header=BB4_394 Depth=4
	s_delay_alu instid0(VALU_DEP_1) | instskip(NEXT) | instid1(VALU_DEP_1)
	v_and_b32_e32 v9, 0x7f800000, v179
	v_cmp_ne_u32_e32 vcc_lo, 0x7f800000, v9
	v_mov_b32_e32 v9, 0x8000
	s_and_saveexec_b32 s36, vcc_lo
	s_cbranch_execz .LBB4_1090
; %bb.1083:                             ;   in Loop: Header=BB4_394 Depth=4
	v_mov_b32_e32 v9, 0
	s_mov_b32 s37, exec_lo
	v_cmpx_ne_u32_e32 0, v179
	s_cbranch_execz .LBB4_1089
; %bb.1084:                             ;   in Loop: Header=BB4_394 Depth=4
	v_bfe_u32 v9, v179, 23, 8
	v_and_b32_e32 v13, 0x7fffff, v179
	s_delay_alu instid0(VALU_DEP_2) | instskip(SKIP_1) | instid1(VALU_DEP_3)
	v_sub_nc_u32_e32 v177, 0x78, v9
	v_cmp_gt_u32_e32 vcc_lo, 0x79, v9
	v_or_b32_e32 v178, 0x800000, v13
	s_delay_alu instid0(VALU_DEP_3) | instskip(SKIP_2) | instid1(VALU_DEP_3)
	v_cndmask_b32_e32 v177, 0, v177, vcc_lo
	v_cmp_eq_u32_e32 vcc_lo, 0, v9
	v_add_nc_u32_e32 v9, 0xffffff89, v9
	v_cndmask_b32_e64 v177, v177, 0x77, vcc_lo
	v_cndmask_b32_e32 v13, v178, v13, vcc_lo
	s_delay_alu instid0(VALU_DEP_3) | instskip(NEXT) | instid1(VALU_DEP_3)
	v_cndmask_b32_e64 v9, v9, 0xffffff8a, vcc_lo
	v_lshl_add_u32 v178, 0x100000, v177, -1
	s_delay_alu instid0(VALU_DEP_3) | instskip(SKIP_1) | instid1(VALU_DEP_4)
	v_lshrrev_b32_e32 v180, v177, v13
	v_lshlrev_b32_e64 v182, v177, 0x80000
	v_add_nc_u32_e32 v177, v177, v9
	s_delay_alu instid0(VALU_DEP_4) | instskip(NEXT) | instid1(VALU_DEP_4)
	v_and_b32_e32 v13, v178, v13
	v_bfe_u32 v181, v180, 20, 1
	s_delay_alu instid0(VALU_DEP_2) | instskip(NEXT) | instid1(VALU_DEP_2)
	v_cmp_eq_u32_e64 s13, v13, v182
	v_add_nc_u32_e32 v178, -1, v181
	s_delay_alu instid0(VALU_DEP_1) | instskip(SKIP_2) | instid1(VALU_DEP_2)
	v_cndmask_b32_e64 v13, 0, v178, s13
	v_lshrrev_b32_e32 v178, 23, v180
	s_mov_b32 s13, exec_lo
	v_add_nc_u32_e32 v13, v13, v180
	s_delay_alu instid0(VALU_DEP_2) | instskip(NEXT) | instid1(VALU_DEP_2)
	v_xor_b32_e32 v178, 1, v178
	v_and_b32_e32 v9, 0xfffff, v13
	s_delay_alu instid0(VALU_DEP_1) | instskip(NEXT) | instid1(VALU_DEP_3)
	v_add_nc_u32_e32 v13, v9, v180
                                        ; implicit-def: $vgpr9
	v_cmpx_ne_u32_e64 v177, v178
	s_xor_b32 s13, exec_lo, s13
; %bb.1085:                             ;   in Loop: Header=BB4_394 Depth=4
	s_delay_alu instid0(VALU_DEP_2) | instskip(SKIP_2) | instid1(VALU_DEP_2)
	v_cmp_lt_u32_e32 vcc_lo, 0xffffff, v13
	v_sub_nc_u32_e32 v9, v177, v178
	v_cndmask_b32_e64 v177, 0, 1, vcc_lo
	v_add_co_ci_u32_e32 v9, vcc_lo, 0, v9, vcc_lo
	s_delay_alu instid0(VALU_DEP_2)
	v_lshrrev_b32_e32 v13, v177, v13
; %bb.1086:                             ;   in Loop: Header=BB4_394 Depth=4
	s_and_not1_saveexec_b32 s13, s13
; %bb.1087:                             ;   in Loop: Header=BB4_394 Depth=4
	s_delay_alu instid0(VALU_DEP_1)
	v_bfe_u32 v9, v13, 23, 1
; %bb.1088:                             ;   in Loop: Header=BB4_394 Depth=4
	s_or_b32 exec_lo, exec_lo, s13
	v_lshrrev_b32_e32 v13, 20, v13
	s_delay_alu instid0(VALU_DEP_2) | instskip(SKIP_2) | instid1(VALU_DEP_3)
	v_min_i32_e32 v177, 15, v9
	v_cmp_gt_i32_e32 vcc_lo, 16, v9
	v_lshrrev_b32_e32 v178, 24, v179
	v_lshlrev_b32_e32 v177, 3, v177
	s_delay_alu instid0(VALU_DEP_2) | instskip(NEXT) | instid1(VALU_DEP_2)
	v_dual_cndmask_b32 v13, 7, v13 :: v_dual_and_b32 v178, 0x80, v178
	v_and_b32_e32 v177, 0xf8, v177
	s_delay_alu instid0(VALU_DEP_2) | instskip(SKIP_1) | instid1(VALU_DEP_2)
	v_and_b32_e32 v179, 7, v13
	v_or_b32_e32 v9, v9, v13
	v_or3_b32 v177, v178, v177, v179
	s_delay_alu instid0(VALU_DEP_2) | instskip(NEXT) | instid1(VALU_DEP_2)
	v_cmp_ne_u32_e32 vcc_lo, 0, v9
	v_lshlrev_b32_e32 v13, 8, v177
	s_delay_alu instid0(VALU_DEP_1)
	v_cndmask_b32_e32 v9, 0, v13, vcc_lo
.LBB4_1089:                             ;   in Loop: Header=BB4_394 Depth=4
	s_or_b32 exec_lo, exec_lo, s37
.LBB4_1090:                             ;   in Loop: Header=BB4_394 Depth=4
	s_delay_alu instid0(SALU_CYCLE_1) | instskip(SKIP_2) | instid1(VALU_DEP_1)
	s_or_b32 exec_lo, exec_lo, s36
	v_and_b32_e32 v13, 0xff, v14
	s_and_not1_b32 vcc_lo, exec_lo, s35
	v_cmp_lt_i16_e64 s13, 0x7f, v13
	s_cbranch_vccnz .LBB4_1100
; %bb.1091:                             ;   in Loop: Header=BB4_394 Depth=4
	s_mov_b32 s36, 0
                                        ; implicit-def: $sgpr37
	s_delay_alu instid0(VALU_DEP_1) | instskip(NEXT) | instid1(SALU_CYCLE_1)
	s_and_saveexec_b32 vcc_lo, s13
	s_xor_b32 s13, exec_lo, vcc_lo
	s_cbranch_execnz .LBB4_1704
; %bb.1092:                             ;   in Loop: Header=BB4_394 Depth=4
	s_or_saveexec_b32 s13, s13
	v_mov_b32_e32 v177, s37
	s_xor_b32 exec_lo, exec_lo, s13
	s_cbranch_execnz .LBB4_1707
.LBB4_1093:                             ;   in Loop: Header=BB4_394 Depth=4
	s_or_b32 exec_lo, exec_lo, s13
	s_and_saveexec_b32 s13, s36
	s_cbranch_execz .LBB4_1095
.LBB4_1094:                             ;   in Loop: Header=BB4_394 Depth=4
	v_and_b32_e32 v177, 7, v14
	v_bfe_u32 v180, v14, 3, 4
	v_lshlrev_b32_e32 v181, 24, v14
	s_delay_alu instid0(VALU_DEP_3) | instskip(NEXT) | instid1(VALU_DEP_3)
	v_clz_i32_u32_e32 v178, v177
	v_cmp_eq_u32_e32 vcc_lo, 0, v180
	s_delay_alu instid0(VALU_DEP_2) | instskip(NEXT) | instid1(VALU_DEP_1)
	v_min_u32_e32 v178, 32, v178
	v_subrev_nc_u32_e32 v179, 28, v178
	v_sub_nc_u32_e32 v178, 29, v178
	s_delay_alu instid0(VALU_DEP_2) | instskip(NEXT) | instid1(VALU_DEP_1)
	v_lshlrev_b32_e32 v179, v179, v14
	v_dual_cndmask_b32 v178, v180, v178 :: v_dual_and_b32 v179, 7, v179
	s_delay_alu instid0(VALU_DEP_1) | instskip(NEXT) | instid1(VALU_DEP_2)
	v_lshl_add_u32 v178, v178, 23, 0x3b800000
	v_cndmask_b32_e32 v177, v177, v179, vcc_lo
	v_and_b32_e32 v179, 0x80000000, v181
	s_delay_alu instid0(VALU_DEP_2) | instskip(NEXT) | instid1(VALU_DEP_1)
	v_lshlrev_b32_e32 v177, 20, v177
	v_or3_b32 v177, v179, v178, v177
.LBB4_1095:                             ;   in Loop: Header=BB4_394 Depth=4
	s_or_b32 exec_lo, exec_lo, s13
	v_and_b32_e32 v179, 0xff, v10
	s_mov_b32 s13, 0
	s_mov_b32 s37, exec_lo
                                        ; implicit-def: $sgpr36
	s_delay_alu instid0(VALU_DEP_1)
	v_cmpx_lt_i16_e64 0x7f, v179
	s_xor_b32 s37, exec_lo, s37
	s_cbranch_execnz .LBB4_1708
; %bb.1096:                             ;   in Loop: Header=BB4_394 Depth=4
	s_or_saveexec_b32 s37, s37
	v_mov_b32_e32 v178, s36
	s_xor_b32 exec_lo, exec_lo, s37
	s_cbranch_execnz .LBB4_1711
.LBB4_1097:                             ;   in Loop: Header=BB4_394 Depth=4
	s_or_b32 exec_lo, exec_lo, s37
	s_and_saveexec_b32 s36, s13
	s_cbranch_execz .LBB4_1099
.LBB4_1098:                             ;   in Loop: Header=BB4_394 Depth=4
	v_bfe_u32 v181, v10, 3, 4
	v_lshlrev_b32_e32 v182, 24, v10
	s_delay_alu instid0(VALU_DEP_2) | instskip(SKIP_1) | instid1(VALU_DEP_1)
	v_cmp_eq_u32_e32 vcc_lo, 0, v181
	v_and_b32_e32 v178, 7, v10
	v_clz_i32_u32_e32 v179, v178
	s_delay_alu instid0(VALU_DEP_1) | instskip(NEXT) | instid1(VALU_DEP_1)
	v_min_u32_e32 v179, 32, v179
	v_subrev_nc_u32_e32 v180, 28, v179
	v_sub_nc_u32_e32 v179, 29, v179
	s_delay_alu instid0(VALU_DEP_1) | instskip(NEXT) | instid1(VALU_DEP_1)
	v_dual_cndmask_b32 v179, v181, v179 :: v_dual_lshlrev_b32 v180, v180, v10
	v_and_b32_e32 v180, 7, v180
	s_delay_alu instid0(VALU_DEP_2) | instskip(NEXT) | instid1(VALU_DEP_2)
	v_lshl_add_u32 v179, v179, 23, 0x3b800000
	v_cndmask_b32_e32 v178, v178, v180, vcc_lo
	v_and_b32_e32 v180, 0x80000000, v182
	s_delay_alu instid0(VALU_DEP_2) | instskip(NEXT) | instid1(VALU_DEP_1)
	v_lshlrev_b32_e32 v178, 20, v178
	v_or3_b32 v178, v180, v179, v178
.LBB4_1099:                             ;   in Loop: Header=BB4_394 Depth=4
	s_or_b32 exec_lo, exec_lo, s36
	s_delay_alu instid0(VALU_DEP_1) | instskip(SKIP_1) | instid1(VALU_DEP_1)
	v_dual_max_f32 v178, v178, v178 :: v_dual_max_f32 v177, v177, v177
	s_mov_b32 s13, 0
	v_max_f32_e32 v177, v177, v178
	s_branch .LBB4_1101
.LBB4_1100:                             ;   in Loop: Header=BB4_394 Depth=4
	s_mov_b32 s13, -1
                                        ; implicit-def: $vgpr177
.LBB4_1101:                             ;   in Loop: Header=BB4_394 Depth=4
	s_delay_alu instid0(SALU_CYCLE_1)
	s_and_b32 vcc_lo, exec_lo, s13
	s_cbranch_vccz .LBB4_1111
; %bb.1102:                             ;   in Loop: Header=BB4_394 Depth=4
	s_mov_b32 s13, 0
	s_mov_b32 s37, exec_lo
                                        ; implicit-def: $sgpr36
	v_cmpx_lt_i16_e32 0x7f, v13
	s_xor_b32 s37, exec_lo, s37
	s_cbranch_execnz .LBB4_1712
; %bb.1103:                             ;   in Loop: Header=BB4_394 Depth=4
	s_or_saveexec_b32 s37, s37
	v_mov_b32_e32 v177, s36
	s_xor_b32 exec_lo, exec_lo, s37
	s_cbranch_execnz .LBB4_1715
.LBB4_1104:                             ;   in Loop: Header=BB4_394 Depth=4
	s_or_b32 exec_lo, exec_lo, s37
	s_and_saveexec_b32 s36, s13
	s_cbranch_execz .LBB4_1106
.LBB4_1105:                             ;   in Loop: Header=BB4_394 Depth=4
	v_and_b32_e32 v13, 7, v14
	v_bfe_u32 v179, v14, 3, 4
	v_lshlrev_b32_e32 v180, 24, v14
	s_delay_alu instid0(VALU_DEP_3) | instskip(NEXT) | instid1(VALU_DEP_3)
	v_clz_i32_u32_e32 v177, v13
	v_cmp_eq_u32_e32 vcc_lo, 0, v179
	s_delay_alu instid0(VALU_DEP_2) | instskip(NEXT) | instid1(VALU_DEP_1)
	v_min_u32_e32 v177, 32, v177
	v_subrev_nc_u32_e32 v178, 28, v177
	v_sub_nc_u32_e32 v177, 29, v177
	s_delay_alu instid0(VALU_DEP_1) | instskip(NEXT) | instid1(VALU_DEP_1)
	v_dual_cndmask_b32 v177, v179, v177 :: v_dual_lshlrev_b32 v178, v178, v14
	v_and_b32_e32 v178, 7, v178
	s_delay_alu instid0(VALU_DEP_2) | instskip(NEXT) | instid1(VALU_DEP_2)
	v_lshl_add_u32 v177, v177, 23, 0x3b800000
	v_dual_cndmask_b32 v13, v13, v178 :: v_dual_and_b32 v178, 0x80000000, v180
	s_delay_alu instid0(VALU_DEP_1) | instskip(NEXT) | instid1(VALU_DEP_1)
	v_lshlrev_b32_e32 v13, 20, v13
	v_or3_b32 v177, v178, v177, v13
.LBB4_1106:                             ;   in Loop: Header=BB4_394 Depth=4
	s_or_b32 exec_lo, exec_lo, s36
	v_and_b32_e32 v178, 0xff, v10
	s_mov_b32 s13, 0
	s_mov_b32 s37, exec_lo
                                        ; implicit-def: $sgpr36
	s_delay_alu instid0(VALU_DEP_1)
	v_cmpx_lt_i16_e64 0x7f, v178
	s_xor_b32 s37, exec_lo, s37
	s_cbranch_execnz .LBB4_1716
; %bb.1107:                             ;   in Loop: Header=BB4_394 Depth=4
	s_or_saveexec_b32 s37, s37
	v_mov_b32_e32 v13, s36
	s_xor_b32 exec_lo, exec_lo, s37
	s_cbranch_execnz .LBB4_1719
.LBB4_1108:                             ;   in Loop: Header=BB4_394 Depth=4
	s_or_b32 exec_lo, exec_lo, s37
	s_and_saveexec_b32 s36, s13
	s_cbranch_execz .LBB4_1110
.LBB4_1109:                             ;   in Loop: Header=BB4_394 Depth=4
	v_and_b32_e32 v13, 7, v10
	v_bfe_u32 v180, v10, 3, 4
	v_lshlrev_b32_e32 v181, 24, v10
	s_delay_alu instid0(VALU_DEP_3) | instskip(NEXT) | instid1(VALU_DEP_3)
	v_clz_i32_u32_e32 v178, v13
	v_cmp_eq_u32_e32 vcc_lo, 0, v180
	s_delay_alu instid0(VALU_DEP_2) | instskip(NEXT) | instid1(VALU_DEP_1)
	v_min_u32_e32 v178, 32, v178
	v_subrev_nc_u32_e32 v179, 28, v178
	v_sub_nc_u32_e32 v178, 29, v178
	s_delay_alu instid0(VALU_DEP_2) | instskip(NEXT) | instid1(VALU_DEP_1)
	v_lshlrev_b32_e32 v179, v179, v10
	v_dual_cndmask_b32 v178, v180, v178 :: v_dual_and_b32 v179, 7, v179
	s_delay_alu instid0(VALU_DEP_1) | instskip(NEXT) | instid1(VALU_DEP_2)
	v_lshl_add_u32 v178, v178, 23, 0x3b800000
	v_cndmask_b32_e32 v13, v13, v179, vcc_lo
	v_and_b32_e32 v179, 0x80000000, v181
	s_delay_alu instid0(VALU_DEP_2) | instskip(NEXT) | instid1(VALU_DEP_1)
	v_lshlrev_b32_e32 v13, 20, v13
	v_or3_b32 v13, v179, v178, v13
.LBB4_1110:                             ;   in Loop: Header=BB4_394 Depth=4
	s_or_b32 exec_lo, exec_lo, s36
	s_delay_alu instid0(VALU_DEP_1) | instskip(SKIP_1) | instid1(VALU_DEP_1)
	v_max_f32_e32 v13, v13, v13
	v_max_f32_e32 v177, v177, v177
	v_min_f32_e32 v177, v177, v13
.LBB4_1111:                             ;   in Loop: Header=BB4_394 Depth=4
	s_delay_alu instid0(VALU_DEP_1) | instskip(NEXT) | instid1(VALU_DEP_1)
	v_and_b32_e32 v13, 0x7f800000, v177
	v_cmp_ne_u32_e32 vcc_lo, 0x7f800000, v13
	v_mov_b32_e32 v13, 0x80
	s_and_saveexec_b32 s36, vcc_lo
	s_cbranch_execz .LBB4_1119
; %bb.1112:                             ;   in Loop: Header=BB4_394 Depth=4
	v_mov_b32_e32 v13, 0
	s_mov_b32 s37, exec_lo
	v_cmpx_ne_u32_e32 0, v177
	s_cbranch_execz .LBB4_1118
; %bb.1113:                             ;   in Loop: Header=BB4_394 Depth=4
	v_bfe_u32 v13, v177, 23, 8
	s_delay_alu instid0(VALU_DEP_1) | instskip(SKIP_1) | instid1(VALU_DEP_2)
	v_sub_nc_u32_e32 v179, 0x78, v13
	v_cmp_gt_u32_e32 vcc_lo, 0x79, v13
	v_dual_cndmask_b32 v179, 0, v179 :: v_dual_and_b32 v178, 0x7fffff, v177
	s_delay_alu instid0(VALU_DEP_1) | instskip(SKIP_2) | instid1(VALU_DEP_4)
	v_or_b32_e32 v180, 0x800000, v178
	v_cmp_eq_u32_e32 vcc_lo, 0, v13
	v_add_nc_u32_e32 v13, 0xffffff89, v13
	v_cndmask_b32_e64 v179, v179, 0x77, vcc_lo
	s_delay_alu instid0(VALU_DEP_4) | instskip(NEXT) | instid1(VALU_DEP_3)
	v_cndmask_b32_e32 v178, v180, v178, vcc_lo
	v_cndmask_b32_e64 v13, v13, 0xffffff8a, vcc_lo
	s_delay_alu instid0(VALU_DEP_3) | instskip(NEXT) | instid1(VALU_DEP_3)
	v_lshl_add_u32 v180, 0x100000, v179, -1
	v_lshrrev_b32_e32 v181, v179, v178
	v_lshlrev_b32_e64 v183, v179, 0x80000
	s_delay_alu instid0(VALU_DEP_4) | instskip(NEXT) | instid1(VALU_DEP_4)
	v_add_nc_u32_e32 v179, v179, v13
	v_and_b32_e32 v178, v180, v178
	s_delay_alu instid0(VALU_DEP_4) | instskip(NEXT) | instid1(VALU_DEP_2)
	v_bfe_u32 v182, v181, 20, 1
	v_cmp_eq_u32_e64 s13, v178, v183
	s_delay_alu instid0(VALU_DEP_2) | instskip(NEXT) | instid1(VALU_DEP_1)
	v_add_nc_u32_e32 v180, -1, v182
	v_cndmask_b32_e64 v178, 0, v180, s13
	v_lshrrev_b32_e32 v180, 23, v181
	s_mov_b32 s13, exec_lo
	s_delay_alu instid0(VALU_DEP_2) | instskip(NEXT) | instid1(VALU_DEP_2)
	v_add_nc_u32_e32 v178, v178, v181
	v_xor_b32_e32 v180, 1, v180
	s_delay_alu instid0(VALU_DEP_2) | instskip(NEXT) | instid1(VALU_DEP_1)
	v_and_b32_e32 v13, 0xfffff, v178
	v_add_nc_u32_e32 v178, v13, v181
                                        ; implicit-def: $vgpr13
	s_delay_alu instid0(VALU_DEP_3)
	v_cmpx_ne_u32_e64 v179, v180
	s_xor_b32 s13, exec_lo, s13
; %bb.1114:                             ;   in Loop: Header=BB4_394 Depth=4
	s_delay_alu instid0(VALU_DEP_2) | instskip(SKIP_2) | instid1(VALU_DEP_2)
	v_cmp_lt_u32_e32 vcc_lo, 0xffffff, v178
	v_sub_nc_u32_e32 v13, v179, v180
	v_cndmask_b32_e64 v179, 0, 1, vcc_lo
	v_add_co_ci_u32_e32 v13, vcc_lo, 0, v13, vcc_lo
	s_delay_alu instid0(VALU_DEP_2)
	v_lshrrev_b32_e32 v178, v179, v178
; %bb.1115:                             ;   in Loop: Header=BB4_394 Depth=4
	s_and_not1_saveexec_b32 s13, s13
; %bb.1116:                             ;   in Loop: Header=BB4_394 Depth=4
	s_delay_alu instid0(VALU_DEP_1)
	v_bfe_u32 v13, v178, 23, 1
; %bb.1117:                             ;   in Loop: Header=BB4_394 Depth=4
	s_or_b32 exec_lo, exec_lo, s13
	v_lshrrev_b32_e32 v178, 20, v178
	s_delay_alu instid0(VALU_DEP_2) | instskip(SKIP_2) | instid1(VALU_DEP_2)
	v_cmp_gt_i32_e32 vcc_lo, 16, v13
	v_lshrrev_b32_e32 v177, 24, v177
	v_min_i32_e32 v179, 15, v13
	v_dual_cndmask_b32 v178, 7, v178 :: v_dual_and_b32 v177, 0x80, v177
	s_delay_alu instid0(VALU_DEP_2) | instskip(NEXT) | instid1(VALU_DEP_2)
	v_lshlrev_b32_e32 v179, 3, v179
	v_or_b32_e32 v13, v13, v178
	s_delay_alu instid0(VALU_DEP_1) | instskip(SKIP_1) | instid1(VALU_DEP_1)
	v_cmp_ne_u32_e32 vcc_lo, 0, v13
	v_and_b32_e32 v180, 7, v178
	v_or3_b32 v177, v179, v177, v180
	s_delay_alu instid0(VALU_DEP_1)
	v_cndmask_b32_e32 v13, 0, v177, vcc_lo
.LBB4_1118:                             ;   in Loop: Header=BB4_394 Depth=4
	s_or_b32 exec_lo, exec_lo, s37
.LBB4_1119:                             ;   in Loop: Header=BB4_394 Depth=4
	s_delay_alu instid0(SALU_CYCLE_1) | instskip(SKIP_3) | instid1(VALU_DEP_2)
	s_or_b32 exec_lo, exec_lo, s36
	v_lshrrev_b16 v178, 8, v14
	v_lshrrev_b16 v177, 8, v10
	s_and_not1_b32 vcc_lo, exec_lo, s35
	v_cmp_lt_i16_e64 s13, 0x7f, v178
	s_cbranch_vccnz .LBB4_1129
; %bb.1120:                             ;   in Loop: Header=BB4_394 Depth=4
	s_mov_b32 s36, 0
                                        ; implicit-def: $sgpr37
	s_delay_alu instid0(VALU_DEP_1) | instskip(NEXT) | instid1(SALU_CYCLE_1)
	s_and_saveexec_b32 vcc_lo, s13
	s_xor_b32 s13, exec_lo, vcc_lo
	s_cbranch_execnz .LBB4_1720
; %bb.1121:                             ;   in Loop: Header=BB4_394 Depth=4
	s_or_saveexec_b32 s13, s13
	v_mov_b32_e32 v179, s37
	s_xor_b32 exec_lo, exec_lo, s13
	s_cbranch_execnz .LBB4_1723
.LBB4_1122:                             ;   in Loop: Header=BB4_394 Depth=4
	s_or_b32 exec_lo, exec_lo, s13
	s_and_saveexec_b32 s13, s36
	s_cbranch_execz .LBB4_1124
.LBB4_1123:                             ;   in Loop: Header=BB4_394 Depth=4
	v_and_b32_e32 v179, 0xffff, v178
	v_lshlrev_b32_e32 v183, 16, v14
	s_delay_alu instid0(VALU_DEP_2) | instskip(NEXT) | instid1(VALU_DEP_1)
	v_and_b32_e32 v180, 7, v179
	v_clz_i32_u32_e32 v181, v180
	s_delay_alu instid0(VALU_DEP_1) | instskip(NEXT) | instid1(VALU_DEP_1)
	v_min_u32_e32 v181, 32, v181
	v_subrev_nc_u32_e32 v182, 28, v181
	v_sub_nc_u32_e32 v181, 29, v181
	s_delay_alu instid0(VALU_DEP_2) | instskip(SKIP_1) | instid1(VALU_DEP_2)
	v_lshlrev_b32_e32 v182, v182, v179
	v_bfe_u32 v179, v179, 3, 4
	v_and_b32_e32 v182, 7, v182
	s_delay_alu instid0(VALU_DEP_2) | instskip(NEXT) | instid1(VALU_DEP_2)
	v_cmp_eq_u32_e32 vcc_lo, 0, v179
	v_dual_cndmask_b32 v179, v179, v181 :: v_dual_cndmask_b32 v180, v180, v182
	v_and_b32_e32 v181, 0x80000000, v183
	s_delay_alu instid0(VALU_DEP_2) | instskip(NEXT) | instid1(VALU_DEP_3)
	v_lshl_add_u32 v179, v179, 23, 0x3b800000
	v_lshlrev_b32_e32 v180, 20, v180
	s_delay_alu instid0(VALU_DEP_1)
	v_or3_b32 v179, v181, v179, v180
.LBB4_1124:                             ;   in Loop: Header=BB4_394 Depth=4
	s_or_b32 exec_lo, exec_lo, s13
	s_mov_b32 s13, 0
	s_mov_b32 s37, exec_lo
                                        ; implicit-def: $sgpr36
	v_cmpx_lt_i16_e64 0x7f, v177
	s_xor_b32 s37, exec_lo, s37
	s_cbranch_execnz .LBB4_1724
; %bb.1125:                             ;   in Loop: Header=BB4_394 Depth=4
	s_or_saveexec_b32 s37, s37
	v_mov_b32_e32 v180, s36
	s_xor_b32 exec_lo, exec_lo, s37
	s_cbranch_execnz .LBB4_1727
.LBB4_1126:                             ;   in Loop: Header=BB4_394 Depth=4
	s_or_b32 exec_lo, exec_lo, s37
	s_and_saveexec_b32 s36, s13
	s_cbranch_execz .LBB4_1128
.LBB4_1127:                             ;   in Loop: Header=BB4_394 Depth=4
	v_and_b32_e32 v180, 0xffff, v177
	v_lshlrev_b32_e32 v40, 16, v10
	s_delay_alu instid0(VALU_DEP_2) | instskip(NEXT) | instid1(VALU_DEP_1)
	v_and_b32_e32 v181, 7, v180
	v_clz_i32_u32_e32 v182, v181
	s_delay_alu instid0(VALU_DEP_1) | instskip(NEXT) | instid1(VALU_DEP_1)
	v_min_u32_e32 v182, 32, v182
	v_subrev_nc_u32_e32 v183, 28, v182
	v_sub_nc_u32_e32 v182, 29, v182
	s_delay_alu instid0(VALU_DEP_2) | instskip(SKIP_1) | instid1(VALU_DEP_2)
	v_lshlrev_b32_e32 v183, v183, v180
	v_bfe_u32 v180, v180, 3, 4
	v_and_b32_e32 v183, 7, v183
	s_delay_alu instid0(VALU_DEP_2) | instskip(NEXT) | instid1(VALU_DEP_2)
	v_cmp_eq_u32_e32 vcc_lo, 0, v180
	v_dual_cndmask_b32 v180, v180, v182 :: v_dual_cndmask_b32 v181, v181, v183
	v_and_b32_e32 v182, 0x80000000, v40
	s_delay_alu instid0(VALU_DEP_2) | instskip(NEXT) | instid1(VALU_DEP_3)
	v_lshl_add_u32 v180, v180, 23, 0x3b800000
	v_lshlrev_b32_e32 v181, 20, v181
	s_delay_alu instid0(VALU_DEP_1)
	v_or3_b32 v180, v182, v180, v181
.LBB4_1128:                             ;   in Loop: Header=BB4_394 Depth=4
	s_or_b32 exec_lo, exec_lo, s36
	s_delay_alu instid0(VALU_DEP_1) | instskip(SKIP_1) | instid1(VALU_DEP_1)
	v_dual_max_f32 v180, v180, v180 :: v_dual_max_f32 v179, v179, v179
	s_mov_b32 s13, 0
	v_max_f32_e32 v179, v179, v180
	s_branch .LBB4_1130
.LBB4_1129:                             ;   in Loop: Header=BB4_394 Depth=4
	s_mov_b32 s13, -1
                                        ; implicit-def: $vgpr179
.LBB4_1130:                             ;   in Loop: Header=BB4_394 Depth=4
	s_delay_alu instid0(SALU_CYCLE_1)
	s_and_b32 vcc_lo, exec_lo, s13
	s_cbranch_vccz .LBB4_1140
; %bb.1131:                             ;   in Loop: Header=BB4_394 Depth=4
	s_mov_b32 s13, 0
	s_mov_b32 s37, exec_lo
                                        ; implicit-def: $sgpr36
	v_cmpx_lt_i16_e64 0x7f, v178
	s_xor_b32 s37, exec_lo, s37
	s_cbranch_execnz .LBB4_1728
; %bb.1132:                             ;   in Loop: Header=BB4_394 Depth=4
	s_or_saveexec_b32 s37, s37
	v_mov_b32_e32 v179, s36
	s_xor_b32 exec_lo, exec_lo, s37
	s_cbranch_execnz .LBB4_1731
.LBB4_1133:                             ;   in Loop: Header=BB4_394 Depth=4
	s_or_b32 exec_lo, exec_lo, s37
	s_and_saveexec_b32 s36, s13
	s_cbranch_execz .LBB4_1135
.LBB4_1134:                             ;   in Loop: Header=BB4_394 Depth=4
	v_and_b32_e32 v178, 0xffff, v178
	v_lshlrev_b32_e32 v182, 16, v14
	s_delay_alu instid0(VALU_DEP_2) | instskip(NEXT) | instid1(VALU_DEP_1)
	v_and_b32_e32 v179, 7, v178
	v_clz_i32_u32_e32 v180, v179
	s_delay_alu instid0(VALU_DEP_1) | instskip(NEXT) | instid1(VALU_DEP_1)
	v_min_u32_e32 v180, 32, v180
	v_subrev_nc_u32_e32 v181, 28, v180
	v_sub_nc_u32_e32 v180, 29, v180
	s_delay_alu instid0(VALU_DEP_2) | instskip(SKIP_1) | instid1(VALU_DEP_2)
	v_lshlrev_b32_e32 v181, v181, v178
	v_bfe_u32 v178, v178, 3, 4
	v_and_b32_e32 v181, 7, v181
	s_delay_alu instid0(VALU_DEP_2) | instskip(NEXT) | instid1(VALU_DEP_2)
	v_cmp_eq_u32_e32 vcc_lo, 0, v178
	v_dual_cndmask_b32 v178, v178, v180 :: v_dual_cndmask_b32 v179, v179, v181
	v_and_b32_e32 v180, 0x80000000, v182
	s_delay_alu instid0(VALU_DEP_2) | instskip(NEXT) | instid1(VALU_DEP_3)
	v_lshl_add_u32 v178, v178, 23, 0x3b800000
	v_lshlrev_b32_e32 v179, 20, v179
	s_delay_alu instid0(VALU_DEP_1)
	v_or3_b32 v179, v180, v178, v179
.LBB4_1135:                             ;   in Loop: Header=BB4_394 Depth=4
	s_or_b32 exec_lo, exec_lo, s36
	s_mov_b32 s13, 0
	s_mov_b32 s37, exec_lo
                                        ; implicit-def: $sgpr36
	v_cmpx_lt_i16_e64 0x7f, v177
	s_xor_b32 s37, exec_lo, s37
	s_cbranch_execnz .LBB4_1732
; %bb.1136:                             ;   in Loop: Header=BB4_394 Depth=4
	s_or_saveexec_b32 s37, s37
	v_mov_b32_e32 v178, s36
	s_xor_b32 exec_lo, exec_lo, s37
	s_cbranch_execnz .LBB4_1735
.LBB4_1137:                             ;   in Loop: Header=BB4_394 Depth=4
	s_or_b32 exec_lo, exec_lo, s37
	s_and_saveexec_b32 s36, s13
	s_cbranch_execz .LBB4_1139
.LBB4_1138:                             ;   in Loop: Header=BB4_394 Depth=4
	v_and_b32_e32 v177, 0xffff, v177
	v_lshlrev_b32_e32 v182, 16, v10
	s_delay_alu instid0(VALU_DEP_2) | instskip(NEXT) | instid1(VALU_DEP_1)
	v_and_b32_e32 v178, 7, v177
	v_clz_i32_u32_e32 v180, v178
	s_delay_alu instid0(VALU_DEP_1) | instskip(NEXT) | instid1(VALU_DEP_1)
	v_min_u32_e32 v180, 32, v180
	v_subrev_nc_u32_e32 v181, 28, v180
	v_sub_nc_u32_e32 v180, 29, v180
	s_delay_alu instid0(VALU_DEP_2) | instskip(SKIP_1) | instid1(VALU_DEP_2)
	v_lshlrev_b32_e32 v181, v181, v177
	v_bfe_u32 v177, v177, 3, 4
	v_and_b32_e32 v181, 7, v181
	s_delay_alu instid0(VALU_DEP_2) | instskip(NEXT) | instid1(VALU_DEP_2)
	v_cmp_eq_u32_e32 vcc_lo, 0, v177
	v_dual_cndmask_b32 v177, v177, v180 :: v_dual_cndmask_b32 v178, v178, v181
	v_and_b32_e32 v180, 0x80000000, v182
	s_delay_alu instid0(VALU_DEP_2) | instskip(NEXT) | instid1(VALU_DEP_3)
	v_lshl_add_u32 v177, v177, 23, 0x3b800000
	v_lshlrev_b32_e32 v178, 20, v178
	s_delay_alu instid0(VALU_DEP_1)
	v_or3_b32 v178, v180, v177, v178
.LBB4_1139:                             ;   in Loop: Header=BB4_394 Depth=4
	s_or_b32 exec_lo, exec_lo, s36
	s_delay_alu instid0(VALU_DEP_1) | instskip(NEXT) | instid1(VALU_DEP_1)
	v_dual_max_f32 v177, v178, v178 :: v_dual_max_f32 v178, v179, v179
	v_min_f32_e32 v179, v178, v177
.LBB4_1140:                             ;   in Loop: Header=BB4_394 Depth=4
	s_delay_alu instid0(VALU_DEP_1) | instskip(NEXT) | instid1(VALU_DEP_1)
	v_and_b32_e32 v177, 0x7f800000, v179
	v_cmp_ne_u32_e32 vcc_lo, 0x7f800000, v177
	v_mov_b32_e32 v177, 0x80
	s_and_saveexec_b32 s36, vcc_lo
	s_cbranch_execz .LBB4_1148
; %bb.1141:                             ;   in Loop: Header=BB4_394 Depth=4
	v_mov_b32_e32 v177, 0
	s_mov_b32 s37, exec_lo
	v_cmpx_ne_u32_e32 0, v179
	s_cbranch_execz .LBB4_1147
; %bb.1142:                             ;   in Loop: Header=BB4_394 Depth=4
	v_bfe_u32 v177, v179, 23, 8
	v_and_b32_e32 v178, 0x7fffff, v179
	s_delay_alu instid0(VALU_DEP_2) | instskip(SKIP_1) | instid1(VALU_DEP_3)
	v_sub_nc_u32_e32 v180, 0x78, v177
	v_cmp_gt_u32_e32 vcc_lo, 0x79, v177
	v_or_b32_e32 v181, 0x800000, v178
	s_delay_alu instid0(VALU_DEP_3) | instskip(SKIP_2) | instid1(VALU_DEP_3)
	v_cndmask_b32_e32 v180, 0, v180, vcc_lo
	v_cmp_eq_u32_e32 vcc_lo, 0, v177
	v_add_nc_u32_e32 v177, 0xffffff89, v177
	v_cndmask_b32_e64 v180, v180, 0x77, vcc_lo
	v_cndmask_b32_e32 v178, v181, v178, vcc_lo
	s_delay_alu instid0(VALU_DEP_3) | instskip(NEXT) | instid1(VALU_DEP_3)
	v_cndmask_b32_e64 v177, v177, 0xffffff8a, vcc_lo
	v_lshl_add_u32 v181, 0x100000, v180, -1
	s_delay_alu instid0(VALU_DEP_3) | instskip(SKIP_1) | instid1(VALU_DEP_4)
	v_lshrrev_b32_e32 v182, v180, v178
	v_lshlrev_b32_e64 v40, v180, 0x80000
	v_add_nc_u32_e32 v180, v180, v177
	s_delay_alu instid0(VALU_DEP_4) | instskip(NEXT) | instid1(VALU_DEP_4)
	v_and_b32_e32 v178, v181, v178
	v_bfe_u32 v183, v182, 20, 1
	s_delay_alu instid0(VALU_DEP_2) | instskip(NEXT) | instid1(VALU_DEP_2)
	v_cmp_eq_u32_e64 s13, v178, v40
	v_add_nc_u32_e32 v181, -1, v183
	s_delay_alu instid0(VALU_DEP_1) | instskip(SKIP_2) | instid1(VALU_DEP_2)
	v_cndmask_b32_e64 v178, 0, v181, s13
	v_lshrrev_b32_e32 v181, 23, v182
	s_mov_b32 s13, exec_lo
	v_add_nc_u32_e32 v178, v178, v182
	s_delay_alu instid0(VALU_DEP_2) | instskip(NEXT) | instid1(VALU_DEP_2)
	v_xor_b32_e32 v181, 1, v181
	v_and_b32_e32 v177, 0xfffff, v178
	s_delay_alu instid0(VALU_DEP_1) | instskip(NEXT) | instid1(VALU_DEP_3)
	v_add_nc_u32_e32 v178, v177, v182
                                        ; implicit-def: $vgpr177
	v_cmpx_ne_u32_e64 v180, v181
	s_xor_b32 s13, exec_lo, s13
; %bb.1143:                             ;   in Loop: Header=BB4_394 Depth=4
	s_delay_alu instid0(VALU_DEP_2) | instskip(SKIP_2) | instid1(VALU_DEP_2)
	v_cmp_lt_u32_e32 vcc_lo, 0xffffff, v178
	v_sub_nc_u32_e32 v177, v180, v181
	v_cndmask_b32_e64 v180, 0, 1, vcc_lo
	v_add_co_ci_u32_e32 v177, vcc_lo, 0, v177, vcc_lo
	s_delay_alu instid0(VALU_DEP_2)
	v_lshrrev_b32_e32 v178, v180, v178
; %bb.1144:                             ;   in Loop: Header=BB4_394 Depth=4
	s_and_not1_saveexec_b32 s13, s13
; %bb.1145:                             ;   in Loop: Header=BB4_394 Depth=4
	s_delay_alu instid0(VALU_DEP_1)
	v_bfe_u32 v177, v178, 23, 1
; %bb.1146:                             ;   in Loop: Header=BB4_394 Depth=4
	s_or_b32 exec_lo, exec_lo, s13
	v_lshrrev_b32_e32 v178, 20, v178
	s_delay_alu instid0(VALU_DEP_2) | instskip(SKIP_2) | instid1(VALU_DEP_2)
	v_cmp_gt_i32_e32 vcc_lo, 16, v177
	v_lshrrev_b32_e32 v179, 24, v179
	v_min_i32_e32 v180, 15, v177
	v_dual_cndmask_b32 v178, 7, v178 :: v_dual_and_b32 v179, 0x80, v179
	s_delay_alu instid0(VALU_DEP_1) | instskip(SKIP_1) | instid1(VALU_DEP_2)
	v_or_b32_e32 v177, v177, v178
	v_and_b32_e32 v181, 7, v178
	v_cmp_ne_u32_e32 vcc_lo, 0, v177
	v_lshlrev_b32_e32 v180, 3, v180
	s_delay_alu instid0(VALU_DEP_1) | instskip(NEXT) | instid1(VALU_DEP_1)
	v_or3_b32 v178, v180, v179, v181
	v_cndmask_b32_e32 v177, 0, v178, vcc_lo
.LBB4_1147:                             ;   in Loop: Header=BB4_394 Depth=4
	s_or_b32 exec_lo, exec_lo, s37
.LBB4_1148:                             ;   in Loop: Header=BB4_394 Depth=4
	s_delay_alu instid0(SALU_CYCLE_1) | instskip(SKIP_3) | instid1(VALU_DEP_2)
	s_or_b32 exec_lo, exec_lo, s36
	v_lshrrev_b32_e32 v179, 16, v14
	v_lshrrev_b32_e32 v178, 16, v10
	s_and_not1_b32 vcc_lo, exec_lo, s35
	v_and_b32_e32 v180, 0xff, v179
	s_delay_alu instid0(VALU_DEP_1)
	v_cmp_lt_i16_e64 s13, 0x7f, v180
	s_cbranch_vccnz .LBB4_1158
; %bb.1149:                             ;   in Loop: Header=BB4_394 Depth=4
	s_mov_b32 s36, 0
                                        ; implicit-def: $sgpr37
	s_delay_alu instid0(VALU_DEP_1) | instskip(NEXT) | instid1(SALU_CYCLE_1)
	s_and_saveexec_b32 vcc_lo, s13
	s_xor_b32 s13, exec_lo, vcc_lo
	s_cbranch_execnz .LBB4_1736
; %bb.1150:                             ;   in Loop: Header=BB4_394 Depth=4
	s_or_saveexec_b32 s13, s13
	v_mov_b32_e32 v181, s37
	s_xor_b32 exec_lo, exec_lo, s13
	s_cbranch_execnz .LBB4_1739
.LBB4_1151:                             ;   in Loop: Header=BB4_394 Depth=4
	s_or_b32 exec_lo, exec_lo, s13
	s_and_saveexec_b32 s13, s36
	s_cbranch_execz .LBB4_1153
.LBB4_1152:                             ;   in Loop: Header=BB4_394 Depth=4
	v_bfe_u32 v181, v14, 16, 3
	v_bfe_u32 v40, v14, 19, 4
	v_lshlrev_b32_e32 v41, 24, v179
	s_delay_alu instid0(VALU_DEP_3) | instskip(NEXT) | instid1(VALU_DEP_3)
	v_clz_i32_u32_e32 v182, v181
	v_cmp_eq_u32_e32 vcc_lo, 0, v40
	s_delay_alu instid0(VALU_DEP_2) | instskip(NEXT) | instid1(VALU_DEP_1)
	v_min_u32_e32 v182, 32, v182
	v_subrev_nc_u32_e32 v183, 28, v182
	v_sub_nc_u32_e32 v182, 29, v182
	s_delay_alu instid0(VALU_DEP_1) | instskip(NEXT) | instid1(VALU_DEP_1)
	v_dual_cndmask_b32 v182, v40, v182 :: v_dual_lshlrev_b32 v183, v183, v179
	v_and_b32_e32 v183, 7, v183
	s_delay_alu instid0(VALU_DEP_2) | instskip(NEXT) | instid1(VALU_DEP_2)
	v_lshl_add_u32 v182, v182, 23, 0x3b800000
	v_cndmask_b32_e32 v181, v181, v183, vcc_lo
	v_and_b32_e32 v183, 0x80000000, v41
	s_delay_alu instid0(VALU_DEP_2) | instskip(NEXT) | instid1(VALU_DEP_1)
	v_lshlrev_b32_e32 v181, 20, v181
	v_or3_b32 v181, v183, v182, v181
.LBB4_1153:                             ;   in Loop: Header=BB4_394 Depth=4
	s_or_b32 exec_lo, exec_lo, s13
	v_and_b32_e32 v183, 0xff, v178
	s_mov_b32 s13, 0
	s_mov_b32 s37, exec_lo
                                        ; implicit-def: $sgpr36
	s_delay_alu instid0(VALU_DEP_1)
	v_cmpx_lt_i16_e64 0x7f, v183
	s_xor_b32 s37, exec_lo, s37
	s_cbranch_execnz .LBB4_1740
; %bb.1154:                             ;   in Loop: Header=BB4_394 Depth=4
	s_or_saveexec_b32 s37, s37
	v_mov_b32_e32 v182, s36
	s_xor_b32 exec_lo, exec_lo, s37
	s_cbranch_execnz .LBB4_1743
.LBB4_1155:                             ;   in Loop: Header=BB4_394 Depth=4
	s_or_b32 exec_lo, exec_lo, s37
	s_and_saveexec_b32 s36, s13
	s_cbranch_execz .LBB4_1157
.LBB4_1156:                             ;   in Loop: Header=BB4_394 Depth=4
	v_bfe_u32 v182, v10, 16, 3
	v_bfe_u32 v41, v10, 19, 4
	v_lshlrev_b32_e32 v42, 24, v178
	s_delay_alu instid0(VALU_DEP_3) | instskip(NEXT) | instid1(VALU_DEP_3)
	v_clz_i32_u32_e32 v183, v182
	v_cmp_eq_u32_e32 vcc_lo, 0, v41
	s_delay_alu instid0(VALU_DEP_2) | instskip(NEXT) | instid1(VALU_DEP_1)
	v_min_u32_e32 v183, 32, v183
	v_subrev_nc_u32_e32 v40, 28, v183
	v_sub_nc_u32_e32 v183, 29, v183
	s_delay_alu instid0(VALU_DEP_1) | instskip(NEXT) | instid1(VALU_DEP_1)
	v_dual_cndmask_b32 v183, v41, v183 :: v_dual_lshlrev_b32 v40, v40, v178
	v_and_b32_e32 v40, 7, v40
	s_delay_alu instid0(VALU_DEP_2) | instskip(NEXT) | instid1(VALU_DEP_2)
	v_lshl_add_u32 v183, v183, 23, 0x3b800000
	v_cndmask_b32_e32 v182, v182, v40, vcc_lo
	v_and_b32_e32 v40, 0x80000000, v42
	s_delay_alu instid0(VALU_DEP_2) | instskip(NEXT) | instid1(VALU_DEP_1)
	v_lshlrev_b32_e32 v182, 20, v182
	v_or3_b32 v182, v40, v183, v182
.LBB4_1157:                             ;   in Loop: Header=BB4_394 Depth=4
	s_or_b32 exec_lo, exec_lo, s36
	s_delay_alu instid0(VALU_DEP_1) | instskip(SKIP_1) | instid1(VALU_DEP_1)
	v_dual_max_f32 v182, v182, v182 :: v_dual_max_f32 v181, v181, v181
	s_mov_b32 s13, 0
	v_max_f32_e32 v181, v181, v182
	s_branch .LBB4_1159
.LBB4_1158:                             ;   in Loop: Header=BB4_394 Depth=4
	s_mov_b32 s13, -1
                                        ; implicit-def: $vgpr181
.LBB4_1159:                             ;   in Loop: Header=BB4_394 Depth=4
	s_delay_alu instid0(SALU_CYCLE_1)
	s_and_b32 vcc_lo, exec_lo, s13
	s_cbranch_vccz .LBB4_1169
; %bb.1160:                             ;   in Loop: Header=BB4_394 Depth=4
	s_mov_b32 s13, 0
	s_mov_b32 s37, exec_lo
                                        ; implicit-def: $sgpr36
	v_cmpx_lt_i16_e64 0x7f, v180
	s_xor_b32 s37, exec_lo, s37
	s_cbranch_execnz .LBB4_1744
; %bb.1161:                             ;   in Loop: Header=BB4_394 Depth=4
	s_or_saveexec_b32 s37, s37
	v_mov_b32_e32 v181, s36
	s_xor_b32 exec_lo, exec_lo, s37
	s_cbranch_execnz .LBB4_1747
.LBB4_1162:                             ;   in Loop: Header=BB4_394 Depth=4
	s_or_b32 exec_lo, exec_lo, s37
	s_and_saveexec_b32 s36, s13
	s_cbranch_execz .LBB4_1164
.LBB4_1163:                             ;   in Loop: Header=BB4_394 Depth=4
	v_bfe_u32 v180, v14, 16, 3
	v_bfe_u32 v183, v14, 19, 4
	s_delay_alu instid0(VALU_DEP_2) | instskip(NEXT) | instid1(VALU_DEP_2)
	v_clz_i32_u32_e32 v181, v180
	v_cmp_eq_u32_e32 vcc_lo, 0, v183
	s_delay_alu instid0(VALU_DEP_2) | instskip(NEXT) | instid1(VALU_DEP_1)
	v_min_u32_e32 v181, 32, v181
	v_subrev_nc_u32_e32 v182, 28, v181
	v_sub_nc_u32_e32 v181, 29, v181
	s_delay_alu instid0(VALU_DEP_1) | instskip(NEXT) | instid1(VALU_DEP_1)
	v_dual_cndmask_b32 v181, v183, v181 :: v_dual_lshlrev_b32 v182, v182, v179
	v_and_b32_e32 v182, 7, v182
	v_lshlrev_b32_e32 v179, 24, v179
	s_delay_alu instid0(VALU_DEP_3) | instskip(NEXT) | instid1(VALU_DEP_2)
	v_lshl_add_u32 v181, v181, 23, 0x3b800000
	v_dual_cndmask_b32 v180, v180, v182 :: v_dual_and_b32 v179, 0x80000000, v179
	s_delay_alu instid0(VALU_DEP_1) | instskip(NEXT) | instid1(VALU_DEP_1)
	v_lshlrev_b32_e32 v180, 20, v180
	v_or3_b32 v181, v179, v181, v180
.LBB4_1164:                             ;   in Loop: Header=BB4_394 Depth=4
	s_or_b32 exec_lo, exec_lo, s36
	v_and_b32_e32 v180, 0xff, v178
	s_mov_b32 s13, 0
	s_mov_b32 s37, exec_lo
                                        ; implicit-def: $sgpr36
	s_delay_alu instid0(VALU_DEP_1)
	v_cmpx_lt_i16_e64 0x7f, v180
	s_xor_b32 s37, exec_lo, s37
	s_cbranch_execnz .LBB4_1748
; %bb.1165:                             ;   in Loop: Header=BB4_394 Depth=4
	s_or_saveexec_b32 s37, s37
	v_mov_b32_e32 v179, s36
	s_xor_b32 exec_lo, exec_lo, s37
	s_cbranch_execnz .LBB4_1751
.LBB4_1166:                             ;   in Loop: Header=BB4_394 Depth=4
	s_or_b32 exec_lo, exec_lo, s37
	s_and_saveexec_b32 s36, s13
	s_cbranch_execz .LBB4_1168
.LBB4_1167:                             ;   in Loop: Header=BB4_394 Depth=4
	v_bfe_u32 v179, v10, 16, 3
	v_bfe_u32 v183, v10, 19, 4
	s_delay_alu instid0(VALU_DEP_2) | instskip(NEXT) | instid1(VALU_DEP_2)
	v_clz_i32_u32_e32 v180, v179
	v_cmp_eq_u32_e32 vcc_lo, 0, v183
	s_delay_alu instid0(VALU_DEP_2) | instskip(NEXT) | instid1(VALU_DEP_1)
	v_min_u32_e32 v180, 32, v180
	v_subrev_nc_u32_e32 v182, 28, v180
	v_sub_nc_u32_e32 v180, 29, v180
	s_delay_alu instid0(VALU_DEP_2) | instskip(SKIP_1) | instid1(VALU_DEP_2)
	v_lshlrev_b32_e32 v182, v182, v178
	v_lshlrev_b32_e32 v178, 24, v178
	v_and_b32_e32 v182, 7, v182
	s_delay_alu instid0(VALU_DEP_2) | instskip(NEXT) | instid1(VALU_DEP_2)
	v_and_b32_e32 v178, 0x80000000, v178
	v_cndmask_b32_e32 v179, v179, v182, vcc_lo
	s_delay_alu instid0(VALU_DEP_1) | instskip(NEXT) | instid1(VALU_DEP_1)
	v_dual_cndmask_b32 v180, v183, v180 :: v_dual_lshlrev_b32 v179, 20, v179
	v_lshl_add_u32 v180, v180, 23, 0x3b800000
	s_delay_alu instid0(VALU_DEP_1)
	v_or3_b32 v179, v178, v180, v179
.LBB4_1168:                             ;   in Loop: Header=BB4_394 Depth=4
	s_or_b32 exec_lo, exec_lo, s36
	s_delay_alu instid0(VALU_DEP_1) | instskip(NEXT) | instid1(VALU_DEP_1)
	v_dual_max_f32 v178, v179, v179 :: v_dual_max_f32 v179, v181, v181
	v_min_f32_e32 v181, v179, v178
.LBB4_1169:                             ;   in Loop: Header=BB4_394 Depth=4
	s_delay_alu instid0(VALU_DEP_1) | instskip(NEXT) | instid1(VALU_DEP_1)
	v_and_b32_e32 v178, 0x7f800000, v181
	v_cmp_ne_u32_e32 vcc_lo, 0x7f800000, v178
	v_mov_b32_e32 v178, 0x80
	s_and_saveexec_b32 s36, vcc_lo
	s_cbranch_execz .LBB4_1177
; %bb.1170:                             ;   in Loop: Header=BB4_394 Depth=4
	v_mov_b32_e32 v178, 0
	s_mov_b32 s37, exec_lo
	v_cmpx_ne_u32_e32 0, v181
	s_cbranch_execz .LBB4_1176
; %bb.1171:                             ;   in Loop: Header=BB4_394 Depth=4
	v_bfe_u32 v178, v181, 23, 8
	s_delay_alu instid0(VALU_DEP_1) | instskip(SKIP_1) | instid1(VALU_DEP_2)
	v_sub_nc_u32_e32 v180, 0x78, v178
	v_cmp_gt_u32_e32 vcc_lo, 0x79, v178
	v_dual_cndmask_b32 v180, 0, v180 :: v_dual_and_b32 v179, 0x7fffff, v181
	s_delay_alu instid0(VALU_DEP_1) | instskip(SKIP_2) | instid1(VALU_DEP_4)
	v_or_b32_e32 v182, 0x800000, v179
	v_cmp_eq_u32_e32 vcc_lo, 0, v178
	v_add_nc_u32_e32 v178, 0xffffff89, v178
	v_cndmask_b32_e64 v180, v180, 0x77, vcc_lo
	s_delay_alu instid0(VALU_DEP_4) | instskip(NEXT) | instid1(VALU_DEP_3)
	v_cndmask_b32_e32 v179, v182, v179, vcc_lo
	v_cndmask_b32_e64 v178, v178, 0xffffff8a, vcc_lo
	s_delay_alu instid0(VALU_DEP_3) | instskip(NEXT) | instid1(VALU_DEP_3)
	v_lshl_add_u32 v182, 0x100000, v180, -1
	v_lshrrev_b32_e32 v183, v180, v179
	v_lshlrev_b32_e64 v41, v180, 0x80000
	s_delay_alu instid0(VALU_DEP_4) | instskip(NEXT) | instid1(VALU_DEP_4)
	v_add_nc_u32_e32 v180, v180, v178
	v_and_b32_e32 v179, v182, v179
	s_delay_alu instid0(VALU_DEP_4) | instskip(NEXT) | instid1(VALU_DEP_2)
	v_bfe_u32 v40, v183, 20, 1
	v_cmp_eq_u32_e64 s13, v179, v41
	s_delay_alu instid0(VALU_DEP_2) | instskip(NEXT) | instid1(VALU_DEP_1)
	v_add_nc_u32_e32 v182, -1, v40
	v_cndmask_b32_e64 v179, 0, v182, s13
	v_lshrrev_b32_e32 v182, 23, v183
	s_mov_b32 s13, exec_lo
	s_delay_alu instid0(VALU_DEP_2) | instskip(NEXT) | instid1(VALU_DEP_2)
	v_add_nc_u32_e32 v179, v179, v183
	v_xor_b32_e32 v182, 1, v182
	s_delay_alu instid0(VALU_DEP_2) | instskip(NEXT) | instid1(VALU_DEP_1)
	v_and_b32_e32 v178, 0xfffff, v179
	v_add_nc_u32_e32 v179, v178, v183
                                        ; implicit-def: $vgpr178
	s_delay_alu instid0(VALU_DEP_3)
	v_cmpx_ne_u32_e64 v180, v182
	s_xor_b32 s13, exec_lo, s13
; %bb.1172:                             ;   in Loop: Header=BB4_394 Depth=4
	s_delay_alu instid0(VALU_DEP_2) | instskip(SKIP_2) | instid1(VALU_DEP_2)
	v_cmp_lt_u32_e32 vcc_lo, 0xffffff, v179
	v_sub_nc_u32_e32 v178, v180, v182
	v_cndmask_b32_e64 v180, 0, 1, vcc_lo
	v_add_co_ci_u32_e32 v178, vcc_lo, 0, v178, vcc_lo
	s_delay_alu instid0(VALU_DEP_2)
	v_lshrrev_b32_e32 v179, v180, v179
; %bb.1173:                             ;   in Loop: Header=BB4_394 Depth=4
	s_and_not1_saveexec_b32 s13, s13
; %bb.1174:                             ;   in Loop: Header=BB4_394 Depth=4
	s_delay_alu instid0(VALU_DEP_1)
	v_bfe_u32 v178, v179, 23, 1
; %bb.1175:                             ;   in Loop: Header=BB4_394 Depth=4
	s_or_b32 exec_lo, exec_lo, s13
	v_lshrrev_b32_e32 v179, 20, v179
	s_delay_alu instid0(VALU_DEP_2) | instskip(SKIP_2) | instid1(VALU_DEP_2)
	v_cmp_gt_i32_e32 vcc_lo, 16, v178
	v_lshrrev_b32_e32 v180, 24, v181
	v_min_i32_e32 v181, 15, v178
	v_dual_cndmask_b32 v179, 7, v179 :: v_dual_and_b32 v180, 0x80, v180
	s_delay_alu instid0(VALU_DEP_1) | instskip(SKIP_1) | instid1(VALU_DEP_2)
	v_or_b32_e32 v178, v178, v179
	v_and_b32_e32 v182, 7, v179
	v_cmp_ne_u32_e32 vcc_lo, 0, v178
	v_lshlrev_b32_e32 v181, 3, v181
	s_delay_alu instid0(VALU_DEP_1) | instskip(NEXT) | instid1(VALU_DEP_1)
	v_or3_b32 v179, v181, v180, v182
	v_cndmask_b32_e32 v178, 0, v179, vcc_lo
.LBB4_1176:                             ;   in Loop: Header=BB4_394 Depth=4
	s_or_b32 exec_lo, exec_lo, s37
.LBB4_1177:                             ;   in Loop: Header=BB4_394 Depth=4
	s_delay_alu instid0(SALU_CYCLE_1) | instskip(SKIP_3) | instid1(VALU_DEP_2)
	s_or_b32 exec_lo, exec_lo, s36
	v_lshrrev_b32_e32 v180, 24, v14
	v_lshrrev_b32_e32 v179, 24, v10
	s_and_not1_b32 vcc_lo, exec_lo, s35
	v_cmp_lt_i16_e64 s13, 0x7f, v180
	s_cbranch_vccnz .LBB4_1187
; %bb.1178:                             ;   in Loop: Header=BB4_394 Depth=4
	s_mov_b32 s36, 0
                                        ; implicit-def: $sgpr37
	s_delay_alu instid0(VALU_DEP_1) | instskip(NEXT) | instid1(SALU_CYCLE_1)
	s_and_saveexec_b32 vcc_lo, s13
	s_xor_b32 s13, exec_lo, vcc_lo
	s_cbranch_execnz .LBB4_1752
; %bb.1179:                             ;   in Loop: Header=BB4_394 Depth=4
	s_or_saveexec_b32 s13, s13
	v_mov_b32_e32 v181, s37
	s_xor_b32 exec_lo, exec_lo, s13
	s_cbranch_execnz .LBB4_1755
.LBB4_1180:                             ;   in Loop: Header=BB4_394 Depth=4
	s_or_b32 exec_lo, exec_lo, s13
	s_and_saveexec_b32 s13, s36
	s_cbranch_execz .LBB4_1182
.LBB4_1181:                             ;   in Loop: Header=BB4_394 Depth=4
	v_bfe_u32 v181, v14, 24, 3
	v_bfe_u32 v40, v14, 27, 4
	s_delay_alu instid0(VALU_DEP_2) | instskip(NEXT) | instid1(VALU_DEP_2)
	v_clz_i32_u32_e32 v182, v181
	v_cmp_eq_u32_e32 vcc_lo, 0, v40
	s_delay_alu instid0(VALU_DEP_2) | instskip(NEXT) | instid1(VALU_DEP_1)
	v_min_u32_e32 v182, 32, v182
	v_subrev_nc_u32_e32 v183, 28, v182
	v_sub_nc_u32_e32 v182, 29, v182
	s_delay_alu instid0(VALU_DEP_1) | instskip(NEXT) | instid1(VALU_DEP_1)
	v_dual_cndmask_b32 v182, v40, v182 :: v_dual_lshlrev_b32 v183, v183, v180
	v_and_b32_e32 v183, 7, v183
	s_delay_alu instid0(VALU_DEP_2) | instskip(NEXT) | instid1(VALU_DEP_2)
	v_lshl_add_u32 v182, v182, 23, 0x3b800000
	v_cndmask_b32_e32 v181, v181, v183, vcc_lo
	v_and_b32_e32 v183, 0x80000000, v14
	s_delay_alu instid0(VALU_DEP_2) | instskip(NEXT) | instid1(VALU_DEP_1)
	v_lshlrev_b32_e32 v181, 20, v181
	v_or3_b32 v181, v183, v182, v181
.LBB4_1182:                             ;   in Loop: Header=BB4_394 Depth=4
	s_or_b32 exec_lo, exec_lo, s13
	s_mov_b32 s13, 0
	s_mov_b32 s37, exec_lo
                                        ; implicit-def: $sgpr36
	v_cmpx_lt_i16_e64 0x7f, v179
	s_xor_b32 s37, exec_lo, s37
	s_cbranch_execnz .LBB4_1756
; %bb.1183:                             ;   in Loop: Header=BB4_394 Depth=4
	s_or_saveexec_b32 s37, s37
	v_mov_b32_e32 v182, s36
	s_xor_b32 exec_lo, exec_lo, s37
	s_cbranch_execnz .LBB4_1759
.LBB4_1184:                             ;   in Loop: Header=BB4_394 Depth=4
	s_or_b32 exec_lo, exec_lo, s37
	s_and_saveexec_b32 s36, s13
	s_cbranch_execz .LBB4_1186
.LBB4_1185:                             ;   in Loop: Header=BB4_394 Depth=4
	v_bfe_u32 v182, v10, 24, 3
	v_bfe_u32 v41, v10, 27, 4
	s_delay_alu instid0(VALU_DEP_2) | instskip(NEXT) | instid1(VALU_DEP_2)
	v_clz_i32_u32_e32 v183, v182
	v_cmp_eq_u32_e32 vcc_lo, 0, v41
	s_delay_alu instid0(VALU_DEP_2) | instskip(NEXT) | instid1(VALU_DEP_1)
	v_min_u32_e32 v183, 32, v183
	v_subrev_nc_u32_e32 v40, 28, v183
	v_sub_nc_u32_e32 v183, 29, v183
	s_delay_alu instid0(VALU_DEP_2) | instskip(NEXT) | instid1(VALU_DEP_1)
	v_lshlrev_b32_e32 v40, v40, v179
	v_dual_cndmask_b32 v183, v41, v183 :: v_dual_and_b32 v40, 7, v40
	s_delay_alu instid0(VALU_DEP_1) | instskip(NEXT) | instid1(VALU_DEP_2)
	v_lshl_add_u32 v183, v183, 23, 0x3b800000
	v_cndmask_b32_e32 v182, v182, v40, vcc_lo
	v_and_b32_e32 v40, 0x80000000, v10
	s_delay_alu instid0(VALU_DEP_2) | instskip(NEXT) | instid1(VALU_DEP_1)
	v_lshlrev_b32_e32 v182, 20, v182
	v_or3_b32 v182, v40, v183, v182
.LBB4_1186:                             ;   in Loop: Header=BB4_394 Depth=4
	s_or_b32 exec_lo, exec_lo, s36
	s_delay_alu instid0(VALU_DEP_1) | instskip(SKIP_1) | instid1(VALU_DEP_1)
	v_dual_max_f32 v182, v182, v182 :: v_dual_max_f32 v181, v181, v181
	s_mov_b32 s13, 0
	v_max_f32_e32 v181, v181, v182
	s_branch .LBB4_1188
.LBB4_1187:                             ;   in Loop: Header=BB4_394 Depth=4
	s_mov_b32 s13, -1
                                        ; implicit-def: $vgpr181
.LBB4_1188:                             ;   in Loop: Header=BB4_394 Depth=4
	s_delay_alu instid0(SALU_CYCLE_1)
	s_and_b32 vcc_lo, exec_lo, s13
	s_cbranch_vccz .LBB4_1198
; %bb.1189:                             ;   in Loop: Header=BB4_394 Depth=4
	s_mov_b32 s13, 0
	s_mov_b32 s37, exec_lo
                                        ; implicit-def: $sgpr36
	v_cmpx_lt_i16_e64 0x7f, v180
	s_xor_b32 s37, exec_lo, s37
	s_cbranch_execnz .LBB4_1760
; %bb.1190:                             ;   in Loop: Header=BB4_394 Depth=4
	s_or_saveexec_b32 s37, s37
	v_mov_b32_e32 v181, s36
	s_xor_b32 exec_lo, exec_lo, s37
	s_cbranch_execnz .LBB4_1763
.LBB4_1191:                             ;   in Loop: Header=BB4_394 Depth=4
	s_or_b32 exec_lo, exec_lo, s37
	s_and_saveexec_b32 s36, s13
	s_cbranch_execz .LBB4_1193
.LBB4_1192:                             ;   in Loop: Header=BB4_394 Depth=4
	v_bfe_u32 v181, v14, 24, 3
	s_delay_alu instid0(VALU_DEP_1) | instskip(NEXT) | instid1(VALU_DEP_1)
	v_clz_i32_u32_e32 v182, v181
	v_min_u32_e32 v182, 32, v182
	s_delay_alu instid0(VALU_DEP_1) | instskip(SKIP_1) | instid1(VALU_DEP_2)
	v_subrev_nc_u32_e32 v183, 28, v182
	v_sub_nc_u32_e32 v182, 29, v182
	v_lshlrev_b32_e32 v180, v183, v180
	v_bfe_u32 v183, v14, 27, 4
	v_and_b32_e32 v14, 0x80000000, v14
	s_delay_alu instid0(VALU_DEP_3) | instskip(NEXT) | instid1(VALU_DEP_3)
	v_and_b32_e32 v180, 7, v180
	v_cmp_eq_u32_e32 vcc_lo, 0, v183
	v_cndmask_b32_e32 v182, v183, v182, vcc_lo
	s_delay_alu instid0(VALU_DEP_3) | instskip(NEXT) | instid1(VALU_DEP_2)
	v_cndmask_b32_e32 v180, v181, v180, vcc_lo
	v_lshl_add_u32 v181, v182, 23, 0x3b800000
	s_delay_alu instid0(VALU_DEP_2) | instskip(NEXT) | instid1(VALU_DEP_1)
	v_lshlrev_b32_e32 v180, 20, v180
	v_or3_b32 v181, v14, v181, v180
.LBB4_1193:                             ;   in Loop: Header=BB4_394 Depth=4
	s_or_b32 exec_lo, exec_lo, s36
	s_mov_b32 s13, 0
	s_mov_b32 s37, exec_lo
                                        ; implicit-def: $sgpr36
	v_cmpx_lt_i16_e64 0x7f, v179
	s_xor_b32 s37, exec_lo, s37
	s_cbranch_execnz .LBB4_1764
; %bb.1194:                             ;   in Loop: Header=BB4_394 Depth=4
	s_or_saveexec_b32 s37, s37
	v_mov_b32_e32 v14, s36
	s_xor_b32 exec_lo, exec_lo, s37
	s_cbranch_execnz .LBB4_1767
.LBB4_1195:                             ;   in Loop: Header=BB4_394 Depth=4
	s_or_b32 exec_lo, exec_lo, s37
	s_and_saveexec_b32 s36, s13
	s_cbranch_execz .LBB4_1197
.LBB4_1196:                             ;   in Loop: Header=BB4_394 Depth=4
	v_bfe_u32 v14, v10, 24, 3
	s_delay_alu instid0(VALU_DEP_1) | instskip(NEXT) | instid1(VALU_DEP_1)
	v_clz_i32_u32_e32 v180, v14
	v_min_u32_e32 v180, 32, v180
	s_delay_alu instid0(VALU_DEP_1) | instskip(SKIP_1) | instid1(VALU_DEP_2)
	v_subrev_nc_u32_e32 v182, 28, v180
	v_sub_nc_u32_e32 v180, 29, v180
	v_lshlrev_b32_e32 v179, v182, v179
	v_bfe_u32 v182, v10, 27, 4
	v_and_b32_e32 v10, 0x80000000, v10
	s_delay_alu instid0(VALU_DEP_2) | instskip(NEXT) | instid1(VALU_DEP_4)
	v_cmp_eq_u32_e32 vcc_lo, 0, v182
	v_dual_cndmask_b32 v180, v182, v180 :: v_dual_and_b32 v179, 7, v179
	s_delay_alu instid0(VALU_DEP_1) | instskip(NEXT) | instid1(VALU_DEP_2)
	v_cndmask_b32_e32 v14, v14, v179, vcc_lo
	v_lshl_add_u32 v179, v180, 23, 0x3b800000
	s_delay_alu instid0(VALU_DEP_2) | instskip(NEXT) | instid1(VALU_DEP_1)
	v_lshlrev_b32_e32 v14, 20, v14
	v_or3_b32 v14, v10, v179, v14
.LBB4_1197:                             ;   in Loop: Header=BB4_394 Depth=4
	s_or_b32 exec_lo, exec_lo, s36
	s_delay_alu instid0(VALU_DEP_1) | instskip(SKIP_1) | instid1(VALU_DEP_1)
	v_max_f32_e32 v10, v14, v14
	v_max_f32_e32 v14, v181, v181
	v_min_f32_e32 v181, v14, v10
.LBB4_1198:                             ;   in Loop: Header=BB4_394 Depth=4
	s_delay_alu instid0(VALU_DEP_1) | instskip(NEXT) | instid1(VALU_DEP_1)
	v_and_b32_e32 v10, 0x7f800000, v181
	v_cmp_ne_u32_e32 vcc_lo, 0x7f800000, v10
	v_mov_b32_e32 v10, 0x80
	s_and_saveexec_b32 s36, vcc_lo
	s_cbranch_execz .LBB4_1206
; %bb.1199:                             ;   in Loop: Header=BB4_394 Depth=4
	v_mov_b32_e32 v10, 0
	s_mov_b32 s37, exec_lo
	v_cmpx_ne_u32_e32 0, v181
	s_cbranch_execz .LBB4_1205
; %bb.1200:                             ;   in Loop: Header=BB4_394 Depth=4
	v_bfe_u32 v10, v181, 23, 8
	s_delay_alu instid0(VALU_DEP_1) | instskip(SKIP_1) | instid1(VALU_DEP_2)
	v_sub_nc_u32_e32 v179, 0x78, v10
	v_cmp_gt_u32_e32 vcc_lo, 0x79, v10
	v_dual_cndmask_b32 v179, 0, v179 :: v_dual_and_b32 v14, 0x7fffff, v181
	s_delay_alu instid0(VALU_DEP_1) | instskip(SKIP_2) | instid1(VALU_DEP_4)
	v_or_b32_e32 v180, 0x800000, v14
	v_cmp_eq_u32_e32 vcc_lo, 0, v10
	v_add_nc_u32_e32 v10, 0xffffff89, v10
	v_cndmask_b32_e64 v179, v179, 0x77, vcc_lo
	s_delay_alu instid0(VALU_DEP_4) | instskip(NEXT) | instid1(VALU_DEP_3)
	v_cndmask_b32_e32 v14, v180, v14, vcc_lo
	v_cndmask_b32_e64 v10, v10, 0xffffff8a, vcc_lo
	s_delay_alu instid0(VALU_DEP_3) | instskip(NEXT) | instid1(VALU_DEP_3)
	v_lshl_add_u32 v180, 0x100000, v179, -1
	v_lshrrev_b32_e32 v182, v179, v14
	v_lshlrev_b32_e64 v40, v179, 0x80000
	s_delay_alu instid0(VALU_DEP_4) | instskip(NEXT) | instid1(VALU_DEP_4)
	v_add_nc_u32_e32 v179, v179, v10
	v_and_b32_e32 v14, v180, v14
	s_delay_alu instid0(VALU_DEP_4) | instskip(NEXT) | instid1(VALU_DEP_2)
	v_bfe_u32 v183, v182, 20, 1
	v_cmp_eq_u32_e64 s13, v14, v40
	s_delay_alu instid0(VALU_DEP_2) | instskip(NEXT) | instid1(VALU_DEP_1)
	v_add_nc_u32_e32 v180, -1, v183
	v_cndmask_b32_e64 v14, 0, v180, s13
	v_lshrrev_b32_e32 v180, 23, v182
	s_mov_b32 s13, exec_lo
	s_delay_alu instid0(VALU_DEP_2) | instskip(NEXT) | instid1(VALU_DEP_2)
	v_add_nc_u32_e32 v14, v14, v182
	v_xor_b32_e32 v180, 1, v180
	s_delay_alu instid0(VALU_DEP_2) | instskip(NEXT) | instid1(VALU_DEP_1)
	v_and_b32_e32 v10, 0xfffff, v14
	v_add_nc_u32_e32 v14, v10, v182
                                        ; implicit-def: $vgpr10
	s_delay_alu instid0(VALU_DEP_3)
	v_cmpx_ne_u32_e64 v179, v180
	s_xor_b32 s13, exec_lo, s13
; %bb.1201:                             ;   in Loop: Header=BB4_394 Depth=4
	s_delay_alu instid0(VALU_DEP_2) | instskip(SKIP_2) | instid1(VALU_DEP_2)
	v_cmp_lt_u32_e32 vcc_lo, 0xffffff, v14
	v_sub_nc_u32_e32 v10, v179, v180
	v_cndmask_b32_e64 v179, 0, 1, vcc_lo
	v_add_co_ci_u32_e32 v10, vcc_lo, 0, v10, vcc_lo
	s_delay_alu instid0(VALU_DEP_2)
	v_lshrrev_b32_e32 v14, v179, v14
; %bb.1202:                             ;   in Loop: Header=BB4_394 Depth=4
	s_and_not1_saveexec_b32 s13, s13
; %bb.1203:                             ;   in Loop: Header=BB4_394 Depth=4
	s_delay_alu instid0(VALU_DEP_1)
	v_bfe_u32 v10, v14, 23, 1
; %bb.1204:                             ;   in Loop: Header=BB4_394 Depth=4
	s_or_b32 exec_lo, exec_lo, s13
	v_lshrrev_b32_e32 v14, 20, v14
	s_delay_alu instid0(VALU_DEP_2) | instskip(SKIP_2) | instid1(VALU_DEP_2)
	v_cmp_gt_i32_e32 vcc_lo, 16, v10
	v_lshrrev_b32_e32 v179, 24, v181
	v_min_i32_e32 v180, 15, v10
	v_dual_cndmask_b32 v14, 7, v14 :: v_dual_and_b32 v179, 0x80, v179
	s_delay_alu instid0(VALU_DEP_2) | instskip(NEXT) | instid1(VALU_DEP_2)
	v_lshlrev_b32_e32 v180, 3, v180
	v_and_b32_e32 v181, 7, v14
	v_or_b32_e32 v10, v10, v14
	s_delay_alu instid0(VALU_DEP_2) | instskip(NEXT) | instid1(VALU_DEP_2)
	v_or3_b32 v14, v180, v179, v181
	v_cmp_ne_u32_e32 vcc_lo, 0, v10
	s_delay_alu instid0(VALU_DEP_2)
	v_cndmask_b32_e32 v10, 0, v14, vcc_lo
.LBB4_1205:                             ;   in Loop: Header=BB4_394 Depth=4
	s_or_b32 exec_lo, exec_lo, s37
.LBB4_1206:                             ;   in Loop: Header=BB4_394 Depth=4
	s_delay_alu instid0(SALU_CYCLE_1) | instskip(SKIP_2) | instid1(VALU_DEP_1)
	s_or_b32 exec_lo, exec_lo, s36
	v_and_b32_e32 v14, 0xff, v15
	s_and_not1_b32 vcc_lo, exec_lo, s35
	v_cmp_lt_i16_e64 s13, 0x7f, v14
	s_cbranch_vccnz .LBB4_1216
; %bb.1207:                             ;   in Loop: Header=BB4_394 Depth=4
	s_mov_b32 s36, 0
                                        ; implicit-def: $sgpr37
	s_delay_alu instid0(VALU_DEP_1) | instskip(NEXT) | instid1(SALU_CYCLE_1)
	s_and_saveexec_b32 vcc_lo, s13
	s_xor_b32 s13, exec_lo, vcc_lo
	s_cbranch_execnz .LBB4_1768
; %bb.1208:                             ;   in Loop: Header=BB4_394 Depth=4
	s_or_saveexec_b32 s13, s13
	v_mov_b32_e32 v179, s37
	s_xor_b32 exec_lo, exec_lo, s13
	s_cbranch_execnz .LBB4_1771
.LBB4_1209:                             ;   in Loop: Header=BB4_394 Depth=4
	s_or_b32 exec_lo, exec_lo, s13
	s_and_saveexec_b32 s13, s36
	s_cbranch_execz .LBB4_1211
.LBB4_1210:                             ;   in Loop: Header=BB4_394 Depth=4
	v_bfe_u32 v182, v15, 3, 4
	v_lshlrev_b32_e32 v183, 24, v15
	s_delay_alu instid0(VALU_DEP_2) | instskip(SKIP_1) | instid1(VALU_DEP_1)
	v_cmp_eq_u32_e32 vcc_lo, 0, v182
	v_and_b32_e32 v179, 7, v15
	v_clz_i32_u32_e32 v180, v179
	s_delay_alu instid0(VALU_DEP_1) | instskip(NEXT) | instid1(VALU_DEP_1)
	v_min_u32_e32 v180, 32, v180
	v_subrev_nc_u32_e32 v181, 28, v180
	v_sub_nc_u32_e32 v180, 29, v180
	s_delay_alu instid0(VALU_DEP_1) | instskip(NEXT) | instid1(VALU_DEP_1)
	v_dual_cndmask_b32 v180, v182, v180 :: v_dual_lshlrev_b32 v181, v181, v15
	v_and_b32_e32 v181, 7, v181
	s_delay_alu instid0(VALU_DEP_2) | instskip(NEXT) | instid1(VALU_DEP_2)
	v_lshl_add_u32 v180, v180, 23, 0x3b800000
	v_cndmask_b32_e32 v179, v179, v181, vcc_lo
	v_and_b32_e32 v181, 0x80000000, v183
	s_delay_alu instid0(VALU_DEP_2) | instskip(NEXT) | instid1(VALU_DEP_1)
	v_lshlrev_b32_e32 v179, 20, v179
	v_or3_b32 v179, v181, v180, v179
.LBB4_1211:                             ;   in Loop: Header=BB4_394 Depth=4
	s_or_b32 exec_lo, exec_lo, s13
	v_and_b32_e32 v181, 0xff, v11
	s_mov_b32 s13, 0
	s_mov_b32 s37, exec_lo
                                        ; implicit-def: $sgpr36
	s_delay_alu instid0(VALU_DEP_1)
	v_cmpx_lt_i16_e64 0x7f, v181
	s_xor_b32 s37, exec_lo, s37
	s_cbranch_execnz .LBB4_1772
; %bb.1212:                             ;   in Loop: Header=BB4_394 Depth=4
	s_or_saveexec_b32 s37, s37
	v_mov_b32_e32 v180, s36
	s_xor_b32 exec_lo, exec_lo, s37
	s_cbranch_execnz .LBB4_1775
.LBB4_1213:                             ;   in Loop: Header=BB4_394 Depth=4
	s_or_b32 exec_lo, exec_lo, s37
	s_and_saveexec_b32 s36, s13
	s_cbranch_execz .LBB4_1215
.LBB4_1214:                             ;   in Loop: Header=BB4_394 Depth=4
	v_bfe_u32 v183, v11, 3, 4
	v_lshlrev_b32_e32 v40, 24, v11
	s_delay_alu instid0(VALU_DEP_2) | instskip(SKIP_1) | instid1(VALU_DEP_1)
	v_cmp_eq_u32_e32 vcc_lo, 0, v183
	v_and_b32_e32 v180, 7, v11
	v_clz_i32_u32_e32 v181, v180
	s_delay_alu instid0(VALU_DEP_1) | instskip(NEXT) | instid1(VALU_DEP_1)
	v_min_u32_e32 v181, 32, v181
	v_subrev_nc_u32_e32 v182, 28, v181
	v_sub_nc_u32_e32 v181, 29, v181
	s_delay_alu instid0(VALU_DEP_1) | instskip(NEXT) | instid1(VALU_DEP_1)
	v_dual_cndmask_b32 v181, v183, v181 :: v_dual_lshlrev_b32 v182, v182, v11
	v_and_b32_e32 v182, 7, v182
	s_delay_alu instid0(VALU_DEP_2) | instskip(NEXT) | instid1(VALU_DEP_2)
	v_lshl_add_u32 v181, v181, 23, 0x3b800000
	v_cndmask_b32_e32 v180, v180, v182, vcc_lo
	v_and_b32_e32 v182, 0x80000000, v40
	s_delay_alu instid0(VALU_DEP_2) | instskip(NEXT) | instid1(VALU_DEP_1)
	v_lshlrev_b32_e32 v180, 20, v180
	v_or3_b32 v180, v182, v181, v180
.LBB4_1215:                             ;   in Loop: Header=BB4_394 Depth=4
	s_or_b32 exec_lo, exec_lo, s36
	s_delay_alu instid0(VALU_DEP_1) | instskip(SKIP_1) | instid1(VALU_DEP_1)
	v_dual_max_f32 v180, v180, v180 :: v_dual_max_f32 v179, v179, v179
	s_mov_b32 s13, 0
	v_max_f32_e32 v179, v179, v180
	s_branch .LBB4_1217
.LBB4_1216:                             ;   in Loop: Header=BB4_394 Depth=4
	s_mov_b32 s13, -1
                                        ; implicit-def: $vgpr179
.LBB4_1217:                             ;   in Loop: Header=BB4_394 Depth=4
	s_delay_alu instid0(SALU_CYCLE_1)
	s_and_b32 vcc_lo, exec_lo, s13
	s_cbranch_vccz .LBB4_1227
; %bb.1218:                             ;   in Loop: Header=BB4_394 Depth=4
	s_mov_b32 s13, 0
	s_mov_b32 s37, exec_lo
                                        ; implicit-def: $sgpr36
	v_cmpx_lt_i16_e32 0x7f, v14
	s_xor_b32 s37, exec_lo, s37
	s_cbranch_execnz .LBB4_1776
; %bb.1219:                             ;   in Loop: Header=BB4_394 Depth=4
	s_or_saveexec_b32 s37, s37
	v_mov_b32_e32 v179, s36
	s_xor_b32 exec_lo, exec_lo, s37
	s_cbranch_execnz .LBB4_1779
.LBB4_1220:                             ;   in Loop: Header=BB4_394 Depth=4
	s_or_b32 exec_lo, exec_lo, s37
	s_and_saveexec_b32 s36, s13
	s_cbranch_execz .LBB4_1222
.LBB4_1221:                             ;   in Loop: Header=BB4_394 Depth=4
	v_and_b32_e32 v14, 7, v15
	v_bfe_u32 v181, v15, 3, 4
	v_lshlrev_b32_e32 v182, 24, v15
	s_delay_alu instid0(VALU_DEP_3) | instskip(NEXT) | instid1(VALU_DEP_3)
	v_clz_i32_u32_e32 v179, v14
	v_cmp_eq_u32_e32 vcc_lo, 0, v181
	s_delay_alu instid0(VALU_DEP_2) | instskip(NEXT) | instid1(VALU_DEP_1)
	v_min_u32_e32 v179, 32, v179
	v_subrev_nc_u32_e32 v180, 28, v179
	v_sub_nc_u32_e32 v179, 29, v179
	s_delay_alu instid0(VALU_DEP_2) | instskip(NEXT) | instid1(VALU_DEP_1)
	v_lshlrev_b32_e32 v180, v180, v15
	v_dual_cndmask_b32 v179, v181, v179 :: v_dual_and_b32 v180, 7, v180
	s_delay_alu instid0(VALU_DEP_1) | instskip(NEXT) | instid1(VALU_DEP_2)
	v_lshl_add_u32 v179, v179, 23, 0x3b800000
	v_cndmask_b32_e32 v14, v14, v180, vcc_lo
	v_and_b32_e32 v180, 0x80000000, v182
	s_delay_alu instid0(VALU_DEP_2) | instskip(NEXT) | instid1(VALU_DEP_1)
	v_lshlrev_b32_e32 v14, 20, v14
	v_or3_b32 v179, v180, v179, v14
.LBB4_1222:                             ;   in Loop: Header=BB4_394 Depth=4
	s_or_b32 exec_lo, exec_lo, s36
	v_and_b32_e32 v180, 0xff, v11
	s_mov_b32 s13, 0
	s_mov_b32 s37, exec_lo
                                        ; implicit-def: $sgpr36
	s_delay_alu instid0(VALU_DEP_1)
	v_cmpx_lt_i16_e64 0x7f, v180
	s_xor_b32 s37, exec_lo, s37
	s_cbranch_execnz .LBB4_1780
; %bb.1223:                             ;   in Loop: Header=BB4_394 Depth=4
	s_or_saveexec_b32 s37, s37
	v_mov_b32_e32 v14, s36
	s_xor_b32 exec_lo, exec_lo, s37
	s_cbranch_execnz .LBB4_1783
.LBB4_1224:                             ;   in Loop: Header=BB4_394 Depth=4
	s_or_b32 exec_lo, exec_lo, s37
	s_and_saveexec_b32 s36, s13
	s_cbranch_execz .LBB4_1226
.LBB4_1225:                             ;   in Loop: Header=BB4_394 Depth=4
	v_and_b32_e32 v14, 7, v11
	v_bfe_u32 v182, v11, 3, 4
	s_delay_alu instid0(VALU_DEP_2) | instskip(NEXT) | instid1(VALU_DEP_2)
	v_clz_i32_u32_e32 v180, v14
	v_cmp_eq_u32_e32 vcc_lo, 0, v182
	s_delay_alu instid0(VALU_DEP_2) | instskip(NEXT) | instid1(VALU_DEP_1)
	v_min_u32_e32 v180, 32, v180
	v_subrev_nc_u32_e32 v181, 28, v180
	v_sub_nc_u32_e32 v180, 29, v180
	s_delay_alu instid0(VALU_DEP_1) | instskip(NEXT) | instid1(VALU_DEP_1)
	v_dual_cndmask_b32 v180, v182, v180 :: v_dual_lshlrev_b32 v181, v181, v11
	v_and_b32_e32 v181, 7, v181
	v_lshlrev_b32_e32 v183, 24, v11
	s_delay_alu instid0(VALU_DEP_3) | instskip(NEXT) | instid1(VALU_DEP_2)
	v_lshl_add_u32 v180, v180, 23, 0x3b800000
	v_dual_cndmask_b32 v14, v14, v181 :: v_dual_and_b32 v181, 0x80000000, v183
	s_delay_alu instid0(VALU_DEP_1) | instskip(NEXT) | instid1(VALU_DEP_1)
	v_lshlrev_b32_e32 v14, 20, v14
	v_or3_b32 v14, v181, v180, v14
.LBB4_1226:                             ;   in Loop: Header=BB4_394 Depth=4
	s_or_b32 exec_lo, exec_lo, s36
	s_delay_alu instid0(VALU_DEP_1) | instskip(NEXT) | instid1(VALU_DEP_1)
	v_dual_max_f32 v14, v14, v14 :: v_dual_max_f32 v179, v179, v179
	v_min_f32_e32 v179, v179, v14
.LBB4_1227:                             ;   in Loop: Header=BB4_394 Depth=4
	s_delay_alu instid0(VALU_DEP_1) | instskip(NEXT) | instid1(VALU_DEP_1)
	v_and_b32_e32 v14, 0x7f800000, v179
	v_cmp_ne_u32_e32 vcc_lo, 0x7f800000, v14
	v_mov_b32_e32 v14, 0x80
	s_and_saveexec_b32 s36, vcc_lo
	s_cbranch_execz .LBB4_1235
; %bb.1228:                             ;   in Loop: Header=BB4_394 Depth=4
	v_mov_b32_e32 v14, 0
	s_mov_b32 s37, exec_lo
	v_cmpx_ne_u32_e32 0, v179
	s_cbranch_execz .LBB4_1234
; %bb.1229:                             ;   in Loop: Header=BB4_394 Depth=4
	v_bfe_u32 v14, v179, 23, 8
	s_delay_alu instid0(VALU_DEP_1) | instskip(SKIP_1) | instid1(VALU_DEP_2)
	v_sub_nc_u32_e32 v181, 0x78, v14
	v_cmp_gt_u32_e32 vcc_lo, 0x79, v14
	v_dual_cndmask_b32 v181, 0, v181 :: v_dual_and_b32 v180, 0x7fffff, v179
	s_delay_alu instid0(VALU_DEP_1) | instskip(SKIP_2) | instid1(VALU_DEP_4)
	v_or_b32_e32 v182, 0x800000, v180
	v_cmp_eq_u32_e32 vcc_lo, 0, v14
	v_add_nc_u32_e32 v14, 0xffffff89, v14
	v_cndmask_b32_e64 v181, v181, 0x77, vcc_lo
	s_delay_alu instid0(VALU_DEP_2) | instskip(SKIP_1) | instid1(VALU_DEP_3)
	v_cndmask_b32_e64 v14, v14, 0xffffff8a, vcc_lo
	v_cndmask_b32_e32 v180, v182, v180, vcc_lo
	v_lshl_add_u32 v182, 0x100000, v181, -1
	v_lshlrev_b32_e64 v41, v181, 0x80000
	s_delay_alu instid0(VALU_DEP_3) | instskip(SKIP_1) | instid1(VALU_DEP_4)
	v_lshrrev_b32_e32 v183, v181, v180
	v_add_nc_u32_e32 v181, v181, v14
	v_and_b32_e32 v180, v182, v180
	s_delay_alu instid0(VALU_DEP_3) | instskip(NEXT) | instid1(VALU_DEP_2)
	v_bfe_u32 v40, v183, 20, 1
	v_cmp_eq_u32_e64 s13, v180, v41
	s_delay_alu instid0(VALU_DEP_2) | instskip(NEXT) | instid1(VALU_DEP_1)
	v_add_nc_u32_e32 v182, -1, v40
	v_cndmask_b32_e64 v180, 0, v182, s13
	v_lshrrev_b32_e32 v182, 23, v183
	s_mov_b32 s13, exec_lo
	s_delay_alu instid0(VALU_DEP_2) | instskip(NEXT) | instid1(VALU_DEP_2)
	v_add_nc_u32_e32 v180, v180, v183
	v_xor_b32_e32 v182, 1, v182
	s_delay_alu instid0(VALU_DEP_2) | instskip(NEXT) | instid1(VALU_DEP_1)
	v_and_b32_e32 v14, 0xfffff, v180
	v_add_nc_u32_e32 v180, v14, v183
                                        ; implicit-def: $vgpr14
	s_delay_alu instid0(VALU_DEP_3)
	v_cmpx_ne_u32_e64 v181, v182
	s_xor_b32 s13, exec_lo, s13
; %bb.1230:                             ;   in Loop: Header=BB4_394 Depth=4
	s_delay_alu instid0(VALU_DEP_2) | instskip(SKIP_2) | instid1(VALU_DEP_2)
	v_cmp_lt_u32_e32 vcc_lo, 0xffffff, v180
	v_sub_nc_u32_e32 v14, v181, v182
	v_cndmask_b32_e64 v181, 0, 1, vcc_lo
	v_add_co_ci_u32_e32 v14, vcc_lo, 0, v14, vcc_lo
	s_delay_alu instid0(VALU_DEP_2)
	v_lshrrev_b32_e32 v180, v181, v180
; %bb.1231:                             ;   in Loop: Header=BB4_394 Depth=4
	s_and_not1_saveexec_b32 s13, s13
; %bb.1232:                             ;   in Loop: Header=BB4_394 Depth=4
	s_delay_alu instid0(VALU_DEP_1)
	v_bfe_u32 v14, v180, 23, 1
; %bb.1233:                             ;   in Loop: Header=BB4_394 Depth=4
	s_or_b32 exec_lo, exec_lo, s13
	v_lshrrev_b32_e32 v180, 20, v180
	s_delay_alu instid0(VALU_DEP_2) | instskip(SKIP_2) | instid1(VALU_DEP_2)
	v_cmp_gt_i32_e32 vcc_lo, 16, v14
	v_lshrrev_b32_e32 v179, 24, v179
	v_min_i32_e32 v181, 15, v14
	v_dual_cndmask_b32 v180, 7, v180 :: v_dual_and_b32 v179, 0x80, v179
	s_delay_alu instid0(VALU_DEP_1) | instskip(SKIP_1) | instid1(VALU_DEP_2)
	v_or_b32_e32 v14, v14, v180
	v_and_b32_e32 v182, 7, v180
	v_cmp_ne_u32_e32 vcc_lo, 0, v14
	v_lshlrev_b32_e32 v181, 3, v181
	s_delay_alu instid0(VALU_DEP_1) | instskip(NEXT) | instid1(VALU_DEP_1)
	v_or3_b32 v179, v181, v179, v182
	v_cndmask_b32_e32 v14, 0, v179, vcc_lo
.LBB4_1234:                             ;   in Loop: Header=BB4_394 Depth=4
	s_or_b32 exec_lo, exec_lo, s37
.LBB4_1235:                             ;   in Loop: Header=BB4_394 Depth=4
	s_delay_alu instid0(SALU_CYCLE_1) | instskip(SKIP_3) | instid1(VALU_DEP_2)
	s_or_b32 exec_lo, exec_lo, s36
	v_lshrrev_b16 v180, 8, v15
	v_lshrrev_b16 v179, 8, v11
	s_and_not1_b32 vcc_lo, exec_lo, s35
	v_cmp_lt_i16_e64 s13, 0x7f, v180
	s_cbranch_vccnz .LBB4_1245
; %bb.1236:                             ;   in Loop: Header=BB4_394 Depth=4
	s_mov_b32 s36, 0
                                        ; implicit-def: $sgpr37
	s_delay_alu instid0(VALU_DEP_1) | instskip(NEXT) | instid1(SALU_CYCLE_1)
	s_and_saveexec_b32 vcc_lo, s13
	s_xor_b32 s13, exec_lo, vcc_lo
	s_cbranch_execnz .LBB4_1784
; %bb.1237:                             ;   in Loop: Header=BB4_394 Depth=4
	s_or_saveexec_b32 s13, s13
	v_mov_b32_e32 v181, s37
	s_xor_b32 exec_lo, exec_lo, s13
	s_cbranch_execnz .LBB4_1787
.LBB4_1238:                             ;   in Loop: Header=BB4_394 Depth=4
	s_or_b32 exec_lo, exec_lo, s13
	s_and_saveexec_b32 s13, s36
	s_cbranch_execz .LBB4_1240
.LBB4_1239:                             ;   in Loop: Header=BB4_394 Depth=4
	v_and_b32_e32 v181, 0xffff, v180
	s_delay_alu instid0(VALU_DEP_1) | instskip(NEXT) | instid1(VALU_DEP_1)
	v_and_b32_e32 v182, 7, v181
	v_clz_i32_u32_e32 v183, v182
	s_delay_alu instid0(VALU_DEP_1) | instskip(NEXT) | instid1(VALU_DEP_1)
	v_min_u32_e32 v183, 32, v183
	v_subrev_nc_u32_e32 v40, 28, v183
	v_sub_nc_u32_e32 v183, 29, v183
	s_delay_alu instid0(VALU_DEP_2) | instskip(SKIP_1) | instid1(VALU_DEP_2)
	v_lshlrev_b32_e32 v40, v40, v181
	v_bfe_u32 v181, v181, 3, 4
	v_and_b32_e32 v40, 7, v40
	s_delay_alu instid0(VALU_DEP_2) | instskip(SKIP_1) | instid1(VALU_DEP_3)
	v_cmp_eq_u32_e32 vcc_lo, 0, v181
	v_cndmask_b32_e32 v181, v181, v183, vcc_lo
	v_dual_cndmask_b32 v182, v182, v40 :: v_dual_lshlrev_b32 v41, 16, v15
	s_delay_alu instid0(VALU_DEP_2) | instskip(NEXT) | instid1(VALU_DEP_2)
	v_lshl_add_u32 v181, v181, 23, 0x3b800000
	v_and_b32_e32 v183, 0x80000000, v41
	s_delay_alu instid0(VALU_DEP_3) | instskip(NEXT) | instid1(VALU_DEP_1)
	v_lshlrev_b32_e32 v182, 20, v182
	v_or3_b32 v181, v183, v181, v182
.LBB4_1240:                             ;   in Loop: Header=BB4_394 Depth=4
	s_or_b32 exec_lo, exec_lo, s13
	s_mov_b32 s13, 0
	s_mov_b32 s37, exec_lo
                                        ; implicit-def: $sgpr36
	v_cmpx_lt_i16_e64 0x7f, v179
	s_xor_b32 s37, exec_lo, s37
	s_cbranch_execnz .LBB4_1788
; %bb.1241:                             ;   in Loop: Header=BB4_394 Depth=4
	s_or_saveexec_b32 s37, s37
	v_mov_b32_e32 v182, s36
	s_xor_b32 exec_lo, exec_lo, s37
	s_cbranch_execnz .LBB4_1791
.LBB4_1242:                             ;   in Loop: Header=BB4_394 Depth=4
	s_or_b32 exec_lo, exec_lo, s37
	s_and_saveexec_b32 s36, s13
	s_cbranch_execz .LBB4_1244
.LBB4_1243:                             ;   in Loop: Header=BB4_394 Depth=4
	v_and_b32_e32 v182, 0xffff, v179
	v_lshlrev_b32_e32 v42, 16, v11
	s_delay_alu instid0(VALU_DEP_2) | instskip(NEXT) | instid1(VALU_DEP_1)
	v_and_b32_e32 v183, 7, v182
	v_clz_i32_u32_e32 v40, v183
	s_delay_alu instid0(VALU_DEP_1) | instskip(NEXT) | instid1(VALU_DEP_1)
	v_min_u32_e32 v40, 32, v40
	v_subrev_nc_u32_e32 v41, 28, v40
	v_sub_nc_u32_e32 v40, 29, v40
	s_delay_alu instid0(VALU_DEP_2) | instskip(SKIP_1) | instid1(VALU_DEP_2)
	v_lshlrev_b32_e32 v41, v41, v182
	v_bfe_u32 v182, v182, 3, 4
	v_and_b32_e32 v41, 7, v41
	s_delay_alu instid0(VALU_DEP_2) | instskip(NEXT) | instid1(VALU_DEP_2)
	v_cmp_eq_u32_e32 vcc_lo, 0, v182
	v_dual_cndmask_b32 v182, v182, v40 :: v_dual_cndmask_b32 v183, v183, v41
	v_and_b32_e32 v40, 0x80000000, v42
	s_delay_alu instid0(VALU_DEP_2) | instskip(NEXT) | instid1(VALU_DEP_3)
	v_lshl_add_u32 v182, v182, 23, 0x3b800000
	v_lshlrev_b32_e32 v183, 20, v183
	s_delay_alu instid0(VALU_DEP_1)
	v_or3_b32 v182, v40, v182, v183
.LBB4_1244:                             ;   in Loop: Header=BB4_394 Depth=4
	s_or_b32 exec_lo, exec_lo, s36
	s_delay_alu instid0(VALU_DEP_1) | instskip(SKIP_1) | instid1(VALU_DEP_1)
	v_dual_max_f32 v182, v182, v182 :: v_dual_max_f32 v181, v181, v181
	s_mov_b32 s13, 0
	v_max_f32_e32 v181, v181, v182
	s_branch .LBB4_1246
.LBB4_1245:                             ;   in Loop: Header=BB4_394 Depth=4
	s_mov_b32 s13, -1
                                        ; implicit-def: $vgpr181
.LBB4_1246:                             ;   in Loop: Header=BB4_394 Depth=4
	s_delay_alu instid0(SALU_CYCLE_1)
	s_and_b32 vcc_lo, exec_lo, s13
	s_cbranch_vccz .LBB4_1256
; %bb.1247:                             ;   in Loop: Header=BB4_394 Depth=4
	s_mov_b32 s13, 0
	s_mov_b32 s37, exec_lo
                                        ; implicit-def: $sgpr36
	v_cmpx_lt_i16_e64 0x7f, v180
	s_xor_b32 s37, exec_lo, s37
	s_cbranch_execnz .LBB4_1792
; %bb.1248:                             ;   in Loop: Header=BB4_394 Depth=4
	s_or_saveexec_b32 s37, s37
	v_mov_b32_e32 v181, s36
	s_xor_b32 exec_lo, exec_lo, s37
	s_cbranch_execnz .LBB4_1795
.LBB4_1249:                             ;   in Loop: Header=BB4_394 Depth=4
	s_or_b32 exec_lo, exec_lo, s37
	s_and_saveexec_b32 s36, s13
	s_cbranch_execz .LBB4_1251
.LBB4_1250:                             ;   in Loop: Header=BB4_394 Depth=4
	v_and_b32_e32 v180, 0xffff, v180
	v_lshlrev_b32_e32 v40, 16, v15
	s_delay_alu instid0(VALU_DEP_2) | instskip(NEXT) | instid1(VALU_DEP_1)
	v_and_b32_e32 v181, 7, v180
	v_clz_i32_u32_e32 v182, v181
	s_delay_alu instid0(VALU_DEP_1) | instskip(NEXT) | instid1(VALU_DEP_1)
	v_min_u32_e32 v182, 32, v182
	v_subrev_nc_u32_e32 v183, 28, v182
	v_sub_nc_u32_e32 v182, 29, v182
	s_delay_alu instid0(VALU_DEP_2) | instskip(SKIP_1) | instid1(VALU_DEP_2)
	v_lshlrev_b32_e32 v183, v183, v180
	v_bfe_u32 v180, v180, 3, 4
	v_and_b32_e32 v183, 7, v183
	s_delay_alu instid0(VALU_DEP_2) | instskip(NEXT) | instid1(VALU_DEP_2)
	v_cmp_eq_u32_e32 vcc_lo, 0, v180
	v_dual_cndmask_b32 v180, v180, v182 :: v_dual_cndmask_b32 v181, v181, v183
	v_and_b32_e32 v182, 0x80000000, v40
	s_delay_alu instid0(VALU_DEP_2) | instskip(NEXT) | instid1(VALU_DEP_3)
	v_lshl_add_u32 v180, v180, 23, 0x3b800000
	v_lshlrev_b32_e32 v181, 20, v181
	s_delay_alu instid0(VALU_DEP_1)
	v_or3_b32 v181, v182, v180, v181
.LBB4_1251:                             ;   in Loop: Header=BB4_394 Depth=4
	s_or_b32 exec_lo, exec_lo, s36
	s_mov_b32 s13, 0
	s_mov_b32 s37, exec_lo
                                        ; implicit-def: $sgpr36
	v_cmpx_lt_i16_e64 0x7f, v179
	s_xor_b32 s37, exec_lo, s37
	s_cbranch_execnz .LBB4_1796
; %bb.1252:                             ;   in Loop: Header=BB4_394 Depth=4
	s_or_saveexec_b32 s37, s37
	v_mov_b32_e32 v180, s36
	s_xor_b32 exec_lo, exec_lo, s37
	s_cbranch_execnz .LBB4_1799
.LBB4_1253:                             ;   in Loop: Header=BB4_394 Depth=4
	s_or_b32 exec_lo, exec_lo, s37
	s_and_saveexec_b32 s36, s13
	s_cbranch_execz .LBB4_1255
.LBB4_1254:                             ;   in Loop: Header=BB4_394 Depth=4
	v_and_b32_e32 v179, 0xffff, v179
	v_lshlrev_b32_e32 v40, 16, v11
	s_delay_alu instid0(VALU_DEP_2) | instskip(NEXT) | instid1(VALU_DEP_1)
	v_and_b32_e32 v180, 7, v179
	v_clz_i32_u32_e32 v182, v180
	s_delay_alu instid0(VALU_DEP_1) | instskip(NEXT) | instid1(VALU_DEP_1)
	v_min_u32_e32 v182, 32, v182
	v_subrev_nc_u32_e32 v183, 28, v182
	v_sub_nc_u32_e32 v182, 29, v182
	s_delay_alu instid0(VALU_DEP_2) | instskip(SKIP_1) | instid1(VALU_DEP_2)
	v_lshlrev_b32_e32 v183, v183, v179
	v_bfe_u32 v179, v179, 3, 4
	v_and_b32_e32 v183, 7, v183
	s_delay_alu instid0(VALU_DEP_2) | instskip(NEXT) | instid1(VALU_DEP_2)
	v_cmp_eq_u32_e32 vcc_lo, 0, v179
	v_dual_cndmask_b32 v179, v179, v182 :: v_dual_cndmask_b32 v180, v180, v183
	v_and_b32_e32 v182, 0x80000000, v40
	s_delay_alu instid0(VALU_DEP_2) | instskip(NEXT) | instid1(VALU_DEP_3)
	v_lshl_add_u32 v179, v179, 23, 0x3b800000
	v_lshlrev_b32_e32 v180, 20, v180
	s_delay_alu instid0(VALU_DEP_1)
	v_or3_b32 v180, v182, v179, v180
.LBB4_1255:                             ;   in Loop: Header=BB4_394 Depth=4
	s_or_b32 exec_lo, exec_lo, s36
	s_delay_alu instid0(VALU_DEP_1) | instskip(NEXT) | instid1(VALU_DEP_1)
	v_dual_max_f32 v179, v180, v180 :: v_dual_max_f32 v180, v181, v181
	v_min_f32_e32 v181, v180, v179
.LBB4_1256:                             ;   in Loop: Header=BB4_394 Depth=4
	s_delay_alu instid0(VALU_DEP_1) | instskip(NEXT) | instid1(VALU_DEP_1)
	v_and_b32_e32 v179, 0x7f800000, v181
	v_cmp_ne_u32_e32 vcc_lo, 0x7f800000, v179
	v_mov_b32_e32 v179, 0x80
	s_and_saveexec_b32 s36, vcc_lo
	s_cbranch_execz .LBB4_1264
; %bb.1257:                             ;   in Loop: Header=BB4_394 Depth=4
	v_mov_b32_e32 v179, 0
	s_mov_b32 s37, exec_lo
	v_cmpx_ne_u32_e32 0, v181
	s_cbranch_execz .LBB4_1263
; %bb.1258:                             ;   in Loop: Header=BB4_394 Depth=4
	v_bfe_u32 v179, v181, 23, 8
	v_and_b32_e32 v180, 0x7fffff, v181
	s_delay_alu instid0(VALU_DEP_2) | instskip(SKIP_1) | instid1(VALU_DEP_3)
	v_sub_nc_u32_e32 v182, 0x78, v179
	v_cmp_gt_u32_e32 vcc_lo, 0x79, v179
	v_or_b32_e32 v183, 0x800000, v180
	s_delay_alu instid0(VALU_DEP_3) | instskip(SKIP_2) | instid1(VALU_DEP_3)
	v_cndmask_b32_e32 v182, 0, v182, vcc_lo
	v_cmp_eq_u32_e32 vcc_lo, 0, v179
	v_add_nc_u32_e32 v179, 0xffffff89, v179
	v_cndmask_b32_e64 v182, v182, 0x77, vcc_lo
	v_cndmask_b32_e32 v180, v183, v180, vcc_lo
	s_delay_alu instid0(VALU_DEP_3) | instskip(NEXT) | instid1(VALU_DEP_3)
	v_cndmask_b32_e64 v179, v179, 0xffffff8a, vcc_lo
	v_lshl_add_u32 v183, 0x100000, v182, -1
	s_delay_alu instid0(VALU_DEP_3) | instskip(SKIP_1) | instid1(VALU_DEP_4)
	v_lshrrev_b32_e32 v40, v182, v180
	v_lshlrev_b32_e64 v42, v182, 0x80000
	v_add_nc_u32_e32 v182, v182, v179
	s_delay_alu instid0(VALU_DEP_4) | instskip(NEXT) | instid1(VALU_DEP_4)
	v_and_b32_e32 v180, v183, v180
	v_bfe_u32 v41, v40, 20, 1
	s_delay_alu instid0(VALU_DEP_2) | instskip(NEXT) | instid1(VALU_DEP_2)
	v_cmp_eq_u32_e64 s13, v180, v42
	v_add_nc_u32_e32 v183, -1, v41
	s_delay_alu instid0(VALU_DEP_1) | instskip(SKIP_2) | instid1(VALU_DEP_2)
	v_cndmask_b32_e64 v180, 0, v183, s13
	v_lshrrev_b32_e32 v183, 23, v40
	s_mov_b32 s13, exec_lo
	v_add_nc_u32_e32 v180, v180, v40
	s_delay_alu instid0(VALU_DEP_2) | instskip(NEXT) | instid1(VALU_DEP_2)
	v_xor_b32_e32 v183, 1, v183
	v_and_b32_e32 v179, 0xfffff, v180
	s_delay_alu instid0(VALU_DEP_1) | instskip(NEXT) | instid1(VALU_DEP_3)
	v_add_nc_u32_e32 v180, v179, v40
                                        ; implicit-def: $vgpr179
	v_cmpx_ne_u32_e64 v182, v183
	s_xor_b32 s13, exec_lo, s13
; %bb.1259:                             ;   in Loop: Header=BB4_394 Depth=4
	s_delay_alu instid0(VALU_DEP_2) | instskip(SKIP_2) | instid1(VALU_DEP_2)
	v_cmp_lt_u32_e32 vcc_lo, 0xffffff, v180
	v_sub_nc_u32_e32 v179, v182, v183
	v_cndmask_b32_e64 v182, 0, 1, vcc_lo
	v_add_co_ci_u32_e32 v179, vcc_lo, 0, v179, vcc_lo
	s_delay_alu instid0(VALU_DEP_2)
	v_lshrrev_b32_e32 v180, v182, v180
; %bb.1260:                             ;   in Loop: Header=BB4_394 Depth=4
	s_and_not1_saveexec_b32 s13, s13
; %bb.1261:                             ;   in Loop: Header=BB4_394 Depth=4
	s_delay_alu instid0(VALU_DEP_1)
	v_bfe_u32 v179, v180, 23, 1
; %bb.1262:                             ;   in Loop: Header=BB4_394 Depth=4
	s_or_b32 exec_lo, exec_lo, s13
	v_lshrrev_b32_e32 v180, 20, v180
	s_delay_alu instid0(VALU_DEP_2) | instskip(SKIP_2) | instid1(VALU_DEP_2)
	v_cmp_gt_i32_e32 vcc_lo, 16, v179
	v_lshrrev_b32_e32 v181, 24, v181
	v_min_i32_e32 v182, 15, v179
	v_dual_cndmask_b32 v180, 7, v180 :: v_dual_and_b32 v181, 0x80, v181
	s_delay_alu instid0(VALU_DEP_1) | instskip(SKIP_1) | instid1(VALU_DEP_2)
	v_or_b32_e32 v179, v179, v180
	v_and_b32_e32 v183, 7, v180
	v_cmp_ne_u32_e32 vcc_lo, 0, v179
	v_lshlrev_b32_e32 v182, 3, v182
	s_delay_alu instid0(VALU_DEP_1) | instskip(NEXT) | instid1(VALU_DEP_1)
	v_or3_b32 v180, v182, v181, v183
	v_cndmask_b32_e32 v179, 0, v180, vcc_lo
.LBB4_1263:                             ;   in Loop: Header=BB4_394 Depth=4
	s_or_b32 exec_lo, exec_lo, s37
.LBB4_1264:                             ;   in Loop: Header=BB4_394 Depth=4
	s_delay_alu instid0(SALU_CYCLE_1) | instskip(SKIP_3) | instid1(VALU_DEP_2)
	s_or_b32 exec_lo, exec_lo, s36
	v_lshrrev_b32_e32 v181, 16, v15
	v_lshrrev_b32_e32 v180, 16, v11
	s_and_not1_b32 vcc_lo, exec_lo, s35
	v_and_b32_e32 v182, 0xff, v181
	s_delay_alu instid0(VALU_DEP_1)
	v_cmp_lt_i16_e64 s13, 0x7f, v182
	s_cbranch_vccnz .LBB4_1274
; %bb.1265:                             ;   in Loop: Header=BB4_394 Depth=4
	s_mov_b32 s36, 0
                                        ; implicit-def: $sgpr37
	s_delay_alu instid0(VALU_DEP_1) | instskip(NEXT) | instid1(SALU_CYCLE_1)
	s_and_saveexec_b32 vcc_lo, s13
	s_xor_b32 s13, exec_lo, vcc_lo
	s_cbranch_execnz .LBB4_1800
; %bb.1266:                             ;   in Loop: Header=BB4_394 Depth=4
	s_or_saveexec_b32 s13, s13
	v_mov_b32_e32 v183, s37
	s_xor_b32 exec_lo, exec_lo, s13
	s_cbranch_execnz .LBB4_1803
.LBB4_1267:                             ;   in Loop: Header=BB4_394 Depth=4
	s_or_b32 exec_lo, exec_lo, s13
	s_and_saveexec_b32 s13, s36
	s_cbranch_execz .LBB4_1269
.LBB4_1268:                             ;   in Loop: Header=BB4_394 Depth=4
	v_bfe_u32 v183, v15, 16, 3
	v_bfe_u32 v42, v15, 19, 4
	v_lshlrev_b32_e32 v43, 24, v181
	s_delay_alu instid0(VALU_DEP_3) | instskip(NEXT) | instid1(VALU_DEP_3)
	v_clz_i32_u32_e32 v40, v183
	v_cmp_eq_u32_e32 vcc_lo, 0, v42
	s_delay_alu instid0(VALU_DEP_2) | instskip(NEXT) | instid1(VALU_DEP_1)
	v_min_u32_e32 v40, 32, v40
	v_subrev_nc_u32_e32 v41, 28, v40
	v_sub_nc_u32_e32 v40, 29, v40
	s_delay_alu instid0(VALU_DEP_1) | instskip(NEXT) | instid1(VALU_DEP_1)
	v_dual_cndmask_b32 v40, v42, v40 :: v_dual_lshlrev_b32 v41, v41, v181
	v_and_b32_e32 v41, 7, v41
	s_delay_alu instid0(VALU_DEP_2) | instskip(NEXT) | instid1(VALU_DEP_2)
	v_lshl_add_u32 v40, v40, 23, 0x3b800000
	v_cndmask_b32_e32 v183, v183, v41, vcc_lo
	v_and_b32_e32 v41, 0x80000000, v43
	s_delay_alu instid0(VALU_DEP_2) | instskip(NEXT) | instid1(VALU_DEP_1)
	v_lshlrev_b32_e32 v183, 20, v183
	v_or3_b32 v183, v41, v40, v183
.LBB4_1269:                             ;   in Loop: Header=BB4_394 Depth=4
	s_or_b32 exec_lo, exec_lo, s13
	v_and_b32_e32 v41, 0xff, v180
	s_mov_b32 s13, 0
	s_mov_b32 s37, exec_lo
                                        ; implicit-def: $sgpr36
	s_delay_alu instid0(VALU_DEP_1)
	v_cmpx_lt_i16_e32 0x7f, v41
	s_xor_b32 s37, exec_lo, s37
	s_cbranch_execnz .LBB4_1804
; %bb.1270:                             ;   in Loop: Header=BB4_394 Depth=4
	s_or_saveexec_b32 s37, s37
	v_mov_b32_e32 v40, s36
	s_xor_b32 exec_lo, exec_lo, s37
	s_cbranch_execnz .LBB4_1807
.LBB4_1271:                             ;   in Loop: Header=BB4_394 Depth=4
	s_or_b32 exec_lo, exec_lo, s37
	s_and_saveexec_b32 s36, s13
	s_cbranch_execz .LBB4_1273
.LBB4_1272:                             ;   in Loop: Header=BB4_394 Depth=4
	v_bfe_u32 v40, v11, 16, 3
	v_bfe_u32 v43, v11, 19, 4
	v_lshlrev_b32_e32 v44, 24, v180
	s_delay_alu instid0(VALU_DEP_3) | instskip(NEXT) | instid1(VALU_DEP_3)
	v_clz_i32_u32_e32 v41, v40
	v_cmp_eq_u32_e32 vcc_lo, 0, v43
	s_delay_alu instid0(VALU_DEP_2) | instskip(NEXT) | instid1(VALU_DEP_1)
	v_min_u32_e32 v41, 32, v41
	v_subrev_nc_u32_e32 v42, 28, v41
	v_sub_nc_u32_e32 v41, 29, v41
	s_delay_alu instid0(VALU_DEP_1) | instskip(NEXT) | instid1(VALU_DEP_1)
	v_dual_cndmask_b32 v41, v43, v41 :: v_dual_lshlrev_b32 v42, v42, v180
	v_and_b32_e32 v42, 7, v42
	s_delay_alu instid0(VALU_DEP_2) | instskip(NEXT) | instid1(VALU_DEP_2)
	v_lshl_add_u32 v41, v41, 23, 0x3b800000
	v_cndmask_b32_e32 v40, v40, v42, vcc_lo
	v_and_b32_e32 v42, 0x80000000, v44
	s_delay_alu instid0(VALU_DEP_2) | instskip(NEXT) | instid1(VALU_DEP_1)
	v_lshlrev_b32_e32 v40, 20, v40
	v_or3_b32 v40, v42, v41, v40
.LBB4_1273:                             ;   in Loop: Header=BB4_394 Depth=4
	s_or_b32 exec_lo, exec_lo, s36
	s_delay_alu instid0(VALU_DEP_1) | instskip(SKIP_1) | instid1(VALU_DEP_1)
	v_dual_max_f32 v40, v40, v40 :: v_dual_max_f32 v183, v183, v183
	s_mov_b32 s13, 0
	v_max_f32_e32 v183, v183, v40
	s_branch .LBB4_1275
.LBB4_1274:                             ;   in Loop: Header=BB4_394 Depth=4
	s_mov_b32 s13, -1
                                        ; implicit-def: $vgpr183
.LBB4_1275:                             ;   in Loop: Header=BB4_394 Depth=4
	s_delay_alu instid0(SALU_CYCLE_1)
	s_and_b32 vcc_lo, exec_lo, s13
	s_cbranch_vccz .LBB4_1285
; %bb.1276:                             ;   in Loop: Header=BB4_394 Depth=4
	s_mov_b32 s13, 0
	s_mov_b32 s37, exec_lo
                                        ; implicit-def: $sgpr36
	v_cmpx_lt_i16_e64 0x7f, v182
	s_xor_b32 s37, exec_lo, s37
	s_cbranch_execnz .LBB4_1808
; %bb.1277:                             ;   in Loop: Header=BB4_394 Depth=4
	s_or_saveexec_b32 s37, s37
	v_mov_b32_e32 v183, s36
	s_xor_b32 exec_lo, exec_lo, s37
	s_cbranch_execnz .LBB4_1811
.LBB4_1278:                             ;   in Loop: Header=BB4_394 Depth=4
	s_or_b32 exec_lo, exec_lo, s37
	s_and_saveexec_b32 s36, s13
	s_cbranch_execz .LBB4_1280
.LBB4_1279:                             ;   in Loop: Header=BB4_394 Depth=4
	v_bfe_u32 v182, v15, 16, 3
	v_bfe_u32 v41, v15, 19, 4
	s_delay_alu instid0(VALU_DEP_2) | instskip(NEXT) | instid1(VALU_DEP_2)
	v_clz_i32_u32_e32 v183, v182
	v_cmp_eq_u32_e32 vcc_lo, 0, v41
	s_delay_alu instid0(VALU_DEP_2) | instskip(NEXT) | instid1(VALU_DEP_1)
	v_min_u32_e32 v183, 32, v183
	v_subrev_nc_u32_e32 v40, 28, v183
	v_sub_nc_u32_e32 v183, 29, v183
	s_delay_alu instid0(VALU_DEP_1) | instskip(NEXT) | instid1(VALU_DEP_1)
	v_dual_cndmask_b32 v183, v41, v183 :: v_dual_lshlrev_b32 v40, v40, v181
	v_and_b32_e32 v40, 7, v40
	v_lshlrev_b32_e32 v181, 24, v181
	s_delay_alu instid0(VALU_DEP_3) | instskip(NEXT) | instid1(VALU_DEP_2)
	v_lshl_add_u32 v183, v183, 23, 0x3b800000
	v_dual_cndmask_b32 v182, v182, v40 :: v_dual_and_b32 v181, 0x80000000, v181
	s_delay_alu instid0(VALU_DEP_1) | instskip(NEXT) | instid1(VALU_DEP_1)
	v_lshlrev_b32_e32 v182, 20, v182
	v_or3_b32 v183, v181, v183, v182
.LBB4_1280:                             ;   in Loop: Header=BB4_394 Depth=4
	s_or_b32 exec_lo, exec_lo, s36
	v_and_b32_e32 v182, 0xff, v180
	s_mov_b32 s13, 0
	s_mov_b32 s37, exec_lo
                                        ; implicit-def: $sgpr36
	s_delay_alu instid0(VALU_DEP_1)
	v_cmpx_lt_i16_e64 0x7f, v182
	s_xor_b32 s37, exec_lo, s37
	s_cbranch_execnz .LBB4_1812
; %bb.1281:                             ;   in Loop: Header=BB4_394 Depth=4
	s_or_saveexec_b32 s37, s37
	v_mov_b32_e32 v181, s36
	s_xor_b32 exec_lo, exec_lo, s37
	s_cbranch_execnz .LBB4_1815
.LBB4_1282:                             ;   in Loop: Header=BB4_394 Depth=4
	s_or_b32 exec_lo, exec_lo, s37
	s_and_saveexec_b32 s36, s13
	s_cbranch_execz .LBB4_1284
.LBB4_1283:                             ;   in Loop: Header=BB4_394 Depth=4
	v_bfe_u32 v181, v11, 16, 3
	v_bfe_u32 v41, v11, 19, 4
	s_delay_alu instid0(VALU_DEP_2) | instskip(NEXT) | instid1(VALU_DEP_2)
	v_clz_i32_u32_e32 v182, v181
	v_cmp_eq_u32_e32 vcc_lo, 0, v41
	s_delay_alu instid0(VALU_DEP_2) | instskip(NEXT) | instid1(VALU_DEP_1)
	v_min_u32_e32 v182, 32, v182
	v_subrev_nc_u32_e32 v40, 28, v182
	v_sub_nc_u32_e32 v182, 29, v182
	s_delay_alu instid0(VALU_DEP_2) | instskip(SKIP_1) | instid1(VALU_DEP_2)
	v_lshlrev_b32_e32 v40, v40, v180
	v_lshlrev_b32_e32 v180, 24, v180
	v_and_b32_e32 v40, 7, v40
	s_delay_alu instid0(VALU_DEP_2) | instskip(NEXT) | instid1(VALU_DEP_2)
	v_and_b32_e32 v180, 0x80000000, v180
	v_cndmask_b32_e32 v181, v181, v40, vcc_lo
	s_delay_alu instid0(VALU_DEP_1) | instskip(NEXT) | instid1(VALU_DEP_1)
	v_dual_cndmask_b32 v182, v41, v182 :: v_dual_lshlrev_b32 v181, 20, v181
	v_lshl_add_u32 v182, v182, 23, 0x3b800000
	s_delay_alu instid0(VALU_DEP_1)
	v_or3_b32 v181, v180, v182, v181
.LBB4_1284:                             ;   in Loop: Header=BB4_394 Depth=4
	s_or_b32 exec_lo, exec_lo, s36
	s_delay_alu instid0(VALU_DEP_1) | instskip(NEXT) | instid1(VALU_DEP_1)
	v_dual_max_f32 v180, v181, v181 :: v_dual_max_f32 v181, v183, v183
	v_min_f32_e32 v183, v181, v180
.LBB4_1285:                             ;   in Loop: Header=BB4_394 Depth=4
	s_delay_alu instid0(VALU_DEP_1) | instskip(NEXT) | instid1(VALU_DEP_1)
	v_and_b32_e32 v180, 0x7f800000, v183
	v_cmp_ne_u32_e32 vcc_lo, 0x7f800000, v180
	v_mov_b32_e32 v180, 0x80
	s_and_saveexec_b32 s36, vcc_lo
	s_cbranch_execz .LBB4_1293
; %bb.1286:                             ;   in Loop: Header=BB4_394 Depth=4
	v_mov_b32_e32 v180, 0
	s_mov_b32 s37, exec_lo
	v_cmpx_ne_u32_e32 0, v183
	s_cbranch_execz .LBB4_1292
; %bb.1287:                             ;   in Loop: Header=BB4_394 Depth=4
	v_bfe_u32 v180, v183, 23, 8
	s_delay_alu instid0(VALU_DEP_1) | instskip(SKIP_1) | instid1(VALU_DEP_2)
	v_sub_nc_u32_e32 v182, 0x78, v180
	v_cmp_gt_u32_e32 vcc_lo, 0x79, v180
	v_dual_cndmask_b32 v182, 0, v182 :: v_dual_and_b32 v181, 0x7fffff, v183
	s_delay_alu instid0(VALU_DEP_1) | instskip(SKIP_2) | instid1(VALU_DEP_4)
	v_or_b32_e32 v40, 0x800000, v181
	v_cmp_eq_u32_e32 vcc_lo, 0, v180
	v_add_nc_u32_e32 v180, 0xffffff89, v180
	v_cndmask_b32_e64 v182, v182, 0x77, vcc_lo
	s_delay_alu instid0(VALU_DEP_4) | instskip(NEXT) | instid1(VALU_DEP_3)
	v_cndmask_b32_e32 v181, v40, v181, vcc_lo
	v_cndmask_b32_e64 v180, v180, 0xffffff8a, vcc_lo
	s_delay_alu instid0(VALU_DEP_3) | instskip(NEXT) | instid1(VALU_DEP_3)
	v_lshl_add_u32 v40, 0x100000, v182, -1
	v_lshrrev_b32_e32 v41, v182, v181
	v_lshlrev_b32_e64 v43, v182, 0x80000
	s_delay_alu instid0(VALU_DEP_4) | instskip(NEXT) | instid1(VALU_DEP_4)
	v_add_nc_u32_e32 v182, v182, v180
	v_and_b32_e32 v181, v40, v181
	s_delay_alu instid0(VALU_DEP_4) | instskip(NEXT) | instid1(VALU_DEP_2)
	v_bfe_u32 v42, v41, 20, 1
	v_cmp_eq_u32_e64 s13, v181, v43
	s_delay_alu instid0(VALU_DEP_2) | instskip(NEXT) | instid1(VALU_DEP_1)
	v_add_nc_u32_e32 v40, -1, v42
	v_cndmask_b32_e64 v181, 0, v40, s13
	v_lshrrev_b32_e32 v40, 23, v41
	s_mov_b32 s13, exec_lo
	s_delay_alu instid0(VALU_DEP_2) | instskip(NEXT) | instid1(VALU_DEP_2)
	v_add_nc_u32_e32 v181, v181, v41
	v_xor_b32_e32 v40, 1, v40
	s_delay_alu instid0(VALU_DEP_2) | instskip(NEXT) | instid1(VALU_DEP_1)
	v_and_b32_e32 v180, 0xfffff, v181
	v_add_nc_u32_e32 v181, v180, v41
                                        ; implicit-def: $vgpr180
	s_delay_alu instid0(VALU_DEP_3)
	v_cmpx_ne_u32_e64 v182, v40
	s_xor_b32 s13, exec_lo, s13
; %bb.1288:                             ;   in Loop: Header=BB4_394 Depth=4
	s_delay_alu instid0(VALU_DEP_2) | instskip(SKIP_2) | instid1(VALU_DEP_2)
	v_cmp_lt_u32_e32 vcc_lo, 0xffffff, v181
	v_sub_nc_u32_e32 v180, v182, v40
	v_cndmask_b32_e64 v182, 0, 1, vcc_lo
	v_add_co_ci_u32_e32 v180, vcc_lo, 0, v180, vcc_lo
	s_delay_alu instid0(VALU_DEP_2)
	v_lshrrev_b32_e32 v181, v182, v181
; %bb.1289:                             ;   in Loop: Header=BB4_394 Depth=4
	s_and_not1_saveexec_b32 s13, s13
; %bb.1290:                             ;   in Loop: Header=BB4_394 Depth=4
	s_delay_alu instid0(VALU_DEP_1)
	v_bfe_u32 v180, v181, 23, 1
; %bb.1291:                             ;   in Loop: Header=BB4_394 Depth=4
	s_or_b32 exec_lo, exec_lo, s13
	v_lshrrev_b32_e32 v181, 20, v181
	s_delay_alu instid0(VALU_DEP_2) | instskip(SKIP_2) | instid1(VALU_DEP_2)
	v_cmp_gt_i32_e32 vcc_lo, 16, v180
	v_min_i32_e32 v182, 15, v180
	v_lshrrev_b32_e32 v183, 24, v183
	v_dual_cndmask_b32 v181, 7, v181 :: v_dual_lshlrev_b32 v182, 3, v182
	s_delay_alu instid0(VALU_DEP_1) | instskip(SKIP_1) | instid1(VALU_DEP_3)
	v_or_b32_e32 v180, v180, v181
	v_and_b32_e32 v40, 7, v181
	v_and_b32_e32 v182, 0xf8, v182
	s_delay_alu instid0(VALU_DEP_3) | instskip(SKIP_1) | instid1(VALU_DEP_1)
	v_cmp_ne_u32_e32 vcc_lo, 0, v180
	v_and_b32_e32 v183, 0x80, v183
	v_or3_b32 v181, v182, v183, v40
	s_delay_alu instid0(VALU_DEP_1)
	v_cndmask_b32_e32 v180, 0, v181, vcc_lo
.LBB4_1292:                             ;   in Loop: Header=BB4_394 Depth=4
	s_or_b32 exec_lo, exec_lo, s37
.LBB4_1293:                             ;   in Loop: Header=BB4_394 Depth=4
	s_delay_alu instid0(SALU_CYCLE_1) | instskip(SKIP_3) | instid1(VALU_DEP_2)
	s_or_b32 exec_lo, exec_lo, s36
	v_lshrrev_b32_e32 v182, 24, v15
	v_lshrrev_b32_e32 v181, 24, v11
	s_and_not1_b32 vcc_lo, exec_lo, s35
	v_cmp_lt_i16_e64 s13, 0x7f, v182
	s_cbranch_vccnz .LBB4_1303
; %bb.1294:                             ;   in Loop: Header=BB4_394 Depth=4
	s_mov_b32 s36, 0
                                        ; implicit-def: $sgpr37
	s_delay_alu instid0(VALU_DEP_1) | instskip(NEXT) | instid1(SALU_CYCLE_1)
	s_and_saveexec_b32 vcc_lo, s13
	s_xor_b32 s13, exec_lo, vcc_lo
	s_cbranch_execnz .LBB4_1816
; %bb.1295:                             ;   in Loop: Header=BB4_394 Depth=4
	s_or_saveexec_b32 s13, s13
	v_mov_b32_e32 v183, s37
	s_xor_b32 exec_lo, exec_lo, s13
	s_cbranch_execnz .LBB4_1819
.LBB4_1296:                             ;   in Loop: Header=BB4_394 Depth=4
	s_or_b32 exec_lo, exec_lo, s13
	s_and_saveexec_b32 s13, s36
	s_cbranch_execz .LBB4_1298
.LBB4_1297:                             ;   in Loop: Header=BB4_394 Depth=4
	v_bfe_u32 v183, v15, 24, 3
	v_bfe_u32 v42, v15, 27, 4
	s_delay_alu instid0(VALU_DEP_2) | instskip(NEXT) | instid1(VALU_DEP_2)
	v_clz_i32_u32_e32 v40, v183
	v_cmp_eq_u32_e32 vcc_lo, 0, v42
	s_delay_alu instid0(VALU_DEP_2) | instskip(NEXT) | instid1(VALU_DEP_1)
	v_min_u32_e32 v40, 32, v40
	v_subrev_nc_u32_e32 v41, 28, v40
	v_sub_nc_u32_e32 v40, 29, v40
	s_delay_alu instid0(VALU_DEP_1) | instskip(NEXT) | instid1(VALU_DEP_1)
	v_dual_cndmask_b32 v40, v42, v40 :: v_dual_lshlrev_b32 v41, v41, v182
	v_and_b32_e32 v41, 7, v41
	s_delay_alu instid0(VALU_DEP_2) | instskip(NEXT) | instid1(VALU_DEP_2)
	v_lshl_add_u32 v40, v40, 23, 0x3b800000
	v_cndmask_b32_e32 v183, v183, v41, vcc_lo
	v_and_b32_e32 v41, 0x80000000, v15
	s_delay_alu instid0(VALU_DEP_2) | instskip(NEXT) | instid1(VALU_DEP_1)
	v_lshlrev_b32_e32 v183, 20, v183
	v_or3_b32 v183, v41, v40, v183
.LBB4_1298:                             ;   in Loop: Header=BB4_394 Depth=4
	s_or_b32 exec_lo, exec_lo, s13
	s_mov_b32 s13, 0
	s_mov_b32 s37, exec_lo
                                        ; implicit-def: $sgpr36
	v_cmpx_lt_i16_e64 0x7f, v181
	s_xor_b32 s37, exec_lo, s37
	s_cbranch_execnz .LBB4_1820
; %bb.1299:                             ;   in Loop: Header=BB4_394 Depth=4
	s_or_saveexec_b32 s37, s37
	v_mov_b32_e32 v40, s36
	s_xor_b32 exec_lo, exec_lo, s37
	s_cbranch_execnz .LBB4_1823
.LBB4_1300:                             ;   in Loop: Header=BB4_394 Depth=4
	s_or_b32 exec_lo, exec_lo, s37
	s_and_saveexec_b32 s36, s13
	s_cbranch_execz .LBB4_1302
.LBB4_1301:                             ;   in Loop: Header=BB4_394 Depth=4
	v_bfe_u32 v40, v11, 24, 3
	v_bfe_u32 v43, v11, 27, 4
	s_delay_alu instid0(VALU_DEP_2) | instskip(NEXT) | instid1(VALU_DEP_2)
	v_clz_i32_u32_e32 v41, v40
	v_cmp_eq_u32_e32 vcc_lo, 0, v43
	s_delay_alu instid0(VALU_DEP_2) | instskip(NEXT) | instid1(VALU_DEP_1)
	v_min_u32_e32 v41, 32, v41
	v_subrev_nc_u32_e32 v42, 28, v41
	v_sub_nc_u32_e32 v41, 29, v41
	s_delay_alu instid0(VALU_DEP_2) | instskip(NEXT) | instid1(VALU_DEP_1)
	v_lshlrev_b32_e32 v42, v42, v181
	v_dual_cndmask_b32 v41, v43, v41 :: v_dual_and_b32 v42, 7, v42
	s_delay_alu instid0(VALU_DEP_1) | instskip(NEXT) | instid1(VALU_DEP_2)
	v_lshl_add_u32 v41, v41, 23, 0x3b800000
	v_cndmask_b32_e32 v40, v40, v42, vcc_lo
	v_and_b32_e32 v42, 0x80000000, v11
	s_delay_alu instid0(VALU_DEP_2) | instskip(NEXT) | instid1(VALU_DEP_1)
	v_lshlrev_b32_e32 v40, 20, v40
	v_or3_b32 v40, v42, v41, v40
.LBB4_1302:                             ;   in Loop: Header=BB4_394 Depth=4
	s_or_b32 exec_lo, exec_lo, s36
	s_delay_alu instid0(VALU_DEP_1) | instskip(SKIP_1) | instid1(VALU_DEP_1)
	v_dual_max_f32 v40, v40, v40 :: v_dual_max_f32 v183, v183, v183
	s_mov_b32 s13, 0
	v_max_f32_e32 v183, v183, v40
	s_branch .LBB4_1304
.LBB4_1303:                             ;   in Loop: Header=BB4_394 Depth=4
	s_mov_b32 s13, -1
                                        ; implicit-def: $vgpr183
.LBB4_1304:                             ;   in Loop: Header=BB4_394 Depth=4
	s_delay_alu instid0(SALU_CYCLE_1)
	s_and_b32 vcc_lo, exec_lo, s13
	s_cbranch_vccz .LBB4_1314
; %bb.1305:                             ;   in Loop: Header=BB4_394 Depth=4
	s_mov_b32 s13, 0
	s_mov_b32 s37, exec_lo
                                        ; implicit-def: $sgpr36
	v_cmpx_lt_i16_e64 0x7f, v182
	s_xor_b32 s37, exec_lo, s37
	s_cbranch_execnz .LBB4_1824
; %bb.1306:                             ;   in Loop: Header=BB4_394 Depth=4
	s_or_saveexec_b32 s37, s37
	v_mov_b32_e32 v183, s36
	s_xor_b32 exec_lo, exec_lo, s37
	s_cbranch_execnz .LBB4_1827
.LBB4_1307:                             ;   in Loop: Header=BB4_394 Depth=4
	s_or_b32 exec_lo, exec_lo, s37
	s_and_saveexec_b32 s36, s13
	s_cbranch_execz .LBB4_1309
.LBB4_1308:                             ;   in Loop: Header=BB4_394 Depth=4
	v_bfe_u32 v183, v15, 24, 3
	s_delay_alu instid0(VALU_DEP_1) | instskip(NEXT) | instid1(VALU_DEP_1)
	v_clz_i32_u32_e32 v40, v183
	v_min_u32_e32 v40, 32, v40
	s_delay_alu instid0(VALU_DEP_1) | instskip(SKIP_1) | instid1(VALU_DEP_2)
	v_subrev_nc_u32_e32 v41, 28, v40
	v_sub_nc_u32_e32 v40, 29, v40
	v_lshlrev_b32_e32 v182, v41, v182
	v_bfe_u32 v41, v15, 27, 4
	v_and_b32_e32 v15, 0x80000000, v15
	s_delay_alu instid0(VALU_DEP_3) | instskip(NEXT) | instid1(VALU_DEP_3)
	v_and_b32_e32 v182, 7, v182
	v_cmp_eq_u32_e32 vcc_lo, 0, v41
	v_cndmask_b32_e32 v40, v41, v40, vcc_lo
	s_delay_alu instid0(VALU_DEP_3) | instskip(NEXT) | instid1(VALU_DEP_2)
	v_cndmask_b32_e32 v182, v183, v182, vcc_lo
	v_lshl_add_u32 v183, v40, 23, 0x3b800000
	s_delay_alu instid0(VALU_DEP_2) | instskip(NEXT) | instid1(VALU_DEP_1)
	v_lshlrev_b32_e32 v182, 20, v182
	v_or3_b32 v183, v15, v183, v182
.LBB4_1309:                             ;   in Loop: Header=BB4_394 Depth=4
	s_or_b32 exec_lo, exec_lo, s36
	s_mov_b32 s13, 0
	s_mov_b32 s37, exec_lo
                                        ; implicit-def: $sgpr36
	v_cmpx_lt_i16_e64 0x7f, v181
	s_xor_b32 s37, exec_lo, s37
	s_cbranch_execnz .LBB4_1828
; %bb.1310:                             ;   in Loop: Header=BB4_394 Depth=4
	s_or_saveexec_b32 s37, s37
	v_mov_b32_e32 v15, s36
	s_xor_b32 exec_lo, exec_lo, s37
	s_cbranch_execnz .LBB4_1831
.LBB4_1311:                             ;   in Loop: Header=BB4_394 Depth=4
	s_or_b32 exec_lo, exec_lo, s37
	s_and_saveexec_b32 s36, s13
	s_cbranch_execz .LBB4_1313
.LBB4_1312:                             ;   in Loop: Header=BB4_394 Depth=4
	v_bfe_u32 v15, v11, 24, 3
	s_delay_alu instid0(VALU_DEP_1) | instskip(NEXT) | instid1(VALU_DEP_1)
	v_clz_i32_u32_e32 v182, v15
	v_min_u32_e32 v182, 32, v182
	s_delay_alu instid0(VALU_DEP_1) | instskip(SKIP_1) | instid1(VALU_DEP_2)
	v_subrev_nc_u32_e32 v40, 28, v182
	v_sub_nc_u32_e32 v182, 29, v182
	v_lshlrev_b32_e32 v181, v40, v181
	v_bfe_u32 v40, v11, 27, 4
	v_and_b32_e32 v11, 0x80000000, v11
	s_delay_alu instid0(VALU_DEP_2) | instskip(NEXT) | instid1(VALU_DEP_4)
	v_cmp_eq_u32_e32 vcc_lo, 0, v40
	v_dual_cndmask_b32 v182, v40, v182 :: v_dual_and_b32 v181, 7, v181
	s_delay_alu instid0(VALU_DEP_1) | instskip(NEXT) | instid1(VALU_DEP_2)
	v_cndmask_b32_e32 v15, v15, v181, vcc_lo
	v_lshl_add_u32 v181, v182, 23, 0x3b800000
	s_delay_alu instid0(VALU_DEP_2) | instskip(NEXT) | instid1(VALU_DEP_1)
	v_lshlrev_b32_e32 v15, 20, v15
	v_or3_b32 v15, v11, v181, v15
.LBB4_1313:                             ;   in Loop: Header=BB4_394 Depth=4
	s_or_b32 exec_lo, exec_lo, s36
	s_delay_alu instid0(VALU_DEP_1) | instskip(SKIP_1) | instid1(VALU_DEP_1)
	v_max_f32_e32 v11, v15, v15
	v_max_f32_e32 v15, v183, v183
	v_min_f32_e32 v183, v15, v11
.LBB4_1314:                             ;   in Loop: Header=BB4_394 Depth=4
	s_delay_alu instid0(VALU_DEP_1) | instskip(NEXT) | instid1(VALU_DEP_1)
	v_and_b32_e32 v11, 0x7f800000, v183
	v_cmp_ne_u32_e32 vcc_lo, 0x7f800000, v11
	v_mov_b32_e32 v11, 0x8000
	s_and_saveexec_b32 s36, vcc_lo
	s_cbranch_execz .LBB4_393
; %bb.1315:                             ;   in Loop: Header=BB4_394 Depth=4
	v_mov_b32_e32 v11, 0
	s_mov_b32 s37, exec_lo
	v_cmpx_ne_u32_e32 0, v183
	s_cbranch_execz .LBB4_392
; %bb.1316:                             ;   in Loop: Header=BB4_394 Depth=4
	v_bfe_u32 v11, v183, 23, 8
	v_and_b32_e32 v15, 0x7fffff, v183
	s_delay_alu instid0(VALU_DEP_2) | instskip(SKIP_1) | instid1(VALU_DEP_3)
	v_sub_nc_u32_e32 v181, 0x78, v11
	v_cmp_gt_u32_e32 vcc_lo, 0x79, v11
	v_or_b32_e32 v182, 0x800000, v15
	s_delay_alu instid0(VALU_DEP_3) | instskip(SKIP_2) | instid1(VALU_DEP_3)
	v_cndmask_b32_e32 v181, 0, v181, vcc_lo
	v_cmp_eq_u32_e32 vcc_lo, 0, v11
	v_add_nc_u32_e32 v11, 0xffffff89, v11
	v_cndmask_b32_e64 v181, v181, 0x77, vcc_lo
	v_cndmask_b32_e32 v15, v182, v15, vcc_lo
	s_delay_alu instid0(VALU_DEP_3) | instskip(NEXT) | instid1(VALU_DEP_3)
	v_cndmask_b32_e64 v11, v11, 0xffffff8a, vcc_lo
	v_lshl_add_u32 v182, 0x100000, v181, -1
	s_delay_alu instid0(VALU_DEP_3) | instskip(SKIP_1) | instid1(VALU_DEP_4)
	v_lshrrev_b32_e32 v40, v181, v15
	v_lshlrev_b32_e64 v42, v181, 0x80000
	v_add_nc_u32_e32 v181, v181, v11
	s_delay_alu instid0(VALU_DEP_4) | instskip(NEXT) | instid1(VALU_DEP_4)
	v_and_b32_e32 v15, v182, v15
	v_bfe_u32 v41, v40, 20, 1
	s_delay_alu instid0(VALU_DEP_2) | instskip(NEXT) | instid1(VALU_DEP_2)
	v_cmp_eq_u32_e64 s13, v15, v42
	v_add_nc_u32_e32 v182, -1, v41
	s_delay_alu instid0(VALU_DEP_1) | instskip(SKIP_2) | instid1(VALU_DEP_2)
	v_cndmask_b32_e64 v15, 0, v182, s13
	v_lshrrev_b32_e32 v182, 23, v40
	s_mov_b32 s13, exec_lo
	v_add_nc_u32_e32 v15, v15, v40
	s_delay_alu instid0(VALU_DEP_2) | instskip(NEXT) | instid1(VALU_DEP_2)
	v_xor_b32_e32 v182, 1, v182
	v_and_b32_e32 v11, 0xfffff, v15
	s_delay_alu instid0(VALU_DEP_1) | instskip(NEXT) | instid1(VALU_DEP_3)
	v_add_nc_u32_e32 v15, v11, v40
                                        ; implicit-def: $vgpr11
	v_cmpx_ne_u32_e64 v181, v182
	s_xor_b32 s13, exec_lo, s13
; %bb.1317:                             ;   in Loop: Header=BB4_394 Depth=4
	s_delay_alu instid0(VALU_DEP_2) | instskip(SKIP_2) | instid1(VALU_DEP_2)
	v_cmp_lt_u32_e32 vcc_lo, 0xffffff, v15
	v_sub_nc_u32_e32 v11, v181, v182
	v_cndmask_b32_e64 v181, 0, 1, vcc_lo
	v_add_co_ci_u32_e32 v11, vcc_lo, 0, v11, vcc_lo
	s_delay_alu instid0(VALU_DEP_2)
	v_lshrrev_b32_e32 v15, v181, v15
; %bb.1318:                             ;   in Loop: Header=BB4_394 Depth=4
	s_and_not1_saveexec_b32 s13, s13
	s_cbranch_execz .LBB4_391
; %bb.1319:                             ;   in Loop: Header=BB4_394 Depth=4
	s_delay_alu instid0(VALU_DEP_1)
	v_bfe_u32 v11, v15, 23, 1
	s_branch .LBB4_391
.LBB4_1320:                             ;   in Loop: Header=BB4_394 Depth=4
	s_mov_b32 s36, -1
	s_mov_b32 s38, exec_lo
                                        ; implicit-def: $sgpr37
	v_cmpx_eq_u16_e64 0x80, v148
; %bb.1321:                             ;   in Loop: Header=BB4_394 Depth=4
	s_mov_b32 s37, 0x7f800001
	s_xor_b32 s36, exec_lo, -1
; %bb.1322:                             ;   in Loop: Header=BB4_394 Depth=4
	s_or_b32 exec_lo, exec_lo, s38
	s_delay_alu instid0(SALU_CYCLE_1)
	s_and_b32 s36, s36, exec_lo
	s_or_saveexec_b32 s13, s13
	v_mov_b32_e32 v149, s37
	s_xor_b32 exec_lo, exec_lo, s13
	s_cbranch_execz .LBB4_397
.LBB4_1323:                             ;   in Loop: Header=BB4_394 Depth=4
	v_cmp_ne_u16_e64 vcc_lo, 0, v148
	v_mov_b32_e32 v149, 0
	s_and_not1_b32 s36, s36, exec_lo
	s_delay_alu instid0(VALU_DEP_2) | instskip(NEXT) | instid1(SALU_CYCLE_1)
	s_and_b32 vcc_lo, vcc_lo, exec_lo
	s_or_b32 s36, s36, vcc_lo
	s_or_b32 exec_lo, exec_lo, s13
	s_and_saveexec_b32 s13, s36
	s_cbranch_execnz .LBB4_398
	s_branch .LBB4_399
.LBB4_1324:                             ;   in Loop: Header=BB4_394 Depth=4
	s_mov_b32 s13, -1
	s_mov_b32 s38, exec_lo
                                        ; implicit-def: $sgpr36
	v_cmpx_eq_u16_e64 0x80, v151
; %bb.1325:                             ;   in Loop: Header=BB4_394 Depth=4
	s_mov_b32 s36, 0x7f800001
	s_xor_b32 s13, exec_lo, -1
; %bb.1326:                             ;   in Loop: Header=BB4_394 Depth=4
	s_or_b32 exec_lo, exec_lo, s38
	s_delay_alu instid0(SALU_CYCLE_1)
	s_and_b32 s13, s13, exec_lo
                                        ; implicit-def: $vgpr151
	s_or_saveexec_b32 s37, s37
	v_mov_b32_e32 v150, s36
	s_xor_b32 exec_lo, exec_lo, s37
	s_cbranch_execz .LBB4_401
.LBB4_1327:                             ;   in Loop: Header=BB4_394 Depth=4
	v_cmp_ne_u16_e64 vcc_lo, 0, v151
	v_mov_b32_e32 v150, 0
	s_and_not1_b32 s13, s13, exec_lo
	s_delay_alu instid0(VALU_DEP_2) | instskip(NEXT) | instid1(SALU_CYCLE_1)
	s_and_b32 vcc_lo, vcc_lo, exec_lo
	s_or_b32 s13, s13, vcc_lo
	s_or_b32 exec_lo, exec_lo, s37
	s_and_saveexec_b32 s36, s13
	s_cbranch_execnz .LBB4_402
	s_branch .LBB4_403
.LBB4_1328:                             ;   in Loop: Header=BB4_394 Depth=4
	s_mov_b32 s13, -1
	s_mov_b32 s38, exec_lo
                                        ; implicit-def: $sgpr36
	v_cmpx_eq_u16_e64 0x80, v148
; %bb.1329:                             ;   in Loop: Header=BB4_394 Depth=4
	s_mov_b32 s36, 0x7f800001
	s_xor_b32 s13, exec_lo, -1
; %bb.1330:                             ;   in Loop: Header=BB4_394 Depth=4
	s_or_b32 exec_lo, exec_lo, s38
	s_delay_alu instid0(SALU_CYCLE_1)
	s_and_b32 s13, s13, exec_lo
                                        ; implicit-def: $vgpr148
	s_or_saveexec_b32 s37, s37
	v_mov_b32_e32 v149, s36
	s_xor_b32 exec_lo, exec_lo, s37
	s_cbranch_execz .LBB4_408
.LBB4_1331:                             ;   in Loop: Header=BB4_394 Depth=4
	v_cmp_ne_u16_e64 vcc_lo, 0, v148
	v_mov_b32_e32 v149, 0
	s_and_not1_b32 s13, s13, exec_lo
	s_delay_alu instid0(VALU_DEP_2) | instskip(NEXT) | instid1(SALU_CYCLE_1)
	s_and_b32 vcc_lo, vcc_lo, exec_lo
	s_or_b32 s13, s13, vcc_lo
	s_or_b32 exec_lo, exec_lo, s37
	s_and_saveexec_b32 s36, s13
	s_cbranch_execnz .LBB4_409
	s_branch .LBB4_410
.LBB4_1332:                             ;   in Loop: Header=BB4_394 Depth=4
	s_mov_b32 s13, -1
	s_mov_b32 s38, exec_lo
                                        ; implicit-def: $sgpr36
	v_cmpx_eq_u16_e64 0x80, v150
; %bb.1333:                             ;   in Loop: Header=BB4_394 Depth=4
	s_mov_b32 s36, 0x7f800001
	s_xor_b32 s13, exec_lo, -1
; %bb.1334:                             ;   in Loop: Header=BB4_394 Depth=4
	s_or_b32 exec_lo, exec_lo, s38
	s_delay_alu instid0(SALU_CYCLE_1)
	s_and_b32 s13, s13, exec_lo
                                        ; implicit-def: $vgpr150
	s_or_saveexec_b32 s37, s37
	v_mov_b32_e32 v148, s36
	s_xor_b32 exec_lo, exec_lo, s37
	s_cbranch_execz .LBB4_412
.LBB4_1335:                             ;   in Loop: Header=BB4_394 Depth=4
	v_cmp_ne_u16_e64 vcc_lo, 0, v150
	v_mov_b32_e32 v148, 0
	s_and_not1_b32 s13, s13, exec_lo
	s_delay_alu instid0(VALU_DEP_2) | instskip(NEXT) | instid1(SALU_CYCLE_1)
	s_and_b32 vcc_lo, vcc_lo, exec_lo
	s_or_b32 s13, s13, vcc_lo
	s_or_b32 exec_lo, exec_lo, s37
	s_and_saveexec_b32 s36, s13
	s_cbranch_execnz .LBB4_413
	s_branch .LBB4_414
.LBB4_1336:                             ;   in Loop: Header=BB4_394 Depth=4
	s_mov_b32 s36, -1
	s_mov_b32 s38, exec_lo
                                        ; implicit-def: $sgpr37
	v_cmpx_eq_u16_e64 0x80, v150
; %bb.1337:                             ;   in Loop: Header=BB4_394 Depth=4
	s_mov_b32 s37, 0x7f800001
	s_xor_b32 s36, exec_lo, -1
; %bb.1338:                             ;   in Loop: Header=BB4_394 Depth=4
	s_or_b32 exec_lo, exec_lo, s38
	s_delay_alu instid0(SALU_CYCLE_1)
	s_and_b32 s36, s36, exec_lo
	s_or_saveexec_b32 s13, s13
	v_mov_b32_e32 v151, s37
	s_xor_b32 exec_lo, exec_lo, s13
	s_cbranch_execz .LBB4_426
.LBB4_1339:                             ;   in Loop: Header=BB4_394 Depth=4
	v_cmp_ne_u16_e64 vcc_lo, 0, v150
	v_mov_b32_e32 v151, 0
	s_and_not1_b32 s36, s36, exec_lo
	s_delay_alu instid0(VALU_DEP_2) | instskip(NEXT) | instid1(SALU_CYCLE_1)
	s_and_b32 vcc_lo, vcc_lo, exec_lo
	s_or_b32 s36, s36, vcc_lo
	s_or_b32 exec_lo, exec_lo, s13
	s_and_saveexec_b32 s13, s36
	s_cbranch_execnz .LBB4_427
	s_branch .LBB4_428
.LBB4_1340:                             ;   in Loop: Header=BB4_394 Depth=4
	s_mov_b32 s13, -1
	s_mov_b32 s38, exec_lo
                                        ; implicit-def: $sgpr36
	v_cmpx_eq_u16_e64 0x80, v149
; %bb.1341:                             ;   in Loop: Header=BB4_394 Depth=4
	s_mov_b32 s36, 0x7f800001
	s_xor_b32 s13, exec_lo, -1
; %bb.1342:                             ;   in Loop: Header=BB4_394 Depth=4
	s_or_b32 exec_lo, exec_lo, s38
	s_delay_alu instid0(SALU_CYCLE_1)
	s_and_b32 s13, s13, exec_lo
	s_or_saveexec_b32 s37, s37
	v_mov_b32_e32 v160, s36
	s_xor_b32 exec_lo, exec_lo, s37
	s_cbranch_execz .LBB4_430
.LBB4_1343:                             ;   in Loop: Header=BB4_394 Depth=4
	v_cmp_ne_u16_e64 vcc_lo, 0, v149
	v_mov_b32_e32 v160, 0
	s_and_not1_b32 s13, s13, exec_lo
	s_delay_alu instid0(VALU_DEP_2) | instskip(NEXT) | instid1(SALU_CYCLE_1)
	s_and_b32 vcc_lo, vcc_lo, exec_lo
	s_or_b32 s13, s13, vcc_lo
	s_or_b32 exec_lo, exec_lo, s37
	s_and_saveexec_b32 s36, s13
	s_cbranch_execnz .LBB4_431
	s_branch .LBB4_432
.LBB4_1344:                             ;   in Loop: Header=BB4_394 Depth=4
	s_mov_b32 s13, -1
	s_mov_b32 s38, exec_lo
                                        ; implicit-def: $sgpr36
	v_cmpx_eq_u16_e64 0x80, v150
; %bb.1345:                             ;   in Loop: Header=BB4_394 Depth=4
	s_mov_b32 s36, 0x7f800001
	s_xor_b32 s13, exec_lo, -1
; %bb.1346:                             ;   in Loop: Header=BB4_394 Depth=4
	s_or_b32 exec_lo, exec_lo, s38
	s_delay_alu instid0(SALU_CYCLE_1)
	s_and_b32 s13, s13, exec_lo
	s_or_saveexec_b32 s37, s37
	v_mov_b32_e32 v151, s36
	s_xor_b32 exec_lo, exec_lo, s37
	s_cbranch_execz .LBB4_437
.LBB4_1347:                             ;   in Loop: Header=BB4_394 Depth=4
	v_cmp_ne_u16_e64 vcc_lo, 0, v150
	v_mov_b32_e32 v151, 0
	s_and_not1_b32 s13, s13, exec_lo
	s_delay_alu instid0(VALU_DEP_2) | instskip(NEXT) | instid1(SALU_CYCLE_1)
	s_and_b32 vcc_lo, vcc_lo, exec_lo
	s_or_b32 s13, s13, vcc_lo
	s_or_b32 exec_lo, exec_lo, s37
	s_and_saveexec_b32 s36, s13
	s_cbranch_execnz .LBB4_438
	s_branch .LBB4_439
.LBB4_1348:                             ;   in Loop: Header=BB4_394 Depth=4
	s_mov_b32 s13, -1
	s_mov_b32 s38, exec_lo
                                        ; implicit-def: $sgpr36
	v_cmpx_eq_u16_e64 0x80, v149
; %bb.1349:                             ;   in Loop: Header=BB4_394 Depth=4
	s_mov_b32 s36, 0x7f800001
	s_xor_b32 s13, exec_lo, -1
; %bb.1350:                             ;   in Loop: Header=BB4_394 Depth=4
	s_or_b32 exec_lo, exec_lo, s38
	s_delay_alu instid0(SALU_CYCLE_1)
	s_and_b32 s13, s13, exec_lo
	s_or_saveexec_b32 s37, s37
	v_mov_b32_e32 v150, s36
	s_xor_b32 exec_lo, exec_lo, s37
	s_cbranch_execz .LBB4_441
.LBB4_1351:                             ;   in Loop: Header=BB4_394 Depth=4
	v_cmp_ne_u16_e64 vcc_lo, 0, v149
	v_mov_b32_e32 v150, 0
	s_and_not1_b32 s13, s13, exec_lo
	s_delay_alu instid0(VALU_DEP_2) | instskip(NEXT) | instid1(SALU_CYCLE_1)
	s_and_b32 vcc_lo, vcc_lo, exec_lo
	s_or_b32 s13, s13, vcc_lo
	s_or_b32 exec_lo, exec_lo, s37
	s_and_saveexec_b32 s36, s13
	s_cbranch_execnz .LBB4_442
	s_branch .LBB4_443
.LBB4_1352:                             ;   in Loop: Header=BB4_394 Depth=4
	s_mov_b32 s36, -1
	s_mov_b32 s38, exec_lo
                                        ; implicit-def: $sgpr37
	v_cmpx_eq_u16_e64 0x80, v160
; %bb.1353:                             ;   in Loop: Header=BB4_394 Depth=4
	s_mov_b32 s37, 0x7f800001
	s_xor_b32 s36, exec_lo, -1
; %bb.1354:                             ;   in Loop: Header=BB4_394 Depth=4
	s_or_b32 exec_lo, exec_lo, s38
	s_delay_alu instid0(SALU_CYCLE_1)
	s_and_b32 s36, s36, exec_lo
	s_or_saveexec_b32 s13, s13
	v_mov_b32_e32 v161, s37
	s_xor_b32 exec_lo, exec_lo, s13
	s_cbranch_execz .LBB4_455
.LBB4_1355:                             ;   in Loop: Header=BB4_394 Depth=4
	v_cmp_ne_u16_e64 vcc_lo, 0, v160
	v_mov_b32_e32 v161, 0
	s_and_not1_b32 s36, s36, exec_lo
	s_delay_alu instid0(VALU_DEP_2) | instskip(NEXT) | instid1(SALU_CYCLE_1)
	s_and_b32 vcc_lo, vcc_lo, exec_lo
	s_or_b32 s36, s36, vcc_lo
	s_or_b32 exec_lo, exec_lo, s13
	s_and_saveexec_b32 s13, s36
	s_cbranch_execnz .LBB4_456
	s_branch .LBB4_457
.LBB4_1356:                             ;   in Loop: Header=BB4_394 Depth=4
	s_mov_b32 s13, -1
	s_mov_b32 s38, exec_lo
                                        ; implicit-def: $sgpr36
	v_cmpx_eq_u16_e64 0x80, v163
; %bb.1357:                             ;   in Loop: Header=BB4_394 Depth=4
	s_mov_b32 s36, 0x7f800001
	s_xor_b32 s13, exec_lo, -1
; %bb.1358:                             ;   in Loop: Header=BB4_394 Depth=4
	s_or_b32 exec_lo, exec_lo, s38
	s_delay_alu instid0(SALU_CYCLE_1)
	s_and_b32 s13, s13, exec_lo
                                        ; implicit-def: $vgpr163
	s_or_saveexec_b32 s37, s37
	v_mov_b32_e32 v162, s36
	s_xor_b32 exec_lo, exec_lo, s37
	s_cbranch_execz .LBB4_459
.LBB4_1359:                             ;   in Loop: Header=BB4_394 Depth=4
	v_cmp_ne_u16_e64 vcc_lo, 0, v163
	v_mov_b32_e32 v162, 0
	s_and_not1_b32 s13, s13, exec_lo
	s_delay_alu instid0(VALU_DEP_2) | instskip(NEXT) | instid1(SALU_CYCLE_1)
	s_and_b32 vcc_lo, vcc_lo, exec_lo
	s_or_b32 s13, s13, vcc_lo
	s_or_b32 exec_lo, exec_lo, s37
	s_and_saveexec_b32 s36, s13
	s_cbranch_execnz .LBB4_460
	s_branch .LBB4_461
.LBB4_1360:                             ;   in Loop: Header=BB4_394 Depth=4
	s_mov_b32 s13, -1
	s_mov_b32 s38, exec_lo
                                        ; implicit-def: $sgpr36
	v_cmpx_eq_u16_e64 0x80, v160
; %bb.1361:                             ;   in Loop: Header=BB4_394 Depth=4
	s_mov_b32 s36, 0x7f800001
	s_xor_b32 s13, exec_lo, -1
; %bb.1362:                             ;   in Loop: Header=BB4_394 Depth=4
	s_or_b32 exec_lo, exec_lo, s38
	s_delay_alu instid0(SALU_CYCLE_1)
	s_and_b32 s13, s13, exec_lo
                                        ; implicit-def: $vgpr160
	s_or_saveexec_b32 s37, s37
	v_mov_b32_e32 v161, s36
	s_xor_b32 exec_lo, exec_lo, s37
	s_cbranch_execz .LBB4_466
.LBB4_1363:                             ;   in Loop: Header=BB4_394 Depth=4
	v_cmp_ne_u16_e64 vcc_lo, 0, v160
	v_mov_b32_e32 v161, 0
	s_and_not1_b32 s13, s13, exec_lo
	s_delay_alu instid0(VALU_DEP_2) | instskip(NEXT) | instid1(SALU_CYCLE_1)
	s_and_b32 vcc_lo, vcc_lo, exec_lo
	s_or_b32 s13, s13, vcc_lo
	s_or_b32 exec_lo, exec_lo, s37
	s_and_saveexec_b32 s36, s13
	s_cbranch_execnz .LBB4_467
	s_branch .LBB4_468
.LBB4_1364:                             ;   in Loop: Header=BB4_394 Depth=4
	s_mov_b32 s13, -1
	s_mov_b32 s38, exec_lo
                                        ; implicit-def: $sgpr36
	v_cmpx_eq_u16_e64 0x80, v160
; %bb.1365:                             ;   in Loop: Header=BB4_394 Depth=4
	s_mov_b32 s36, 0x7f800001
	s_xor_b32 s13, exec_lo, -1
; %bb.1366:                             ;   in Loop: Header=BB4_394 Depth=4
	s_or_b32 exec_lo, exec_lo, s38
	s_delay_alu instid0(SALU_CYCLE_1)
	s_and_b32 s13, s13, exec_lo
                                        ; implicit-def: $vgpr160
	s_or_saveexec_b32 s37, s37
	v_mov_b32_e32 v151, s36
	s_xor_b32 exec_lo, exec_lo, s37
	s_cbranch_execz .LBB4_470
.LBB4_1367:                             ;   in Loop: Header=BB4_394 Depth=4
	v_cmp_ne_u16_e64 vcc_lo, 0, v160
	v_mov_b32_e32 v151, 0
	s_and_not1_b32 s13, s13, exec_lo
	s_delay_alu instid0(VALU_DEP_2) | instskip(NEXT) | instid1(SALU_CYCLE_1)
	s_and_b32 vcc_lo, vcc_lo, exec_lo
	s_or_b32 s13, s13, vcc_lo
	s_or_b32 exec_lo, exec_lo, s37
	s_and_saveexec_b32 s36, s13
	s_cbranch_execnz .LBB4_471
	s_branch .LBB4_472
.LBB4_1368:                             ;   in Loop: Header=BB4_394 Depth=4
	s_mov_b32 s36, -1
	s_mov_b32 s38, exec_lo
                                        ; implicit-def: $sgpr37
	v_cmpx_eq_u16_e64 0x80, v160
; %bb.1369:                             ;   in Loop: Header=BB4_394 Depth=4
	s_mov_b32 s37, 0x7f800001
	s_xor_b32 s36, exec_lo, -1
; %bb.1370:                             ;   in Loop: Header=BB4_394 Depth=4
	s_or_b32 exec_lo, exec_lo, s38
	s_delay_alu instid0(SALU_CYCLE_1)
	s_and_b32 s36, s36, exec_lo
	s_or_saveexec_b32 s13, s13
	v_mov_b32_e32 v161, s37
	s_xor_b32 exec_lo, exec_lo, s13
	s_cbranch_execz .LBB4_484
.LBB4_1371:                             ;   in Loop: Header=BB4_394 Depth=4
	v_cmp_ne_u16_e64 vcc_lo, 0, v160
	v_mov_b32_e32 v161, 0
	s_and_not1_b32 s36, s36, exec_lo
	s_delay_alu instid0(VALU_DEP_2) | instskip(NEXT) | instid1(SALU_CYCLE_1)
	s_and_b32 vcc_lo, vcc_lo, exec_lo
	s_or_b32 s36, s36, vcc_lo
	s_or_b32 exec_lo, exec_lo, s13
	s_and_saveexec_b32 s13, s36
	s_cbranch_execnz .LBB4_485
	s_branch .LBB4_486
.LBB4_1372:                             ;   in Loop: Header=BB4_394 Depth=4
	s_mov_b32 s13, -1
	s_mov_b32 s38, exec_lo
                                        ; implicit-def: $sgpr36
	v_cmpx_eq_u16_e64 0x80, v151
; %bb.1373:                             ;   in Loop: Header=BB4_394 Depth=4
	s_mov_b32 s36, 0x7f800001
	s_xor_b32 s13, exec_lo, -1
; %bb.1374:                             ;   in Loop: Header=BB4_394 Depth=4
	s_or_b32 exec_lo, exec_lo, s38
	s_delay_alu instid0(SALU_CYCLE_1)
	s_and_b32 s13, s13, exec_lo
	s_or_saveexec_b32 s37, s37
	v_mov_b32_e32 v162, s36
	s_xor_b32 exec_lo, exec_lo, s37
	s_cbranch_execz .LBB4_488
.LBB4_1375:                             ;   in Loop: Header=BB4_394 Depth=4
	v_cmp_ne_u16_e64 vcc_lo, 0, v151
	v_mov_b32_e32 v162, 0
	s_and_not1_b32 s13, s13, exec_lo
	s_delay_alu instid0(VALU_DEP_2) | instskip(NEXT) | instid1(SALU_CYCLE_1)
	s_and_b32 vcc_lo, vcc_lo, exec_lo
	s_or_b32 s13, s13, vcc_lo
	s_or_b32 exec_lo, exec_lo, s37
	s_and_saveexec_b32 s36, s13
	s_cbranch_execnz .LBB4_489
	s_branch .LBB4_490
.LBB4_1376:                             ;   in Loop: Header=BB4_394 Depth=4
	s_mov_b32 s13, -1
	s_mov_b32 s38, exec_lo
                                        ; implicit-def: $sgpr36
	v_cmpx_eq_u16_e64 0x80, v160
; %bb.1377:                             ;   in Loop: Header=BB4_394 Depth=4
	s_mov_b32 s36, 0x7f800001
	s_xor_b32 s13, exec_lo, -1
; %bb.1378:                             ;   in Loop: Header=BB4_394 Depth=4
	s_or_b32 exec_lo, exec_lo, s38
	s_delay_alu instid0(SALU_CYCLE_1)
	s_and_b32 s13, s13, exec_lo
	s_or_saveexec_b32 s37, s37
	v_mov_b32_e32 v161, s36
	s_xor_b32 exec_lo, exec_lo, s37
	s_cbranch_execz .LBB4_495
.LBB4_1379:                             ;   in Loop: Header=BB4_394 Depth=4
	v_cmp_ne_u16_e64 vcc_lo, 0, v160
	v_mov_b32_e32 v161, 0
	s_and_not1_b32 s13, s13, exec_lo
	s_delay_alu instid0(VALU_DEP_2) | instskip(NEXT) | instid1(SALU_CYCLE_1)
	s_and_b32 vcc_lo, vcc_lo, exec_lo
	s_or_b32 s13, s13, vcc_lo
	s_or_b32 exec_lo, exec_lo, s37
	s_and_saveexec_b32 s36, s13
	s_cbranch_execnz .LBB4_496
	s_branch .LBB4_497
.LBB4_1380:                             ;   in Loop: Header=BB4_394 Depth=4
	s_mov_b32 s13, -1
	s_mov_b32 s38, exec_lo
                                        ; implicit-def: $sgpr36
	v_cmpx_eq_u16_e64 0x80, v151
; %bb.1381:                             ;   in Loop: Header=BB4_394 Depth=4
	s_mov_b32 s36, 0x7f800001
	s_xor_b32 s13, exec_lo, -1
; %bb.1382:                             ;   in Loop: Header=BB4_394 Depth=4
	s_or_b32 exec_lo, exec_lo, s38
	s_delay_alu instid0(SALU_CYCLE_1)
	s_and_b32 s13, s13, exec_lo
	s_or_saveexec_b32 s37, s37
	v_mov_b32_e32 v20, s36
	s_xor_b32 exec_lo, exec_lo, s37
	s_cbranch_execz .LBB4_499
.LBB4_1383:                             ;   in Loop: Header=BB4_394 Depth=4
	v_cmp_ne_u16_e64 vcc_lo, 0, v151
	v_mov_b32_e32 v20, 0
	s_and_not1_b32 s13, s13, exec_lo
	s_delay_alu instid0(VALU_DEP_2) | instskip(NEXT) | instid1(SALU_CYCLE_1)
	s_and_b32 vcc_lo, vcc_lo, exec_lo
	s_or_b32 s13, s13, vcc_lo
	s_or_b32 exec_lo, exec_lo, s37
	s_and_saveexec_b32 s36, s13
	s_cbranch_execnz .LBB4_500
	s_branch .LBB4_501
.LBB4_1384:                             ;   in Loop: Header=BB4_394 Depth=4
	s_mov_b32 s36, -1
	s_mov_b32 s38, exec_lo
                                        ; implicit-def: $sgpr37
	v_cmpx_eq_u16_e32 0x80, v20
; %bb.1385:                             ;   in Loop: Header=BB4_394 Depth=4
	s_mov_b32 s37, 0x7f800001
	s_xor_b32 s36, exec_lo, -1
; %bb.1386:                             ;   in Loop: Header=BB4_394 Depth=4
	s_or_b32 exec_lo, exec_lo, s38
	s_delay_alu instid0(SALU_CYCLE_1)
	s_and_b32 s36, s36, exec_lo
	s_or_saveexec_b32 s13, s13
	v_mov_b32_e32 v151, s37
	s_xor_b32 exec_lo, exec_lo, s13
	s_cbranch_execz .LBB4_513
.LBB4_1387:                             ;   in Loop: Header=BB4_394 Depth=4
	v_cmp_ne_u16_e32 vcc_lo, 0, v20
	v_mov_b32_e32 v151, 0
	s_and_not1_b32 s36, s36, exec_lo
	s_and_b32 vcc_lo, vcc_lo, exec_lo
	s_delay_alu instid0(SALU_CYCLE_1)
	s_or_b32 s36, s36, vcc_lo
	s_or_b32 exec_lo, exec_lo, s13
	s_and_saveexec_b32 s13, s36
	s_cbranch_execnz .LBB4_514
	s_branch .LBB4_515
.LBB4_1388:                             ;   in Loop: Header=BB4_394 Depth=4
	s_mov_b32 s13, -1
	s_mov_b32 s38, exec_lo
                                        ; implicit-def: $sgpr36
	v_cmpx_eq_u16_e64 0x80, v161
; %bb.1389:                             ;   in Loop: Header=BB4_394 Depth=4
	s_mov_b32 s36, 0x7f800001
	s_xor_b32 s13, exec_lo, -1
; %bb.1390:                             ;   in Loop: Header=BB4_394 Depth=4
	s_or_b32 exec_lo, exec_lo, s38
	s_delay_alu instid0(SALU_CYCLE_1)
	s_and_b32 s13, s13, exec_lo
                                        ; implicit-def: $vgpr161
	s_or_saveexec_b32 s37, s37
	v_mov_b32_e32 v160, s36
	s_xor_b32 exec_lo, exec_lo, s37
	s_cbranch_execz .LBB4_517
.LBB4_1391:                             ;   in Loop: Header=BB4_394 Depth=4
	v_cmp_ne_u16_e64 vcc_lo, 0, v161
	v_mov_b32_e32 v160, 0
	s_and_not1_b32 s13, s13, exec_lo
	s_delay_alu instid0(VALU_DEP_2) | instskip(NEXT) | instid1(SALU_CYCLE_1)
	s_and_b32 vcc_lo, vcc_lo, exec_lo
	s_or_b32 s13, s13, vcc_lo
	s_or_b32 exec_lo, exec_lo, s37
	s_and_saveexec_b32 s36, s13
	s_cbranch_execnz .LBB4_518
	s_branch .LBB4_519
.LBB4_1392:                             ;   in Loop: Header=BB4_394 Depth=4
	s_mov_b32 s13, -1
	s_mov_b32 s38, exec_lo
                                        ; implicit-def: $sgpr36
	v_cmpx_eq_u16_e32 0x80, v20
; %bb.1393:                             ;   in Loop: Header=BB4_394 Depth=4
	s_mov_b32 s36, 0x7f800001
	s_xor_b32 s13, exec_lo, -1
; %bb.1394:                             ;   in Loop: Header=BB4_394 Depth=4
	s_or_b32 exec_lo, exec_lo, s38
	s_delay_alu instid0(SALU_CYCLE_1)
	s_and_b32 s13, s13, exec_lo
                                        ; implicit-def: $vgpr20
	s_or_saveexec_b32 s37, s37
	v_mov_b32_e32 v151, s36
	s_xor_b32 exec_lo, exec_lo, s37
	s_cbranch_execz .LBB4_524
.LBB4_1395:                             ;   in Loop: Header=BB4_394 Depth=4
	v_cmp_ne_u16_e32 vcc_lo, 0, v20
	v_mov_b32_e32 v151, 0
	s_and_not1_b32 s13, s13, exec_lo
	s_and_b32 vcc_lo, vcc_lo, exec_lo
	s_delay_alu instid0(SALU_CYCLE_1)
	s_or_b32 s13, s13, vcc_lo
	s_or_b32 exec_lo, exec_lo, s37
	s_and_saveexec_b32 s36, s13
	s_cbranch_execnz .LBB4_525
	s_branch .LBB4_526
.LBB4_1396:                             ;   in Loop: Header=BB4_394 Depth=4
	s_mov_b32 s13, -1
	s_mov_b32 s38, exec_lo
                                        ; implicit-def: $sgpr36
	v_cmpx_eq_u16_e64 0x80, v160
; %bb.1397:                             ;   in Loop: Header=BB4_394 Depth=4
	s_mov_b32 s36, 0x7f800001
	s_xor_b32 s13, exec_lo, -1
; %bb.1398:                             ;   in Loop: Header=BB4_394 Depth=4
	s_or_b32 exec_lo, exec_lo, s38
	s_delay_alu instid0(SALU_CYCLE_1)
	s_and_b32 s13, s13, exec_lo
                                        ; implicit-def: $vgpr160
	s_or_saveexec_b32 s37, s37
	v_mov_b32_e32 v20, s36
	s_xor_b32 exec_lo, exec_lo, s37
	s_cbranch_execz .LBB4_528
.LBB4_1399:                             ;   in Loop: Header=BB4_394 Depth=4
	v_cmp_ne_u16_e64 vcc_lo, 0, v160
	v_mov_b32_e32 v20, 0
	s_and_not1_b32 s13, s13, exec_lo
	s_delay_alu instid0(VALU_DEP_2) | instskip(NEXT) | instid1(SALU_CYCLE_1)
	s_and_b32 vcc_lo, vcc_lo, exec_lo
	s_or_b32 s13, s13, vcc_lo
	s_or_b32 exec_lo, exec_lo, s37
	s_and_saveexec_b32 s36, s13
	s_cbranch_execnz .LBB4_529
	s_branch .LBB4_530
.LBB4_1400:                             ;   in Loop: Header=BB4_394 Depth=4
	s_mov_b32 s36, -1
	s_mov_b32 s38, exec_lo
                                        ; implicit-def: $sgpr37
	v_cmpx_eq_u16_e64 0x80, v160
; %bb.1401:                             ;   in Loop: Header=BB4_394 Depth=4
	s_mov_b32 s37, 0x7f800001
	s_xor_b32 s36, exec_lo, -1
; %bb.1402:                             ;   in Loop: Header=BB4_394 Depth=4
	s_or_b32 exec_lo, exec_lo, s38
	s_delay_alu instid0(SALU_CYCLE_1)
	s_and_b32 s36, s36, exec_lo
	s_or_saveexec_b32 s13, s13
	v_mov_b32_e32 v161, s37
	s_xor_b32 exec_lo, exec_lo, s13
	s_cbranch_execz .LBB4_542
.LBB4_1403:                             ;   in Loop: Header=BB4_394 Depth=4
	v_cmp_ne_u16_e64 vcc_lo, 0, v160
	v_mov_b32_e32 v161, 0
	s_and_not1_b32 s36, s36, exec_lo
	s_delay_alu instid0(VALU_DEP_2) | instskip(NEXT) | instid1(SALU_CYCLE_1)
	s_and_b32 vcc_lo, vcc_lo, exec_lo
	s_or_b32 s36, s36, vcc_lo
	s_or_b32 exec_lo, exec_lo, s13
	s_and_saveexec_b32 s13, s36
	s_cbranch_execnz .LBB4_543
	s_branch .LBB4_544
.LBB4_1404:                             ;   in Loop: Header=BB4_394 Depth=4
	s_mov_b32 s13, -1
	s_mov_b32 s38, exec_lo
                                        ; implicit-def: $sgpr36
	v_cmpx_eq_u16_e64 0x80, v151
; %bb.1405:                             ;   in Loop: Header=BB4_394 Depth=4
	s_mov_b32 s36, 0x7f800001
	s_xor_b32 s13, exec_lo, -1
; %bb.1406:                             ;   in Loop: Header=BB4_394 Depth=4
	s_or_b32 exec_lo, exec_lo, s38
	s_delay_alu instid0(SALU_CYCLE_1)
	s_and_b32 s13, s13, exec_lo
	s_or_saveexec_b32 s37, s37
	v_mov_b32_e32 v162, s36
	s_xor_b32 exec_lo, exec_lo, s37
	s_cbranch_execz .LBB4_546
.LBB4_1407:                             ;   in Loop: Header=BB4_394 Depth=4
	v_cmp_ne_u16_e64 vcc_lo, 0, v151
	v_mov_b32_e32 v162, 0
	s_and_not1_b32 s13, s13, exec_lo
	s_delay_alu instid0(VALU_DEP_2) | instskip(NEXT) | instid1(SALU_CYCLE_1)
	s_and_b32 vcc_lo, vcc_lo, exec_lo
	s_or_b32 s13, s13, vcc_lo
	s_or_b32 exec_lo, exec_lo, s37
	s_and_saveexec_b32 s36, s13
	s_cbranch_execnz .LBB4_547
	s_branch .LBB4_548
.LBB4_1408:                             ;   in Loop: Header=BB4_394 Depth=4
	s_mov_b32 s13, -1
	s_mov_b32 s38, exec_lo
                                        ; implicit-def: $sgpr36
	v_cmpx_eq_u16_e64 0x80, v160
; %bb.1409:                             ;   in Loop: Header=BB4_394 Depth=4
	s_mov_b32 s36, 0x7f800001
	s_xor_b32 s13, exec_lo, -1
; %bb.1410:                             ;   in Loop: Header=BB4_394 Depth=4
	s_or_b32 exec_lo, exec_lo, s38
	s_delay_alu instid0(SALU_CYCLE_1)
	s_and_b32 s13, s13, exec_lo
	s_or_saveexec_b32 s37, s37
	v_mov_b32_e32 v161, s36
	s_xor_b32 exec_lo, exec_lo, s37
	s_cbranch_execz .LBB4_553
.LBB4_1411:                             ;   in Loop: Header=BB4_394 Depth=4
	v_cmp_ne_u16_e64 vcc_lo, 0, v160
	v_mov_b32_e32 v161, 0
	s_and_not1_b32 s13, s13, exec_lo
	s_delay_alu instid0(VALU_DEP_2) | instskip(NEXT) | instid1(SALU_CYCLE_1)
	s_and_b32 vcc_lo, vcc_lo, exec_lo
	s_or_b32 s13, s13, vcc_lo
	s_or_b32 exec_lo, exec_lo, s37
	s_and_saveexec_b32 s36, s13
	s_cbranch_execnz .LBB4_554
	s_branch .LBB4_555
.LBB4_1412:                             ;   in Loop: Header=BB4_394 Depth=4
	s_mov_b32 s13, -1
	s_mov_b32 s38, exec_lo
                                        ; implicit-def: $sgpr36
	v_cmpx_eq_u16_e64 0x80, v151
; %bb.1413:                             ;   in Loop: Header=BB4_394 Depth=4
	s_mov_b32 s36, 0x7f800001
	s_xor_b32 s13, exec_lo, -1
; %bb.1414:                             ;   in Loop: Header=BB4_394 Depth=4
	s_or_b32 exec_lo, exec_lo, s38
	s_delay_alu instid0(SALU_CYCLE_1)
	s_and_b32 s13, s13, exec_lo
	s_or_saveexec_b32 s37, s37
	v_mov_b32_e32 v160, s36
	s_xor_b32 exec_lo, exec_lo, s37
	s_cbranch_execz .LBB4_557
.LBB4_1415:                             ;   in Loop: Header=BB4_394 Depth=4
	v_cmp_ne_u16_e64 vcc_lo, 0, v151
	v_mov_b32_e32 v160, 0
	s_and_not1_b32 s13, s13, exec_lo
	s_delay_alu instid0(VALU_DEP_2) | instskip(NEXT) | instid1(SALU_CYCLE_1)
	s_and_b32 vcc_lo, vcc_lo, exec_lo
	s_or_b32 s13, s13, vcc_lo
	s_or_b32 exec_lo, exec_lo, s37
	s_and_saveexec_b32 s36, s13
	s_cbranch_execnz .LBB4_558
	s_branch .LBB4_559
.LBB4_1416:                             ;   in Loop: Header=BB4_394 Depth=4
	s_mov_b32 s36, -1
	s_mov_b32 s38, exec_lo
                                        ; implicit-def: $sgpr37
	v_cmpx_eq_u16_e64 0x80, v162
; %bb.1417:                             ;   in Loop: Header=BB4_394 Depth=4
	s_mov_b32 s37, 0x7f800001
	s_xor_b32 s36, exec_lo, -1
; %bb.1418:                             ;   in Loop: Header=BB4_394 Depth=4
	s_or_b32 exec_lo, exec_lo, s38
	s_delay_alu instid0(SALU_CYCLE_1)
	s_and_b32 s36, s36, exec_lo
	s_or_saveexec_b32 s13, s13
	v_mov_b32_e32 v163, s37
	s_xor_b32 exec_lo, exec_lo, s13
	s_cbranch_execz .LBB4_571
.LBB4_1419:                             ;   in Loop: Header=BB4_394 Depth=4
	v_cmp_ne_u16_e64 vcc_lo, 0, v162
	v_mov_b32_e32 v163, 0
	s_and_not1_b32 s36, s36, exec_lo
	s_delay_alu instid0(VALU_DEP_2) | instskip(NEXT) | instid1(SALU_CYCLE_1)
	s_and_b32 vcc_lo, vcc_lo, exec_lo
	s_or_b32 s36, s36, vcc_lo
	s_or_b32 exec_lo, exec_lo, s13
	s_and_saveexec_b32 s13, s36
	s_cbranch_execnz .LBB4_572
	s_branch .LBB4_573
.LBB4_1420:                             ;   in Loop: Header=BB4_394 Depth=4
	s_mov_b32 s13, -1
	s_mov_b32 s38, exec_lo
                                        ; implicit-def: $sgpr36
	v_cmpx_eq_u16_e64 0x80, v165
; %bb.1421:                             ;   in Loop: Header=BB4_394 Depth=4
	s_mov_b32 s36, 0x7f800001
	s_xor_b32 s13, exec_lo, -1
; %bb.1422:                             ;   in Loop: Header=BB4_394 Depth=4
	s_or_b32 exec_lo, exec_lo, s38
	s_delay_alu instid0(SALU_CYCLE_1)
	s_and_b32 s13, s13, exec_lo
                                        ; implicit-def: $vgpr165
	s_or_saveexec_b32 s37, s37
	v_mov_b32_e32 v164, s36
	s_xor_b32 exec_lo, exec_lo, s37
	s_cbranch_execz .LBB4_575
.LBB4_1423:                             ;   in Loop: Header=BB4_394 Depth=4
	v_cmp_ne_u16_e64 vcc_lo, 0, v165
	v_mov_b32_e32 v164, 0
	s_and_not1_b32 s13, s13, exec_lo
	s_delay_alu instid0(VALU_DEP_2) | instskip(NEXT) | instid1(SALU_CYCLE_1)
	s_and_b32 vcc_lo, vcc_lo, exec_lo
	s_or_b32 s13, s13, vcc_lo
	s_or_b32 exec_lo, exec_lo, s37
	s_and_saveexec_b32 s36, s13
	s_cbranch_execnz .LBB4_576
	s_branch .LBB4_577
.LBB4_1424:                             ;   in Loop: Header=BB4_394 Depth=4
	s_mov_b32 s13, -1
	s_mov_b32 s38, exec_lo
                                        ; implicit-def: $sgpr36
	v_cmpx_eq_u16_e64 0x80, v162
; %bb.1425:                             ;   in Loop: Header=BB4_394 Depth=4
	s_mov_b32 s36, 0x7f800001
	s_xor_b32 s13, exec_lo, -1
; %bb.1426:                             ;   in Loop: Header=BB4_394 Depth=4
	s_or_b32 exec_lo, exec_lo, s38
	s_delay_alu instid0(SALU_CYCLE_1)
	s_and_b32 s13, s13, exec_lo
                                        ; implicit-def: $vgpr162
	s_or_saveexec_b32 s37, s37
	v_mov_b32_e32 v163, s36
	s_xor_b32 exec_lo, exec_lo, s37
	s_cbranch_execz .LBB4_582
.LBB4_1427:                             ;   in Loop: Header=BB4_394 Depth=4
	v_cmp_ne_u16_e64 vcc_lo, 0, v162
	v_mov_b32_e32 v163, 0
	s_and_not1_b32 s13, s13, exec_lo
	s_delay_alu instid0(VALU_DEP_2) | instskip(NEXT) | instid1(SALU_CYCLE_1)
	s_and_b32 vcc_lo, vcc_lo, exec_lo
	s_or_b32 s13, s13, vcc_lo
	s_or_b32 exec_lo, exec_lo, s37
	s_and_saveexec_b32 s36, s13
	s_cbranch_execnz .LBB4_583
	s_branch .LBB4_584
.LBB4_1428:                             ;   in Loop: Header=BB4_394 Depth=4
	s_mov_b32 s13, -1
	s_mov_b32 s38, exec_lo
                                        ; implicit-def: $sgpr36
	v_cmpx_eq_u16_e64 0x80, v162
; %bb.1429:                             ;   in Loop: Header=BB4_394 Depth=4
	s_mov_b32 s36, 0x7f800001
	s_xor_b32 s13, exec_lo, -1
; %bb.1430:                             ;   in Loop: Header=BB4_394 Depth=4
	s_or_b32 exec_lo, exec_lo, s38
	s_delay_alu instid0(SALU_CYCLE_1)
	s_and_b32 s13, s13, exec_lo
                                        ; implicit-def: $vgpr162
	s_or_saveexec_b32 s37, s37
	v_mov_b32_e32 v161, s36
	s_xor_b32 exec_lo, exec_lo, s37
	s_cbranch_execz .LBB4_586
.LBB4_1431:                             ;   in Loop: Header=BB4_394 Depth=4
	v_cmp_ne_u16_e64 vcc_lo, 0, v162
	v_mov_b32_e32 v161, 0
	s_and_not1_b32 s13, s13, exec_lo
	s_delay_alu instid0(VALU_DEP_2) | instskip(NEXT) | instid1(SALU_CYCLE_1)
	s_and_b32 vcc_lo, vcc_lo, exec_lo
	s_or_b32 s13, s13, vcc_lo
	s_or_b32 exec_lo, exec_lo, s37
	s_and_saveexec_b32 s36, s13
	s_cbranch_execnz .LBB4_587
	s_branch .LBB4_588
.LBB4_1432:                             ;   in Loop: Header=BB4_394 Depth=4
	s_mov_b32 s36, -1
	s_mov_b32 s38, exec_lo
                                        ; implicit-def: $sgpr37
	v_cmpx_eq_u16_e64 0x80, v162
; %bb.1433:                             ;   in Loop: Header=BB4_394 Depth=4
	s_mov_b32 s37, 0x7f800001
	s_xor_b32 s36, exec_lo, -1
; %bb.1434:                             ;   in Loop: Header=BB4_394 Depth=4
	s_or_b32 exec_lo, exec_lo, s38
	s_delay_alu instid0(SALU_CYCLE_1)
	s_and_b32 s36, s36, exec_lo
	s_or_saveexec_b32 s13, s13
	v_mov_b32_e32 v163, s37
	s_xor_b32 exec_lo, exec_lo, s13
	s_cbranch_execz .LBB4_600
.LBB4_1435:                             ;   in Loop: Header=BB4_394 Depth=4
	v_cmp_ne_u16_e64 vcc_lo, 0, v162
	v_mov_b32_e32 v163, 0
	s_and_not1_b32 s36, s36, exec_lo
	s_delay_alu instid0(VALU_DEP_2) | instskip(NEXT) | instid1(SALU_CYCLE_1)
	s_and_b32 vcc_lo, vcc_lo, exec_lo
	s_or_b32 s36, s36, vcc_lo
	s_or_b32 exec_lo, exec_lo, s13
	s_and_saveexec_b32 s13, s36
	s_cbranch_execnz .LBB4_601
	s_branch .LBB4_602
.LBB4_1436:                             ;   in Loop: Header=BB4_394 Depth=4
	s_mov_b32 s13, -1
	s_mov_b32 s38, exec_lo
                                        ; implicit-def: $sgpr36
	v_cmpx_eq_u16_e64 0x80, v161
; %bb.1437:                             ;   in Loop: Header=BB4_394 Depth=4
	s_mov_b32 s36, 0x7f800001
	s_xor_b32 s13, exec_lo, -1
; %bb.1438:                             ;   in Loop: Header=BB4_394 Depth=4
	s_or_b32 exec_lo, exec_lo, s38
	s_delay_alu instid0(SALU_CYCLE_1)
	s_and_b32 s13, s13, exec_lo
	s_or_saveexec_b32 s37, s37
	v_mov_b32_e32 v164, s36
	s_xor_b32 exec_lo, exec_lo, s37
	s_cbranch_execz .LBB4_604
.LBB4_1439:                             ;   in Loop: Header=BB4_394 Depth=4
	v_cmp_ne_u16_e64 vcc_lo, 0, v161
	v_mov_b32_e32 v164, 0
	s_and_not1_b32 s13, s13, exec_lo
	s_delay_alu instid0(VALU_DEP_2) | instskip(NEXT) | instid1(SALU_CYCLE_1)
	s_and_b32 vcc_lo, vcc_lo, exec_lo
	s_or_b32 s13, s13, vcc_lo
	s_or_b32 exec_lo, exec_lo, s37
	s_and_saveexec_b32 s36, s13
	s_cbranch_execnz .LBB4_605
	s_branch .LBB4_606
.LBB4_1440:                             ;   in Loop: Header=BB4_394 Depth=4
	s_mov_b32 s13, -1
	s_mov_b32 s38, exec_lo
                                        ; implicit-def: $sgpr36
	v_cmpx_eq_u16_e64 0x80, v162
; %bb.1441:                             ;   in Loop: Header=BB4_394 Depth=4
	s_mov_b32 s36, 0x7f800001
	s_xor_b32 s13, exec_lo, -1
; %bb.1442:                             ;   in Loop: Header=BB4_394 Depth=4
	s_or_b32 exec_lo, exec_lo, s38
	s_delay_alu instid0(SALU_CYCLE_1)
	s_and_b32 s13, s13, exec_lo
	s_or_saveexec_b32 s37, s37
	v_mov_b32_e32 v163, s36
	s_xor_b32 exec_lo, exec_lo, s37
	s_cbranch_execz .LBB4_611
.LBB4_1443:                             ;   in Loop: Header=BB4_394 Depth=4
	v_cmp_ne_u16_e64 vcc_lo, 0, v162
	v_mov_b32_e32 v163, 0
	s_and_not1_b32 s13, s13, exec_lo
	s_delay_alu instid0(VALU_DEP_2) | instskip(NEXT) | instid1(SALU_CYCLE_1)
	s_and_b32 vcc_lo, vcc_lo, exec_lo
	s_or_b32 s13, s13, vcc_lo
	s_or_b32 exec_lo, exec_lo, s37
	s_and_saveexec_b32 s36, s13
	s_cbranch_execnz .LBB4_612
	s_branch .LBB4_613
.LBB4_1444:                             ;   in Loop: Header=BB4_394 Depth=4
	s_mov_b32 s13, -1
	s_mov_b32 s38, exec_lo
                                        ; implicit-def: $sgpr36
	v_cmpx_eq_u16_e64 0x80, v161
; %bb.1445:                             ;   in Loop: Header=BB4_394 Depth=4
	s_mov_b32 s36, 0x7f800001
	s_xor_b32 s13, exec_lo, -1
; %bb.1446:                             ;   in Loop: Header=BB4_394 Depth=4
	s_or_b32 exec_lo, exec_lo, s38
	s_delay_alu instid0(SALU_CYCLE_1)
	s_and_b32 s13, s13, exec_lo
	s_or_saveexec_b32 s37, s37
	v_mov_b32_e32 v21, s36
	s_xor_b32 exec_lo, exec_lo, s37
	s_cbranch_execz .LBB4_615
.LBB4_1447:                             ;   in Loop: Header=BB4_394 Depth=4
	v_cmp_ne_u16_e64 vcc_lo, 0, v161
	v_mov_b32_e32 v21, 0
	s_and_not1_b32 s13, s13, exec_lo
	s_delay_alu instid0(VALU_DEP_2) | instskip(NEXT) | instid1(SALU_CYCLE_1)
	s_and_b32 vcc_lo, vcc_lo, exec_lo
	s_or_b32 s13, s13, vcc_lo
	s_or_b32 exec_lo, exec_lo, s37
	s_and_saveexec_b32 s36, s13
	s_cbranch_execnz .LBB4_616
	s_branch .LBB4_617
.LBB4_1448:                             ;   in Loop: Header=BB4_394 Depth=4
	s_mov_b32 s36, -1
	s_mov_b32 s38, exec_lo
                                        ; implicit-def: $sgpr37
	v_cmpx_eq_u16_e32 0x80, v21
; %bb.1449:                             ;   in Loop: Header=BB4_394 Depth=4
	s_mov_b32 s37, 0x7f800001
	s_xor_b32 s36, exec_lo, -1
; %bb.1450:                             ;   in Loop: Header=BB4_394 Depth=4
	s_or_b32 exec_lo, exec_lo, s38
	s_delay_alu instid0(SALU_CYCLE_1)
	s_and_b32 s36, s36, exec_lo
	s_or_saveexec_b32 s13, s13
	v_mov_b32_e32 v161, s37
	s_xor_b32 exec_lo, exec_lo, s13
	s_cbranch_execz .LBB4_629
.LBB4_1451:                             ;   in Loop: Header=BB4_394 Depth=4
	v_cmp_ne_u16_e32 vcc_lo, 0, v21
	v_mov_b32_e32 v161, 0
	s_and_not1_b32 s36, s36, exec_lo
	s_and_b32 vcc_lo, vcc_lo, exec_lo
	s_delay_alu instid0(SALU_CYCLE_1)
	s_or_b32 s36, s36, vcc_lo
	s_or_b32 exec_lo, exec_lo, s13
	s_and_saveexec_b32 s13, s36
	s_cbranch_execnz .LBB4_630
	s_branch .LBB4_631
.LBB4_1452:                             ;   in Loop: Header=BB4_394 Depth=4
	s_mov_b32 s13, -1
	s_mov_b32 s38, exec_lo
                                        ; implicit-def: $sgpr36
	v_cmpx_eq_u16_e64 0x80, v163
; %bb.1453:                             ;   in Loop: Header=BB4_394 Depth=4
	s_mov_b32 s36, 0x7f800001
	s_xor_b32 s13, exec_lo, -1
; %bb.1454:                             ;   in Loop: Header=BB4_394 Depth=4
	s_or_b32 exec_lo, exec_lo, s38
	s_delay_alu instid0(SALU_CYCLE_1)
	s_and_b32 s13, s13, exec_lo
                                        ; implicit-def: $vgpr163
	s_or_saveexec_b32 s37, s37
	v_mov_b32_e32 v162, s36
	s_xor_b32 exec_lo, exec_lo, s37
	s_cbranch_execz .LBB4_633
.LBB4_1455:                             ;   in Loop: Header=BB4_394 Depth=4
	v_cmp_ne_u16_e64 vcc_lo, 0, v163
	v_mov_b32_e32 v162, 0
	s_and_not1_b32 s13, s13, exec_lo
	s_delay_alu instid0(VALU_DEP_2) | instskip(NEXT) | instid1(SALU_CYCLE_1)
	s_and_b32 vcc_lo, vcc_lo, exec_lo
	s_or_b32 s13, s13, vcc_lo
	s_or_b32 exec_lo, exec_lo, s37
	s_and_saveexec_b32 s36, s13
	s_cbranch_execnz .LBB4_634
	s_branch .LBB4_635
.LBB4_1456:                             ;   in Loop: Header=BB4_394 Depth=4
	s_mov_b32 s13, -1
	s_mov_b32 s38, exec_lo
                                        ; implicit-def: $sgpr36
	v_cmpx_eq_u16_e32 0x80, v21
; %bb.1457:                             ;   in Loop: Header=BB4_394 Depth=4
	s_mov_b32 s36, 0x7f800001
	s_xor_b32 s13, exec_lo, -1
; %bb.1458:                             ;   in Loop: Header=BB4_394 Depth=4
	s_or_b32 exec_lo, exec_lo, s38
	s_delay_alu instid0(SALU_CYCLE_1)
	s_and_b32 s13, s13, exec_lo
                                        ; implicit-def: $vgpr21
	s_or_saveexec_b32 s37, s37
	v_mov_b32_e32 v161, s36
	s_xor_b32 exec_lo, exec_lo, s37
	s_cbranch_execz .LBB4_640
.LBB4_1459:                             ;   in Loop: Header=BB4_394 Depth=4
	v_cmp_ne_u16_e32 vcc_lo, 0, v21
	v_mov_b32_e32 v161, 0
	s_and_not1_b32 s13, s13, exec_lo
	s_and_b32 vcc_lo, vcc_lo, exec_lo
	s_delay_alu instid0(SALU_CYCLE_1)
	s_or_b32 s13, s13, vcc_lo
	s_or_b32 exec_lo, exec_lo, s37
	s_and_saveexec_b32 s36, s13
	s_cbranch_execnz .LBB4_641
	s_branch .LBB4_642
.LBB4_1460:                             ;   in Loop: Header=BB4_394 Depth=4
	s_mov_b32 s13, -1
	s_mov_b32 s38, exec_lo
                                        ; implicit-def: $sgpr36
	v_cmpx_eq_u16_e64 0x80, v162
; %bb.1461:                             ;   in Loop: Header=BB4_394 Depth=4
	s_mov_b32 s36, 0x7f800001
	s_xor_b32 s13, exec_lo, -1
; %bb.1462:                             ;   in Loop: Header=BB4_394 Depth=4
	s_or_b32 exec_lo, exec_lo, s38
	s_delay_alu instid0(SALU_CYCLE_1)
	s_and_b32 s13, s13, exec_lo
                                        ; implicit-def: $vgpr162
	s_or_saveexec_b32 s37, s37
	v_mov_b32_e32 v21, s36
	s_xor_b32 exec_lo, exec_lo, s37
	s_cbranch_execz .LBB4_644
.LBB4_1463:                             ;   in Loop: Header=BB4_394 Depth=4
	v_cmp_ne_u16_e64 vcc_lo, 0, v162
	v_mov_b32_e32 v21, 0
	s_and_not1_b32 s13, s13, exec_lo
	s_delay_alu instid0(VALU_DEP_2) | instskip(NEXT) | instid1(SALU_CYCLE_1)
	s_and_b32 vcc_lo, vcc_lo, exec_lo
	s_or_b32 s13, s13, vcc_lo
	s_or_b32 exec_lo, exec_lo, s37
	s_and_saveexec_b32 s36, s13
	s_cbranch_execnz .LBB4_645
	s_branch .LBB4_646
.LBB4_1464:                             ;   in Loop: Header=BB4_394 Depth=4
	s_mov_b32 s36, -1
	s_mov_b32 s38, exec_lo
                                        ; implicit-def: $sgpr37
	v_cmpx_eq_u16_e64 0x80, v162
; %bb.1465:                             ;   in Loop: Header=BB4_394 Depth=4
	s_mov_b32 s37, 0x7f800001
	s_xor_b32 s36, exec_lo, -1
; %bb.1466:                             ;   in Loop: Header=BB4_394 Depth=4
	s_or_b32 exec_lo, exec_lo, s38
	s_delay_alu instid0(SALU_CYCLE_1)
	s_and_b32 s36, s36, exec_lo
	s_or_saveexec_b32 s13, s13
	v_mov_b32_e32 v163, s37
	s_xor_b32 exec_lo, exec_lo, s13
	s_cbranch_execz .LBB4_658
.LBB4_1467:                             ;   in Loop: Header=BB4_394 Depth=4
	v_cmp_ne_u16_e64 vcc_lo, 0, v162
	v_mov_b32_e32 v163, 0
	s_and_not1_b32 s36, s36, exec_lo
	s_delay_alu instid0(VALU_DEP_2) | instskip(NEXT) | instid1(SALU_CYCLE_1)
	s_and_b32 vcc_lo, vcc_lo, exec_lo
	s_or_b32 s36, s36, vcc_lo
	s_or_b32 exec_lo, exec_lo, s13
	s_and_saveexec_b32 s13, s36
	s_cbranch_execnz .LBB4_659
	s_branch .LBB4_660
.LBB4_1468:                             ;   in Loop: Header=BB4_394 Depth=4
	s_mov_b32 s13, -1
	s_mov_b32 s38, exec_lo
                                        ; implicit-def: $sgpr36
	v_cmpx_eq_u16_e64 0x80, v161
; %bb.1469:                             ;   in Loop: Header=BB4_394 Depth=4
	s_mov_b32 s36, 0x7f800001
	s_xor_b32 s13, exec_lo, -1
; %bb.1470:                             ;   in Loop: Header=BB4_394 Depth=4
	s_or_b32 exec_lo, exec_lo, s38
	s_delay_alu instid0(SALU_CYCLE_1)
	s_and_b32 s13, s13, exec_lo
	s_or_saveexec_b32 s37, s37
	v_mov_b32_e32 v164, s36
	s_xor_b32 exec_lo, exec_lo, s37
	s_cbranch_execz .LBB4_662
.LBB4_1471:                             ;   in Loop: Header=BB4_394 Depth=4
	v_cmp_ne_u16_e64 vcc_lo, 0, v161
	v_mov_b32_e32 v164, 0
	s_and_not1_b32 s13, s13, exec_lo
	s_delay_alu instid0(VALU_DEP_2) | instskip(NEXT) | instid1(SALU_CYCLE_1)
	s_and_b32 vcc_lo, vcc_lo, exec_lo
	s_or_b32 s13, s13, vcc_lo
	s_or_b32 exec_lo, exec_lo, s37
	s_and_saveexec_b32 s36, s13
	s_cbranch_execnz .LBB4_663
	s_branch .LBB4_664
.LBB4_1472:                             ;   in Loop: Header=BB4_394 Depth=4
	s_mov_b32 s13, -1
	s_mov_b32 s38, exec_lo
                                        ; implicit-def: $sgpr36
	v_cmpx_eq_u16_e64 0x80, v162
; %bb.1473:                             ;   in Loop: Header=BB4_394 Depth=4
	s_mov_b32 s36, 0x7f800001
	s_xor_b32 s13, exec_lo, -1
; %bb.1474:                             ;   in Loop: Header=BB4_394 Depth=4
	s_or_b32 exec_lo, exec_lo, s38
	s_delay_alu instid0(SALU_CYCLE_1)
	s_and_b32 s13, s13, exec_lo
	s_or_saveexec_b32 s37, s37
	v_mov_b32_e32 v163, s36
	s_xor_b32 exec_lo, exec_lo, s37
	s_cbranch_execz .LBB4_669
.LBB4_1475:                             ;   in Loop: Header=BB4_394 Depth=4
	v_cmp_ne_u16_e64 vcc_lo, 0, v162
	v_mov_b32_e32 v163, 0
	s_and_not1_b32 s13, s13, exec_lo
	s_delay_alu instid0(VALU_DEP_2) | instskip(NEXT) | instid1(SALU_CYCLE_1)
	s_and_b32 vcc_lo, vcc_lo, exec_lo
	s_or_b32 s13, s13, vcc_lo
	s_or_b32 exec_lo, exec_lo, s37
	s_and_saveexec_b32 s36, s13
	s_cbranch_execnz .LBB4_670
	s_branch .LBB4_671
.LBB4_1476:                             ;   in Loop: Header=BB4_394 Depth=4
	s_mov_b32 s13, -1
	s_mov_b32 s38, exec_lo
                                        ; implicit-def: $sgpr36
	v_cmpx_eq_u16_e64 0x80, v161
; %bb.1477:                             ;   in Loop: Header=BB4_394 Depth=4
	s_mov_b32 s36, 0x7f800001
	s_xor_b32 s13, exec_lo, -1
; %bb.1478:                             ;   in Loop: Header=BB4_394 Depth=4
	s_or_b32 exec_lo, exec_lo, s38
	s_delay_alu instid0(SALU_CYCLE_1)
	s_and_b32 s13, s13, exec_lo
	s_or_saveexec_b32 s37, s37
	v_mov_b32_e32 v162, s36
	s_xor_b32 exec_lo, exec_lo, s37
	s_cbranch_execz .LBB4_673
.LBB4_1479:                             ;   in Loop: Header=BB4_394 Depth=4
	v_cmp_ne_u16_e64 vcc_lo, 0, v161
	v_mov_b32_e32 v162, 0
	s_and_not1_b32 s13, s13, exec_lo
	s_delay_alu instid0(VALU_DEP_2) | instskip(NEXT) | instid1(SALU_CYCLE_1)
	s_and_b32 vcc_lo, vcc_lo, exec_lo
	s_or_b32 s13, s13, vcc_lo
	s_or_b32 exec_lo, exec_lo, s37
	s_and_saveexec_b32 s36, s13
	s_cbranch_execnz .LBB4_674
	s_branch .LBB4_675
.LBB4_1480:                             ;   in Loop: Header=BB4_394 Depth=4
	s_mov_b32 s36, -1
	s_mov_b32 s38, exec_lo
                                        ; implicit-def: $sgpr37
	v_cmpx_eq_u16_e64 0x80, v164
; %bb.1481:                             ;   in Loop: Header=BB4_394 Depth=4
	s_mov_b32 s37, 0x7f800001
	s_xor_b32 s36, exec_lo, -1
; %bb.1482:                             ;   in Loop: Header=BB4_394 Depth=4
	s_or_b32 exec_lo, exec_lo, s38
	s_delay_alu instid0(SALU_CYCLE_1)
	s_and_b32 s36, s36, exec_lo
	s_or_saveexec_b32 s13, s13
	v_mov_b32_e32 v165, s37
	s_xor_b32 exec_lo, exec_lo, s13
	s_cbranch_execz .LBB4_687
.LBB4_1483:                             ;   in Loop: Header=BB4_394 Depth=4
	v_cmp_ne_u16_e64 vcc_lo, 0, v164
	v_mov_b32_e32 v165, 0
	s_and_not1_b32 s36, s36, exec_lo
	s_delay_alu instid0(VALU_DEP_2) | instskip(NEXT) | instid1(SALU_CYCLE_1)
	s_and_b32 vcc_lo, vcc_lo, exec_lo
	s_or_b32 s36, s36, vcc_lo
	s_or_b32 exec_lo, exec_lo, s13
	s_and_saveexec_b32 s13, s36
	s_cbranch_execnz .LBB4_688
	s_branch .LBB4_689
.LBB4_1484:                             ;   in Loop: Header=BB4_394 Depth=4
	s_mov_b32 s13, -1
	s_mov_b32 s38, exec_lo
                                        ; implicit-def: $sgpr36
	v_cmpx_eq_u16_e64 0x80, v167
; %bb.1485:                             ;   in Loop: Header=BB4_394 Depth=4
	s_mov_b32 s36, 0x7f800001
	s_xor_b32 s13, exec_lo, -1
; %bb.1486:                             ;   in Loop: Header=BB4_394 Depth=4
	s_or_b32 exec_lo, exec_lo, s38
	s_delay_alu instid0(SALU_CYCLE_1)
	s_and_b32 s13, s13, exec_lo
                                        ; implicit-def: $vgpr167
	s_or_saveexec_b32 s37, s37
	v_mov_b32_e32 v166, s36
	s_xor_b32 exec_lo, exec_lo, s37
	s_cbranch_execz .LBB4_691
.LBB4_1487:                             ;   in Loop: Header=BB4_394 Depth=4
	v_cmp_ne_u16_e64 vcc_lo, 0, v167
	v_mov_b32_e32 v166, 0
	s_and_not1_b32 s13, s13, exec_lo
	s_delay_alu instid0(VALU_DEP_2) | instskip(NEXT) | instid1(SALU_CYCLE_1)
	s_and_b32 vcc_lo, vcc_lo, exec_lo
	s_or_b32 s13, s13, vcc_lo
	s_or_b32 exec_lo, exec_lo, s37
	s_and_saveexec_b32 s36, s13
	s_cbranch_execnz .LBB4_692
	s_branch .LBB4_693
.LBB4_1488:                             ;   in Loop: Header=BB4_394 Depth=4
	s_mov_b32 s13, -1
	s_mov_b32 s38, exec_lo
                                        ; implicit-def: $sgpr36
	v_cmpx_eq_u16_e64 0x80, v164
; %bb.1489:                             ;   in Loop: Header=BB4_394 Depth=4
	s_mov_b32 s36, 0x7f800001
	s_xor_b32 s13, exec_lo, -1
; %bb.1490:                             ;   in Loop: Header=BB4_394 Depth=4
	s_or_b32 exec_lo, exec_lo, s38
	s_delay_alu instid0(SALU_CYCLE_1)
	s_and_b32 s13, s13, exec_lo
                                        ; implicit-def: $vgpr164
	s_or_saveexec_b32 s37, s37
	v_mov_b32_e32 v165, s36
	s_xor_b32 exec_lo, exec_lo, s37
	s_cbranch_execz .LBB4_698
.LBB4_1491:                             ;   in Loop: Header=BB4_394 Depth=4
	v_cmp_ne_u16_e64 vcc_lo, 0, v164
	v_mov_b32_e32 v165, 0
	s_and_not1_b32 s13, s13, exec_lo
	s_delay_alu instid0(VALU_DEP_2) | instskip(NEXT) | instid1(SALU_CYCLE_1)
	s_and_b32 vcc_lo, vcc_lo, exec_lo
	s_or_b32 s13, s13, vcc_lo
	s_or_b32 exec_lo, exec_lo, s37
	s_and_saveexec_b32 s36, s13
	s_cbranch_execnz .LBB4_699
	s_branch .LBB4_700
.LBB4_1492:                             ;   in Loop: Header=BB4_394 Depth=4
	s_mov_b32 s13, -1
	s_mov_b32 s38, exec_lo
                                        ; implicit-def: $sgpr36
	v_cmpx_eq_u16_e64 0x80, v164
; %bb.1493:                             ;   in Loop: Header=BB4_394 Depth=4
	s_mov_b32 s36, 0x7f800001
	s_xor_b32 s13, exec_lo, -1
; %bb.1494:                             ;   in Loop: Header=BB4_394 Depth=4
	s_or_b32 exec_lo, exec_lo, s38
	s_delay_alu instid0(SALU_CYCLE_1)
	s_and_b32 s13, s13, exec_lo
                                        ; implicit-def: $vgpr164
	s_or_saveexec_b32 s37, s37
	v_mov_b32_e32 v163, s36
	s_xor_b32 exec_lo, exec_lo, s37
	s_cbranch_execz .LBB4_702
.LBB4_1495:                             ;   in Loop: Header=BB4_394 Depth=4
	v_cmp_ne_u16_e64 vcc_lo, 0, v164
	v_mov_b32_e32 v163, 0
	s_and_not1_b32 s13, s13, exec_lo
	s_delay_alu instid0(VALU_DEP_2) | instskip(NEXT) | instid1(SALU_CYCLE_1)
	s_and_b32 vcc_lo, vcc_lo, exec_lo
	s_or_b32 s13, s13, vcc_lo
	s_or_b32 exec_lo, exec_lo, s37
	s_and_saveexec_b32 s36, s13
	s_cbranch_execnz .LBB4_703
	s_branch .LBB4_704
.LBB4_1496:                             ;   in Loop: Header=BB4_394 Depth=4
	s_mov_b32 s36, -1
	s_mov_b32 s38, exec_lo
                                        ; implicit-def: $sgpr37
	v_cmpx_eq_u16_e64 0x80, v164
; %bb.1497:                             ;   in Loop: Header=BB4_394 Depth=4
	s_mov_b32 s37, 0x7f800001
	s_xor_b32 s36, exec_lo, -1
; %bb.1498:                             ;   in Loop: Header=BB4_394 Depth=4
	s_or_b32 exec_lo, exec_lo, s38
	s_delay_alu instid0(SALU_CYCLE_1)
	s_and_b32 s36, s36, exec_lo
	s_or_saveexec_b32 s13, s13
	v_mov_b32_e32 v165, s37
	s_xor_b32 exec_lo, exec_lo, s13
	s_cbranch_execz .LBB4_716
.LBB4_1499:                             ;   in Loop: Header=BB4_394 Depth=4
	v_cmp_ne_u16_e64 vcc_lo, 0, v164
	v_mov_b32_e32 v165, 0
	s_and_not1_b32 s36, s36, exec_lo
	s_delay_alu instid0(VALU_DEP_2) | instskip(NEXT) | instid1(SALU_CYCLE_1)
	s_and_b32 vcc_lo, vcc_lo, exec_lo
	s_or_b32 s36, s36, vcc_lo
	s_or_b32 exec_lo, exec_lo, s13
	s_and_saveexec_b32 s13, s36
	s_cbranch_execnz .LBB4_717
	s_branch .LBB4_718
.LBB4_1500:                             ;   in Loop: Header=BB4_394 Depth=4
	s_mov_b32 s13, -1
	s_mov_b32 s38, exec_lo
                                        ; implicit-def: $sgpr36
	v_cmpx_eq_u16_e64 0x80, v163
; %bb.1501:                             ;   in Loop: Header=BB4_394 Depth=4
	s_mov_b32 s36, 0x7f800001
	s_xor_b32 s13, exec_lo, -1
; %bb.1502:                             ;   in Loop: Header=BB4_394 Depth=4
	s_or_b32 exec_lo, exec_lo, s38
	s_delay_alu instid0(SALU_CYCLE_1)
	s_and_b32 s13, s13, exec_lo
	s_or_saveexec_b32 s37, s37
	v_mov_b32_e32 v166, s36
	s_xor_b32 exec_lo, exec_lo, s37
	s_cbranch_execz .LBB4_720
.LBB4_1503:                             ;   in Loop: Header=BB4_394 Depth=4
	v_cmp_ne_u16_e64 vcc_lo, 0, v163
	v_mov_b32_e32 v166, 0
	s_and_not1_b32 s13, s13, exec_lo
	s_delay_alu instid0(VALU_DEP_2) | instskip(NEXT) | instid1(SALU_CYCLE_1)
	s_and_b32 vcc_lo, vcc_lo, exec_lo
	s_or_b32 s13, s13, vcc_lo
	s_or_b32 exec_lo, exec_lo, s37
	s_and_saveexec_b32 s36, s13
	s_cbranch_execnz .LBB4_721
	s_branch .LBB4_722
.LBB4_1504:                             ;   in Loop: Header=BB4_394 Depth=4
	s_mov_b32 s13, -1
	s_mov_b32 s38, exec_lo
                                        ; implicit-def: $sgpr36
	v_cmpx_eq_u16_e64 0x80, v164
; %bb.1505:                             ;   in Loop: Header=BB4_394 Depth=4
	s_mov_b32 s36, 0x7f800001
	s_xor_b32 s13, exec_lo, -1
; %bb.1506:                             ;   in Loop: Header=BB4_394 Depth=4
	s_or_b32 exec_lo, exec_lo, s38
	s_delay_alu instid0(SALU_CYCLE_1)
	s_and_b32 s13, s13, exec_lo
	s_or_saveexec_b32 s37, s37
	v_mov_b32_e32 v165, s36
	s_xor_b32 exec_lo, exec_lo, s37
	s_cbranch_execz .LBB4_727
.LBB4_1507:                             ;   in Loop: Header=BB4_394 Depth=4
	v_cmp_ne_u16_e64 vcc_lo, 0, v164
	v_mov_b32_e32 v165, 0
	s_and_not1_b32 s13, s13, exec_lo
	s_delay_alu instid0(VALU_DEP_2) | instskip(NEXT) | instid1(SALU_CYCLE_1)
	s_and_b32 vcc_lo, vcc_lo, exec_lo
	s_or_b32 s13, s13, vcc_lo
	s_or_b32 exec_lo, exec_lo, s37
	s_and_saveexec_b32 s36, s13
	s_cbranch_execnz .LBB4_728
	s_branch .LBB4_729
.LBB4_1508:                             ;   in Loop: Header=BB4_394 Depth=4
	s_mov_b32 s13, -1
	s_mov_b32 s38, exec_lo
                                        ; implicit-def: $sgpr36
	v_cmpx_eq_u16_e64 0x80, v163
; %bb.1509:                             ;   in Loop: Header=BB4_394 Depth=4
	s_mov_b32 s36, 0x7f800001
	s_xor_b32 s13, exec_lo, -1
; %bb.1510:                             ;   in Loop: Header=BB4_394 Depth=4
	s_or_b32 exec_lo, exec_lo, s38
	s_delay_alu instid0(SALU_CYCLE_1)
	s_and_b32 s13, s13, exec_lo
	s_or_saveexec_b32 s37, s37
	v_mov_b32_e32 v22, s36
	s_xor_b32 exec_lo, exec_lo, s37
	s_cbranch_execz .LBB4_731
.LBB4_1511:                             ;   in Loop: Header=BB4_394 Depth=4
	v_cmp_ne_u16_e64 vcc_lo, 0, v163
	v_mov_b32_e32 v22, 0
	s_and_not1_b32 s13, s13, exec_lo
	s_delay_alu instid0(VALU_DEP_2) | instskip(NEXT) | instid1(SALU_CYCLE_1)
	s_and_b32 vcc_lo, vcc_lo, exec_lo
	s_or_b32 s13, s13, vcc_lo
	s_or_b32 exec_lo, exec_lo, s37
	s_and_saveexec_b32 s36, s13
	s_cbranch_execnz .LBB4_732
	s_branch .LBB4_733
.LBB4_1512:                             ;   in Loop: Header=BB4_394 Depth=4
	s_mov_b32 s36, -1
	s_mov_b32 s38, exec_lo
                                        ; implicit-def: $sgpr37
	v_cmpx_eq_u16_e32 0x80, v22
; %bb.1513:                             ;   in Loop: Header=BB4_394 Depth=4
	s_mov_b32 s37, 0x7f800001
	s_xor_b32 s36, exec_lo, -1
; %bb.1514:                             ;   in Loop: Header=BB4_394 Depth=4
	s_or_b32 exec_lo, exec_lo, s38
	s_delay_alu instid0(SALU_CYCLE_1)
	s_and_b32 s36, s36, exec_lo
	s_or_saveexec_b32 s13, s13
	v_mov_b32_e32 v163, s37
	s_xor_b32 exec_lo, exec_lo, s13
	s_cbranch_execz .LBB4_745
.LBB4_1515:                             ;   in Loop: Header=BB4_394 Depth=4
	v_cmp_ne_u16_e32 vcc_lo, 0, v22
	v_mov_b32_e32 v163, 0
	s_and_not1_b32 s36, s36, exec_lo
	s_and_b32 vcc_lo, vcc_lo, exec_lo
	s_delay_alu instid0(SALU_CYCLE_1)
	s_or_b32 s36, s36, vcc_lo
	s_or_b32 exec_lo, exec_lo, s13
	s_and_saveexec_b32 s13, s36
	s_cbranch_execnz .LBB4_746
	s_branch .LBB4_747
.LBB4_1516:                             ;   in Loop: Header=BB4_394 Depth=4
	s_mov_b32 s13, -1
	s_mov_b32 s38, exec_lo
                                        ; implicit-def: $sgpr36
	v_cmpx_eq_u16_e64 0x80, v165
; %bb.1517:                             ;   in Loop: Header=BB4_394 Depth=4
	s_mov_b32 s36, 0x7f800001
	s_xor_b32 s13, exec_lo, -1
; %bb.1518:                             ;   in Loop: Header=BB4_394 Depth=4
	s_or_b32 exec_lo, exec_lo, s38
	s_delay_alu instid0(SALU_CYCLE_1)
	s_and_b32 s13, s13, exec_lo
                                        ; implicit-def: $vgpr165
	s_or_saveexec_b32 s37, s37
	v_mov_b32_e32 v164, s36
	s_xor_b32 exec_lo, exec_lo, s37
	s_cbranch_execz .LBB4_749
.LBB4_1519:                             ;   in Loop: Header=BB4_394 Depth=4
	v_cmp_ne_u16_e64 vcc_lo, 0, v165
	v_mov_b32_e32 v164, 0
	s_and_not1_b32 s13, s13, exec_lo
	s_delay_alu instid0(VALU_DEP_2) | instskip(NEXT) | instid1(SALU_CYCLE_1)
	s_and_b32 vcc_lo, vcc_lo, exec_lo
	s_or_b32 s13, s13, vcc_lo
	s_or_b32 exec_lo, exec_lo, s37
	s_and_saveexec_b32 s36, s13
	s_cbranch_execnz .LBB4_750
	s_branch .LBB4_751
.LBB4_1520:                             ;   in Loop: Header=BB4_394 Depth=4
	s_mov_b32 s13, -1
	s_mov_b32 s38, exec_lo
                                        ; implicit-def: $sgpr36
	v_cmpx_eq_u16_e32 0x80, v22
; %bb.1521:                             ;   in Loop: Header=BB4_394 Depth=4
	s_mov_b32 s36, 0x7f800001
	s_xor_b32 s13, exec_lo, -1
; %bb.1522:                             ;   in Loop: Header=BB4_394 Depth=4
	s_or_b32 exec_lo, exec_lo, s38
	s_delay_alu instid0(SALU_CYCLE_1)
	s_and_b32 s13, s13, exec_lo
                                        ; implicit-def: $vgpr22
	s_or_saveexec_b32 s37, s37
	v_mov_b32_e32 v163, s36
	s_xor_b32 exec_lo, exec_lo, s37
	s_cbranch_execz .LBB4_756
.LBB4_1523:                             ;   in Loop: Header=BB4_394 Depth=4
	v_cmp_ne_u16_e32 vcc_lo, 0, v22
	v_mov_b32_e32 v163, 0
	s_and_not1_b32 s13, s13, exec_lo
	s_and_b32 vcc_lo, vcc_lo, exec_lo
	s_delay_alu instid0(SALU_CYCLE_1)
	s_or_b32 s13, s13, vcc_lo
	s_or_b32 exec_lo, exec_lo, s37
	s_and_saveexec_b32 s36, s13
	s_cbranch_execnz .LBB4_757
	s_branch .LBB4_758
.LBB4_1524:                             ;   in Loop: Header=BB4_394 Depth=4
	s_mov_b32 s13, -1
	s_mov_b32 s38, exec_lo
                                        ; implicit-def: $sgpr36
	v_cmpx_eq_u16_e64 0x80, v164
; %bb.1525:                             ;   in Loop: Header=BB4_394 Depth=4
	s_mov_b32 s36, 0x7f800001
	s_xor_b32 s13, exec_lo, -1
; %bb.1526:                             ;   in Loop: Header=BB4_394 Depth=4
	s_or_b32 exec_lo, exec_lo, s38
	s_delay_alu instid0(SALU_CYCLE_1)
	s_and_b32 s13, s13, exec_lo
                                        ; implicit-def: $vgpr164
	s_or_saveexec_b32 s37, s37
	v_mov_b32_e32 v22, s36
	s_xor_b32 exec_lo, exec_lo, s37
	s_cbranch_execz .LBB4_760
.LBB4_1527:                             ;   in Loop: Header=BB4_394 Depth=4
	v_cmp_ne_u16_e64 vcc_lo, 0, v164
	v_mov_b32_e32 v22, 0
	s_and_not1_b32 s13, s13, exec_lo
	s_delay_alu instid0(VALU_DEP_2) | instskip(NEXT) | instid1(SALU_CYCLE_1)
	s_and_b32 vcc_lo, vcc_lo, exec_lo
	s_or_b32 s13, s13, vcc_lo
	s_or_b32 exec_lo, exec_lo, s37
	s_and_saveexec_b32 s36, s13
	s_cbranch_execnz .LBB4_761
	s_branch .LBB4_762
.LBB4_1528:                             ;   in Loop: Header=BB4_394 Depth=4
	s_mov_b32 s36, -1
	s_mov_b32 s38, exec_lo
                                        ; implicit-def: $sgpr37
	v_cmpx_eq_u16_e64 0x80, v164
; %bb.1529:                             ;   in Loop: Header=BB4_394 Depth=4
	s_mov_b32 s37, 0x7f800001
	s_xor_b32 s36, exec_lo, -1
; %bb.1530:                             ;   in Loop: Header=BB4_394 Depth=4
	s_or_b32 exec_lo, exec_lo, s38
	s_delay_alu instid0(SALU_CYCLE_1)
	s_and_b32 s36, s36, exec_lo
	s_or_saveexec_b32 s13, s13
	v_mov_b32_e32 v165, s37
	s_xor_b32 exec_lo, exec_lo, s13
	s_cbranch_execz .LBB4_774
.LBB4_1531:                             ;   in Loop: Header=BB4_394 Depth=4
	v_cmp_ne_u16_e64 vcc_lo, 0, v164
	v_mov_b32_e32 v165, 0
	s_and_not1_b32 s36, s36, exec_lo
	s_delay_alu instid0(VALU_DEP_2) | instskip(NEXT) | instid1(SALU_CYCLE_1)
	s_and_b32 vcc_lo, vcc_lo, exec_lo
	s_or_b32 s36, s36, vcc_lo
	s_or_b32 exec_lo, exec_lo, s13
	s_and_saveexec_b32 s13, s36
	s_cbranch_execnz .LBB4_775
	s_branch .LBB4_776
.LBB4_1532:                             ;   in Loop: Header=BB4_394 Depth=4
	s_mov_b32 s13, -1
	s_mov_b32 s38, exec_lo
                                        ; implicit-def: $sgpr36
	v_cmpx_eq_u16_e64 0x80, v163
; %bb.1533:                             ;   in Loop: Header=BB4_394 Depth=4
	s_mov_b32 s36, 0x7f800001
	s_xor_b32 s13, exec_lo, -1
; %bb.1534:                             ;   in Loop: Header=BB4_394 Depth=4
	s_or_b32 exec_lo, exec_lo, s38
	s_delay_alu instid0(SALU_CYCLE_1)
	s_and_b32 s13, s13, exec_lo
	s_or_saveexec_b32 s37, s37
	v_mov_b32_e32 v166, s36
	s_xor_b32 exec_lo, exec_lo, s37
	s_cbranch_execz .LBB4_778
.LBB4_1535:                             ;   in Loop: Header=BB4_394 Depth=4
	v_cmp_ne_u16_e64 vcc_lo, 0, v163
	v_mov_b32_e32 v166, 0
	s_and_not1_b32 s13, s13, exec_lo
	s_delay_alu instid0(VALU_DEP_2) | instskip(NEXT) | instid1(SALU_CYCLE_1)
	s_and_b32 vcc_lo, vcc_lo, exec_lo
	s_or_b32 s13, s13, vcc_lo
	s_or_b32 exec_lo, exec_lo, s37
	s_and_saveexec_b32 s36, s13
	s_cbranch_execnz .LBB4_779
	s_branch .LBB4_780
.LBB4_1536:                             ;   in Loop: Header=BB4_394 Depth=4
	s_mov_b32 s13, -1
	s_mov_b32 s38, exec_lo
                                        ; implicit-def: $sgpr36
	v_cmpx_eq_u16_e64 0x80, v164
; %bb.1537:                             ;   in Loop: Header=BB4_394 Depth=4
	s_mov_b32 s36, 0x7f800001
	s_xor_b32 s13, exec_lo, -1
; %bb.1538:                             ;   in Loop: Header=BB4_394 Depth=4
	s_or_b32 exec_lo, exec_lo, s38
	s_delay_alu instid0(SALU_CYCLE_1)
	s_and_b32 s13, s13, exec_lo
	s_or_saveexec_b32 s37, s37
	v_mov_b32_e32 v165, s36
	s_xor_b32 exec_lo, exec_lo, s37
	s_cbranch_execz .LBB4_785
.LBB4_1539:                             ;   in Loop: Header=BB4_394 Depth=4
	v_cmp_ne_u16_e64 vcc_lo, 0, v164
	v_mov_b32_e32 v165, 0
	s_and_not1_b32 s13, s13, exec_lo
	s_delay_alu instid0(VALU_DEP_2) | instskip(NEXT) | instid1(SALU_CYCLE_1)
	s_and_b32 vcc_lo, vcc_lo, exec_lo
	s_or_b32 s13, s13, vcc_lo
	s_or_b32 exec_lo, exec_lo, s37
	s_and_saveexec_b32 s36, s13
	s_cbranch_execnz .LBB4_786
	s_branch .LBB4_787
.LBB4_1540:                             ;   in Loop: Header=BB4_394 Depth=4
	s_mov_b32 s13, -1
	s_mov_b32 s38, exec_lo
                                        ; implicit-def: $sgpr36
	v_cmpx_eq_u16_e64 0x80, v163
; %bb.1541:                             ;   in Loop: Header=BB4_394 Depth=4
	s_mov_b32 s36, 0x7f800001
	s_xor_b32 s13, exec_lo, -1
; %bb.1542:                             ;   in Loop: Header=BB4_394 Depth=4
	s_or_b32 exec_lo, exec_lo, s38
	s_delay_alu instid0(SALU_CYCLE_1)
	s_and_b32 s13, s13, exec_lo
	s_or_saveexec_b32 s37, s37
	v_mov_b32_e32 v164, s36
	s_xor_b32 exec_lo, exec_lo, s37
	s_cbranch_execz .LBB4_789
.LBB4_1543:                             ;   in Loop: Header=BB4_394 Depth=4
	v_cmp_ne_u16_e64 vcc_lo, 0, v163
	v_mov_b32_e32 v164, 0
	s_and_not1_b32 s13, s13, exec_lo
	s_delay_alu instid0(VALU_DEP_2) | instskip(NEXT) | instid1(SALU_CYCLE_1)
	s_and_b32 vcc_lo, vcc_lo, exec_lo
	s_or_b32 s13, s13, vcc_lo
	s_or_b32 exec_lo, exec_lo, s37
	s_and_saveexec_b32 s36, s13
	s_cbranch_execnz .LBB4_790
	s_branch .LBB4_791
.LBB4_1544:                             ;   in Loop: Header=BB4_394 Depth=4
	s_mov_b32 s36, -1
	s_mov_b32 s38, exec_lo
                                        ; implicit-def: $sgpr37
	v_cmpx_eq_u16_e64 0x80, v166
; %bb.1545:                             ;   in Loop: Header=BB4_394 Depth=4
	s_mov_b32 s37, 0x7f800001
	s_xor_b32 s36, exec_lo, -1
; %bb.1546:                             ;   in Loop: Header=BB4_394 Depth=4
	s_or_b32 exec_lo, exec_lo, s38
	s_delay_alu instid0(SALU_CYCLE_1)
	s_and_b32 s36, s36, exec_lo
	s_or_saveexec_b32 s13, s13
	v_mov_b32_e32 v167, s37
	s_xor_b32 exec_lo, exec_lo, s13
	s_cbranch_execz .LBB4_803
.LBB4_1547:                             ;   in Loop: Header=BB4_394 Depth=4
	v_cmp_ne_u16_e64 vcc_lo, 0, v166
	v_mov_b32_e32 v167, 0
	s_and_not1_b32 s36, s36, exec_lo
	s_delay_alu instid0(VALU_DEP_2) | instskip(NEXT) | instid1(SALU_CYCLE_1)
	s_and_b32 vcc_lo, vcc_lo, exec_lo
	s_or_b32 s36, s36, vcc_lo
	s_or_b32 exec_lo, exec_lo, s13
	s_and_saveexec_b32 s13, s36
	s_cbranch_execnz .LBB4_804
	s_branch .LBB4_805
.LBB4_1548:                             ;   in Loop: Header=BB4_394 Depth=4
	s_mov_b32 s13, -1
	s_mov_b32 s38, exec_lo
                                        ; implicit-def: $sgpr36
	v_cmpx_eq_u16_e64 0x80, v177
; %bb.1549:                             ;   in Loop: Header=BB4_394 Depth=4
	s_mov_b32 s36, 0x7f800001
	s_xor_b32 s13, exec_lo, -1
; %bb.1550:                             ;   in Loop: Header=BB4_394 Depth=4
	s_or_b32 exec_lo, exec_lo, s38
	s_delay_alu instid0(SALU_CYCLE_1)
	s_and_b32 s13, s13, exec_lo
                                        ; implicit-def: $vgpr177
	s_or_saveexec_b32 s37, s37
	v_mov_b32_e32 v176, s36
	s_xor_b32 exec_lo, exec_lo, s37
	s_cbranch_execz .LBB4_807
.LBB4_1551:                             ;   in Loop: Header=BB4_394 Depth=4
	v_cmp_ne_u16_e64 vcc_lo, 0, v177
	v_mov_b32_e32 v176, 0
	s_and_not1_b32 s13, s13, exec_lo
	s_delay_alu instid0(VALU_DEP_2) | instskip(NEXT) | instid1(SALU_CYCLE_1)
	s_and_b32 vcc_lo, vcc_lo, exec_lo
	s_or_b32 s13, s13, vcc_lo
	s_or_b32 exec_lo, exec_lo, s37
	s_and_saveexec_b32 s36, s13
	s_cbranch_execnz .LBB4_808
	s_branch .LBB4_809
.LBB4_1552:                             ;   in Loop: Header=BB4_394 Depth=4
	s_mov_b32 s13, -1
	s_mov_b32 s38, exec_lo
                                        ; implicit-def: $sgpr36
	v_cmpx_eq_u16_e64 0x80, v166
; %bb.1553:                             ;   in Loop: Header=BB4_394 Depth=4
	s_mov_b32 s36, 0x7f800001
	s_xor_b32 s13, exec_lo, -1
; %bb.1554:                             ;   in Loop: Header=BB4_394 Depth=4
	s_or_b32 exec_lo, exec_lo, s38
	s_delay_alu instid0(SALU_CYCLE_1)
	s_and_b32 s13, s13, exec_lo
                                        ; implicit-def: $vgpr166
	s_or_saveexec_b32 s37, s37
	v_mov_b32_e32 v167, s36
	s_xor_b32 exec_lo, exec_lo, s37
	s_cbranch_execz .LBB4_814
.LBB4_1555:                             ;   in Loop: Header=BB4_394 Depth=4
	v_cmp_ne_u16_e64 vcc_lo, 0, v166
	v_mov_b32_e32 v167, 0
	s_and_not1_b32 s13, s13, exec_lo
	s_delay_alu instid0(VALU_DEP_2) | instskip(NEXT) | instid1(SALU_CYCLE_1)
	s_and_b32 vcc_lo, vcc_lo, exec_lo
	s_or_b32 s13, s13, vcc_lo
	s_or_b32 exec_lo, exec_lo, s37
	s_and_saveexec_b32 s36, s13
	s_cbranch_execnz .LBB4_815
	s_branch .LBB4_816
.LBB4_1556:                             ;   in Loop: Header=BB4_394 Depth=4
	s_mov_b32 s13, -1
	s_mov_b32 s38, exec_lo
                                        ; implicit-def: $sgpr36
	v_cmpx_eq_u16_e64 0x80, v166
; %bb.1557:                             ;   in Loop: Header=BB4_394 Depth=4
	s_mov_b32 s36, 0x7f800001
	s_xor_b32 s13, exec_lo, -1
; %bb.1558:                             ;   in Loop: Header=BB4_394 Depth=4
	s_or_b32 exec_lo, exec_lo, s38
	s_delay_alu instid0(SALU_CYCLE_1)
	s_and_b32 s13, s13, exec_lo
                                        ; implicit-def: $vgpr166
	s_or_saveexec_b32 s37, s37
	v_mov_b32_e32 v165, s36
	s_xor_b32 exec_lo, exec_lo, s37
	s_cbranch_execz .LBB4_818
.LBB4_1559:                             ;   in Loop: Header=BB4_394 Depth=4
	v_cmp_ne_u16_e64 vcc_lo, 0, v166
	v_mov_b32_e32 v165, 0
	s_and_not1_b32 s13, s13, exec_lo
	s_delay_alu instid0(VALU_DEP_2) | instskip(NEXT) | instid1(SALU_CYCLE_1)
	s_and_b32 vcc_lo, vcc_lo, exec_lo
	s_or_b32 s13, s13, vcc_lo
	s_or_b32 exec_lo, exec_lo, s37
	s_and_saveexec_b32 s36, s13
	s_cbranch_execnz .LBB4_819
	s_branch .LBB4_820
.LBB4_1560:                             ;   in Loop: Header=BB4_394 Depth=4
	s_mov_b32 s36, -1
	s_mov_b32 s38, exec_lo
                                        ; implicit-def: $sgpr37
	v_cmpx_eq_u16_e64 0x80, v166
; %bb.1561:                             ;   in Loop: Header=BB4_394 Depth=4
	s_mov_b32 s37, 0x7f800001
	s_xor_b32 s36, exec_lo, -1
; %bb.1562:                             ;   in Loop: Header=BB4_394 Depth=4
	s_or_b32 exec_lo, exec_lo, s38
	s_delay_alu instid0(SALU_CYCLE_1)
	s_and_b32 s36, s36, exec_lo
	s_or_saveexec_b32 s13, s13
	v_mov_b32_e32 v167, s37
	s_xor_b32 exec_lo, exec_lo, s13
	s_cbranch_execz .LBB4_832
.LBB4_1563:                             ;   in Loop: Header=BB4_394 Depth=4
	v_cmp_ne_u16_e64 vcc_lo, 0, v166
	v_mov_b32_e32 v167, 0
	s_and_not1_b32 s36, s36, exec_lo
	s_delay_alu instid0(VALU_DEP_2) | instskip(NEXT) | instid1(SALU_CYCLE_1)
	s_and_b32 vcc_lo, vcc_lo, exec_lo
	s_or_b32 s36, s36, vcc_lo
	s_or_b32 exec_lo, exec_lo, s13
	s_and_saveexec_b32 s13, s36
	s_cbranch_execnz .LBB4_833
	s_branch .LBB4_834
.LBB4_1564:                             ;   in Loop: Header=BB4_394 Depth=4
	s_mov_b32 s13, -1
	s_mov_b32 s38, exec_lo
                                        ; implicit-def: $sgpr36
	v_cmpx_eq_u16_e64 0x80, v165
; %bb.1565:                             ;   in Loop: Header=BB4_394 Depth=4
	s_mov_b32 s36, 0x7f800001
	s_xor_b32 s13, exec_lo, -1
; %bb.1566:                             ;   in Loop: Header=BB4_394 Depth=4
	s_or_b32 exec_lo, exec_lo, s38
	s_delay_alu instid0(SALU_CYCLE_1)
	s_and_b32 s13, s13, exec_lo
	s_or_saveexec_b32 s37, s37
	v_mov_b32_e32 v176, s36
	s_xor_b32 exec_lo, exec_lo, s37
	s_cbranch_execz .LBB4_836
.LBB4_1567:                             ;   in Loop: Header=BB4_394 Depth=4
	v_cmp_ne_u16_e64 vcc_lo, 0, v165
	v_mov_b32_e32 v176, 0
	s_and_not1_b32 s13, s13, exec_lo
	s_delay_alu instid0(VALU_DEP_2) | instskip(NEXT) | instid1(SALU_CYCLE_1)
	s_and_b32 vcc_lo, vcc_lo, exec_lo
	s_or_b32 s13, s13, vcc_lo
	s_or_b32 exec_lo, exec_lo, s37
	s_and_saveexec_b32 s36, s13
	s_cbranch_execnz .LBB4_837
	s_branch .LBB4_838
.LBB4_1568:                             ;   in Loop: Header=BB4_394 Depth=4
	s_mov_b32 s13, -1
	s_mov_b32 s38, exec_lo
                                        ; implicit-def: $sgpr36
	v_cmpx_eq_u16_e64 0x80, v166
; %bb.1569:                             ;   in Loop: Header=BB4_394 Depth=4
	s_mov_b32 s36, 0x7f800001
	s_xor_b32 s13, exec_lo, -1
; %bb.1570:                             ;   in Loop: Header=BB4_394 Depth=4
	s_or_b32 exec_lo, exec_lo, s38
	s_delay_alu instid0(SALU_CYCLE_1)
	s_and_b32 s13, s13, exec_lo
	s_or_saveexec_b32 s37, s37
	v_mov_b32_e32 v167, s36
	s_xor_b32 exec_lo, exec_lo, s37
	s_cbranch_execz .LBB4_843
.LBB4_1571:                             ;   in Loop: Header=BB4_394 Depth=4
	v_cmp_ne_u16_e64 vcc_lo, 0, v166
	v_mov_b32_e32 v167, 0
	s_and_not1_b32 s13, s13, exec_lo
	s_delay_alu instid0(VALU_DEP_2) | instskip(NEXT) | instid1(SALU_CYCLE_1)
	s_and_b32 vcc_lo, vcc_lo, exec_lo
	s_or_b32 s13, s13, vcc_lo
	s_or_b32 exec_lo, exec_lo, s37
	s_and_saveexec_b32 s36, s13
	s_cbranch_execnz .LBB4_844
	s_branch .LBB4_845
.LBB4_1572:                             ;   in Loop: Header=BB4_394 Depth=4
	s_mov_b32 s13, -1
	s_mov_b32 s38, exec_lo
                                        ; implicit-def: $sgpr36
	v_cmpx_eq_u16_e64 0x80, v165
; %bb.1573:                             ;   in Loop: Header=BB4_394 Depth=4
	s_mov_b32 s36, 0x7f800001
	s_xor_b32 s13, exec_lo, -1
; %bb.1574:                             ;   in Loop: Header=BB4_394 Depth=4
	s_or_b32 exec_lo, exec_lo, s38
	s_delay_alu instid0(SALU_CYCLE_1)
	s_and_b32 s13, s13, exec_lo
	s_or_saveexec_b32 s37, s37
	v_mov_b32_e32 v23, s36
	s_xor_b32 exec_lo, exec_lo, s37
	s_cbranch_execz .LBB4_847
.LBB4_1575:                             ;   in Loop: Header=BB4_394 Depth=4
	v_cmp_ne_u16_e64 vcc_lo, 0, v165
	v_mov_b32_e32 v23, 0
	s_and_not1_b32 s13, s13, exec_lo
	s_delay_alu instid0(VALU_DEP_2) | instskip(NEXT) | instid1(SALU_CYCLE_1)
	s_and_b32 vcc_lo, vcc_lo, exec_lo
	s_or_b32 s13, s13, vcc_lo
	s_or_b32 exec_lo, exec_lo, s37
	s_and_saveexec_b32 s36, s13
	s_cbranch_execnz .LBB4_848
	s_branch .LBB4_849
.LBB4_1576:                             ;   in Loop: Header=BB4_394 Depth=4
	s_mov_b32 s36, -1
	s_mov_b32 s38, exec_lo
                                        ; implicit-def: $sgpr37
	v_cmpx_eq_u16_e32 0x80, v23
; %bb.1577:                             ;   in Loop: Header=BB4_394 Depth=4
	s_mov_b32 s37, 0x7f800001
	s_xor_b32 s36, exec_lo, -1
; %bb.1578:                             ;   in Loop: Header=BB4_394 Depth=4
	s_or_b32 exec_lo, exec_lo, s38
	s_delay_alu instid0(SALU_CYCLE_1)
	s_and_b32 s36, s36, exec_lo
	s_or_saveexec_b32 s13, s13
	v_mov_b32_e32 v165, s37
	s_xor_b32 exec_lo, exec_lo, s13
	s_cbranch_execz .LBB4_861
.LBB4_1579:                             ;   in Loop: Header=BB4_394 Depth=4
	v_cmp_ne_u16_e32 vcc_lo, 0, v23
	v_mov_b32_e32 v165, 0
	s_and_not1_b32 s36, s36, exec_lo
	s_and_b32 vcc_lo, vcc_lo, exec_lo
	s_delay_alu instid0(SALU_CYCLE_1)
	s_or_b32 s36, s36, vcc_lo
	s_or_b32 exec_lo, exec_lo, s13
	s_and_saveexec_b32 s13, s36
	s_cbranch_execnz .LBB4_862
	s_branch .LBB4_863
.LBB4_1580:                             ;   in Loop: Header=BB4_394 Depth=4
	s_mov_b32 s13, -1
	s_mov_b32 s38, exec_lo
                                        ; implicit-def: $sgpr36
	v_cmpx_eq_u16_e64 0x80, v167
; %bb.1581:                             ;   in Loop: Header=BB4_394 Depth=4
	s_mov_b32 s36, 0x7f800001
	s_xor_b32 s13, exec_lo, -1
; %bb.1582:                             ;   in Loop: Header=BB4_394 Depth=4
	s_or_b32 exec_lo, exec_lo, s38
	s_delay_alu instid0(SALU_CYCLE_1)
	s_and_b32 s13, s13, exec_lo
                                        ; implicit-def: $vgpr167
	s_or_saveexec_b32 s37, s37
	v_mov_b32_e32 v166, s36
	s_xor_b32 exec_lo, exec_lo, s37
	s_cbranch_execz .LBB4_865
.LBB4_1583:                             ;   in Loop: Header=BB4_394 Depth=4
	v_cmp_ne_u16_e64 vcc_lo, 0, v167
	v_mov_b32_e32 v166, 0
	s_and_not1_b32 s13, s13, exec_lo
	s_delay_alu instid0(VALU_DEP_2) | instskip(NEXT) | instid1(SALU_CYCLE_1)
	s_and_b32 vcc_lo, vcc_lo, exec_lo
	s_or_b32 s13, s13, vcc_lo
	s_or_b32 exec_lo, exec_lo, s37
	s_and_saveexec_b32 s36, s13
	s_cbranch_execnz .LBB4_866
	s_branch .LBB4_867
.LBB4_1584:                             ;   in Loop: Header=BB4_394 Depth=4
	s_mov_b32 s13, -1
	s_mov_b32 s38, exec_lo
                                        ; implicit-def: $sgpr36
	v_cmpx_eq_u16_e32 0x80, v23
; %bb.1585:                             ;   in Loop: Header=BB4_394 Depth=4
	s_mov_b32 s36, 0x7f800001
	s_xor_b32 s13, exec_lo, -1
; %bb.1586:                             ;   in Loop: Header=BB4_394 Depth=4
	s_or_b32 exec_lo, exec_lo, s38
	s_delay_alu instid0(SALU_CYCLE_1)
	s_and_b32 s13, s13, exec_lo
                                        ; implicit-def: $vgpr23
	s_or_saveexec_b32 s37, s37
	v_mov_b32_e32 v165, s36
	s_xor_b32 exec_lo, exec_lo, s37
	s_cbranch_execz .LBB4_872
.LBB4_1587:                             ;   in Loop: Header=BB4_394 Depth=4
	v_cmp_ne_u16_e32 vcc_lo, 0, v23
	v_mov_b32_e32 v165, 0
	s_and_not1_b32 s13, s13, exec_lo
	s_and_b32 vcc_lo, vcc_lo, exec_lo
	s_delay_alu instid0(SALU_CYCLE_1)
	s_or_b32 s13, s13, vcc_lo
	s_or_b32 exec_lo, exec_lo, s37
	s_and_saveexec_b32 s36, s13
	s_cbranch_execnz .LBB4_873
	s_branch .LBB4_874
.LBB4_1588:                             ;   in Loop: Header=BB4_394 Depth=4
	s_mov_b32 s13, -1
	s_mov_b32 s38, exec_lo
                                        ; implicit-def: $sgpr36
	v_cmpx_eq_u16_e64 0x80, v166
; %bb.1589:                             ;   in Loop: Header=BB4_394 Depth=4
	s_mov_b32 s36, 0x7f800001
	s_xor_b32 s13, exec_lo, -1
; %bb.1590:                             ;   in Loop: Header=BB4_394 Depth=4
	s_or_b32 exec_lo, exec_lo, s38
	s_delay_alu instid0(SALU_CYCLE_1)
	s_and_b32 s13, s13, exec_lo
                                        ; implicit-def: $vgpr166
	s_or_saveexec_b32 s37, s37
	v_mov_b32_e32 v23, s36
	s_xor_b32 exec_lo, exec_lo, s37
	s_cbranch_execz .LBB4_876
.LBB4_1591:                             ;   in Loop: Header=BB4_394 Depth=4
	v_cmp_ne_u16_e64 vcc_lo, 0, v166
	v_mov_b32_e32 v23, 0
	s_and_not1_b32 s13, s13, exec_lo
	s_delay_alu instid0(VALU_DEP_2) | instskip(NEXT) | instid1(SALU_CYCLE_1)
	s_and_b32 vcc_lo, vcc_lo, exec_lo
	s_or_b32 s13, s13, vcc_lo
	s_or_b32 exec_lo, exec_lo, s37
	s_and_saveexec_b32 s36, s13
	s_cbranch_execnz .LBB4_877
	s_branch .LBB4_878
.LBB4_1592:                             ;   in Loop: Header=BB4_394 Depth=4
	s_mov_b32 s36, -1
	s_mov_b32 s38, exec_lo
                                        ; implicit-def: $sgpr37
	v_cmpx_eq_u16_e64 0x80, v166
; %bb.1593:                             ;   in Loop: Header=BB4_394 Depth=4
	s_mov_b32 s37, 0x7f800001
	s_xor_b32 s36, exec_lo, -1
; %bb.1594:                             ;   in Loop: Header=BB4_394 Depth=4
	s_or_b32 exec_lo, exec_lo, s38
	s_delay_alu instid0(SALU_CYCLE_1)
	s_and_b32 s36, s36, exec_lo
	s_or_saveexec_b32 s13, s13
	v_mov_b32_e32 v167, s37
	s_xor_b32 exec_lo, exec_lo, s13
	s_cbranch_execz .LBB4_890
.LBB4_1595:                             ;   in Loop: Header=BB4_394 Depth=4
	v_cmp_ne_u16_e64 vcc_lo, 0, v166
	v_mov_b32_e32 v167, 0
	s_and_not1_b32 s36, s36, exec_lo
	s_delay_alu instid0(VALU_DEP_2) | instskip(NEXT) | instid1(SALU_CYCLE_1)
	s_and_b32 vcc_lo, vcc_lo, exec_lo
	s_or_b32 s36, s36, vcc_lo
	s_or_b32 exec_lo, exec_lo, s13
	s_and_saveexec_b32 s13, s36
	s_cbranch_execnz .LBB4_891
	s_branch .LBB4_892
.LBB4_1596:                             ;   in Loop: Header=BB4_394 Depth=4
	s_mov_b32 s13, -1
	s_mov_b32 s38, exec_lo
                                        ; implicit-def: $sgpr36
	v_cmpx_eq_u16_e64 0x80, v165
; %bb.1597:                             ;   in Loop: Header=BB4_394 Depth=4
	s_mov_b32 s36, 0x7f800001
	s_xor_b32 s13, exec_lo, -1
; %bb.1598:                             ;   in Loop: Header=BB4_394 Depth=4
	s_or_b32 exec_lo, exec_lo, s38
	s_delay_alu instid0(SALU_CYCLE_1)
	s_and_b32 s13, s13, exec_lo
	s_or_saveexec_b32 s37, s37
	v_mov_b32_e32 v176, s36
	s_xor_b32 exec_lo, exec_lo, s37
	s_cbranch_execz .LBB4_894
.LBB4_1599:                             ;   in Loop: Header=BB4_394 Depth=4
	v_cmp_ne_u16_e64 vcc_lo, 0, v165
	v_mov_b32_e32 v176, 0
	s_and_not1_b32 s13, s13, exec_lo
	s_delay_alu instid0(VALU_DEP_2) | instskip(NEXT) | instid1(SALU_CYCLE_1)
	s_and_b32 vcc_lo, vcc_lo, exec_lo
	s_or_b32 s13, s13, vcc_lo
	s_or_b32 exec_lo, exec_lo, s37
	s_and_saveexec_b32 s36, s13
	s_cbranch_execnz .LBB4_895
	s_branch .LBB4_896
.LBB4_1600:                             ;   in Loop: Header=BB4_394 Depth=4
	s_mov_b32 s13, -1
	s_mov_b32 s38, exec_lo
                                        ; implicit-def: $sgpr36
	v_cmpx_eq_u16_e64 0x80, v166
; %bb.1601:                             ;   in Loop: Header=BB4_394 Depth=4
	s_mov_b32 s36, 0x7f800001
	s_xor_b32 s13, exec_lo, -1
; %bb.1602:                             ;   in Loop: Header=BB4_394 Depth=4
	s_or_b32 exec_lo, exec_lo, s38
	s_delay_alu instid0(SALU_CYCLE_1)
	s_and_b32 s13, s13, exec_lo
	s_or_saveexec_b32 s37, s37
	v_mov_b32_e32 v167, s36
	s_xor_b32 exec_lo, exec_lo, s37
	s_cbranch_execz .LBB4_901
.LBB4_1603:                             ;   in Loop: Header=BB4_394 Depth=4
	v_cmp_ne_u16_e64 vcc_lo, 0, v166
	v_mov_b32_e32 v167, 0
	s_and_not1_b32 s13, s13, exec_lo
	s_delay_alu instid0(VALU_DEP_2) | instskip(NEXT) | instid1(SALU_CYCLE_1)
	s_and_b32 vcc_lo, vcc_lo, exec_lo
	s_or_b32 s13, s13, vcc_lo
	s_or_b32 exec_lo, exec_lo, s37
	s_and_saveexec_b32 s36, s13
	s_cbranch_execnz .LBB4_902
	s_branch .LBB4_903
.LBB4_1604:                             ;   in Loop: Header=BB4_394 Depth=4
	s_mov_b32 s13, -1
	s_mov_b32 s38, exec_lo
                                        ; implicit-def: $sgpr36
	v_cmpx_eq_u16_e64 0x80, v165
; %bb.1605:                             ;   in Loop: Header=BB4_394 Depth=4
	s_mov_b32 s36, 0x7f800001
	s_xor_b32 s13, exec_lo, -1
; %bb.1606:                             ;   in Loop: Header=BB4_394 Depth=4
	s_or_b32 exec_lo, exec_lo, s38
	s_delay_alu instid0(SALU_CYCLE_1)
	s_and_b32 s13, s13, exec_lo
	s_or_saveexec_b32 s37, s37
	v_mov_b32_e32 v166, s36
	s_xor_b32 exec_lo, exec_lo, s37
	s_cbranch_execz .LBB4_905
.LBB4_1607:                             ;   in Loop: Header=BB4_394 Depth=4
	v_cmp_ne_u16_e64 vcc_lo, 0, v165
	v_mov_b32_e32 v166, 0
	s_and_not1_b32 s13, s13, exec_lo
	s_delay_alu instid0(VALU_DEP_2) | instskip(NEXT) | instid1(SALU_CYCLE_1)
	s_and_b32 vcc_lo, vcc_lo, exec_lo
	s_or_b32 s13, s13, vcc_lo
	s_or_b32 exec_lo, exec_lo, s37
	s_and_saveexec_b32 s36, s13
	s_cbranch_execnz .LBB4_906
	s_branch .LBB4_907
.LBB4_1608:                             ;   in Loop: Header=BB4_394 Depth=4
	s_mov_b32 s36, -1
	s_mov_b32 s38, exec_lo
                                        ; implicit-def: $sgpr37
	v_cmpx_eq_u16_e64 0x80, v176
; %bb.1609:                             ;   in Loop: Header=BB4_394 Depth=4
	s_mov_b32 s37, 0x7f800001
	s_xor_b32 s36, exec_lo, -1
; %bb.1610:                             ;   in Loop: Header=BB4_394 Depth=4
	s_or_b32 exec_lo, exec_lo, s38
	s_delay_alu instid0(SALU_CYCLE_1)
	s_and_b32 s36, s36, exec_lo
	s_or_saveexec_b32 s13, s13
	v_mov_b32_e32 v177, s37
	s_xor_b32 exec_lo, exec_lo, s13
	s_cbranch_execz .LBB4_919
.LBB4_1611:                             ;   in Loop: Header=BB4_394 Depth=4
	v_cmp_ne_u16_e64 vcc_lo, 0, v176
	v_mov_b32_e32 v177, 0
	s_and_not1_b32 s36, s36, exec_lo
	s_delay_alu instid0(VALU_DEP_2) | instskip(NEXT) | instid1(SALU_CYCLE_1)
	s_and_b32 vcc_lo, vcc_lo, exec_lo
	s_or_b32 s36, s36, vcc_lo
	s_or_b32 exec_lo, exec_lo, s13
	s_and_saveexec_b32 s13, s36
	s_cbranch_execnz .LBB4_920
	s_branch .LBB4_921
.LBB4_1612:                             ;   in Loop: Header=BB4_394 Depth=4
	s_mov_b32 s13, -1
	s_mov_b32 s38, exec_lo
                                        ; implicit-def: $sgpr36
	v_cmpx_eq_u16_e64 0x80, v179
; %bb.1613:                             ;   in Loop: Header=BB4_394 Depth=4
	s_mov_b32 s36, 0x7f800001
	s_xor_b32 s13, exec_lo, -1
; %bb.1614:                             ;   in Loop: Header=BB4_394 Depth=4
	s_or_b32 exec_lo, exec_lo, s38
	s_delay_alu instid0(SALU_CYCLE_1)
	s_and_b32 s13, s13, exec_lo
                                        ; implicit-def: $vgpr179
	s_or_saveexec_b32 s37, s37
	v_mov_b32_e32 v178, s36
	s_xor_b32 exec_lo, exec_lo, s37
	s_cbranch_execz .LBB4_923
.LBB4_1615:                             ;   in Loop: Header=BB4_394 Depth=4
	v_cmp_ne_u16_e64 vcc_lo, 0, v179
	v_mov_b32_e32 v178, 0
	s_and_not1_b32 s13, s13, exec_lo
	s_delay_alu instid0(VALU_DEP_2) | instskip(NEXT) | instid1(SALU_CYCLE_1)
	s_and_b32 vcc_lo, vcc_lo, exec_lo
	s_or_b32 s13, s13, vcc_lo
	s_or_b32 exec_lo, exec_lo, s37
	s_and_saveexec_b32 s36, s13
	s_cbranch_execnz .LBB4_924
	s_branch .LBB4_925
.LBB4_1616:                             ;   in Loop: Header=BB4_394 Depth=4
	s_mov_b32 s13, -1
	s_mov_b32 s38, exec_lo
                                        ; implicit-def: $sgpr36
	v_cmpx_eq_u16_e64 0x80, v176
; %bb.1617:                             ;   in Loop: Header=BB4_394 Depth=4
	s_mov_b32 s36, 0x7f800001
	s_xor_b32 s13, exec_lo, -1
; %bb.1618:                             ;   in Loop: Header=BB4_394 Depth=4
	s_or_b32 exec_lo, exec_lo, s38
	s_delay_alu instid0(SALU_CYCLE_1)
	s_and_b32 s13, s13, exec_lo
                                        ; implicit-def: $vgpr176
	s_or_saveexec_b32 s37, s37
	v_mov_b32_e32 v177, s36
	s_xor_b32 exec_lo, exec_lo, s37
	s_cbranch_execz .LBB4_930
.LBB4_1619:                             ;   in Loop: Header=BB4_394 Depth=4
	v_cmp_ne_u16_e64 vcc_lo, 0, v176
	v_mov_b32_e32 v177, 0
	s_and_not1_b32 s13, s13, exec_lo
	s_delay_alu instid0(VALU_DEP_2) | instskip(NEXT) | instid1(SALU_CYCLE_1)
	s_and_b32 vcc_lo, vcc_lo, exec_lo
	s_or_b32 s13, s13, vcc_lo
	s_or_b32 exec_lo, exec_lo, s37
	s_and_saveexec_b32 s36, s13
	s_cbranch_execnz .LBB4_931
	s_branch .LBB4_932
.LBB4_1620:                             ;   in Loop: Header=BB4_394 Depth=4
	s_mov_b32 s13, -1
	s_mov_b32 s38, exec_lo
                                        ; implicit-def: $sgpr36
	v_cmpx_eq_u16_e64 0x80, v176
; %bb.1621:                             ;   in Loop: Header=BB4_394 Depth=4
	s_mov_b32 s36, 0x7f800001
	s_xor_b32 s13, exec_lo, -1
; %bb.1622:                             ;   in Loop: Header=BB4_394 Depth=4
	s_or_b32 exec_lo, exec_lo, s38
	s_delay_alu instid0(SALU_CYCLE_1)
	s_and_b32 s13, s13, exec_lo
                                        ; implicit-def: $vgpr176
	s_or_saveexec_b32 s37, s37
	v_mov_b32_e32 v167, s36
	s_xor_b32 exec_lo, exec_lo, s37
	s_cbranch_execz .LBB4_934
.LBB4_1623:                             ;   in Loop: Header=BB4_394 Depth=4
	v_cmp_ne_u16_e64 vcc_lo, 0, v176
	v_mov_b32_e32 v167, 0
	s_and_not1_b32 s13, s13, exec_lo
	s_delay_alu instid0(VALU_DEP_2) | instskip(NEXT) | instid1(SALU_CYCLE_1)
	s_and_b32 vcc_lo, vcc_lo, exec_lo
	s_or_b32 s13, s13, vcc_lo
	s_or_b32 exec_lo, exec_lo, s37
	s_and_saveexec_b32 s36, s13
	s_cbranch_execnz .LBB4_935
	s_branch .LBB4_936
.LBB4_1624:                             ;   in Loop: Header=BB4_394 Depth=4
	s_mov_b32 s36, -1
	s_mov_b32 s38, exec_lo
                                        ; implicit-def: $sgpr37
	v_cmpx_eq_u16_e64 0x80, v176
; %bb.1625:                             ;   in Loop: Header=BB4_394 Depth=4
	s_mov_b32 s37, 0x7f800001
	s_xor_b32 s36, exec_lo, -1
; %bb.1626:                             ;   in Loop: Header=BB4_394 Depth=4
	s_or_b32 exec_lo, exec_lo, s38
	s_delay_alu instid0(SALU_CYCLE_1)
	s_and_b32 s36, s36, exec_lo
	s_or_saveexec_b32 s13, s13
	v_mov_b32_e32 v177, s37
	s_xor_b32 exec_lo, exec_lo, s13
	s_cbranch_execz .LBB4_948
.LBB4_1627:                             ;   in Loop: Header=BB4_394 Depth=4
	v_cmp_ne_u16_e64 vcc_lo, 0, v176
	v_mov_b32_e32 v177, 0
	s_and_not1_b32 s36, s36, exec_lo
	s_delay_alu instid0(VALU_DEP_2) | instskip(NEXT) | instid1(SALU_CYCLE_1)
	s_and_b32 vcc_lo, vcc_lo, exec_lo
	s_or_b32 s36, s36, vcc_lo
	s_or_b32 exec_lo, exec_lo, s13
	s_and_saveexec_b32 s13, s36
	s_cbranch_execnz .LBB4_949
	s_branch .LBB4_950
.LBB4_1628:                             ;   in Loop: Header=BB4_394 Depth=4
	s_mov_b32 s13, -1
	s_mov_b32 s38, exec_lo
                                        ; implicit-def: $sgpr36
	v_cmpx_eq_u16_e64 0x80, v167
; %bb.1629:                             ;   in Loop: Header=BB4_394 Depth=4
	s_mov_b32 s36, 0x7f800001
	s_xor_b32 s13, exec_lo, -1
; %bb.1630:                             ;   in Loop: Header=BB4_394 Depth=4
	s_or_b32 exec_lo, exec_lo, s38
	s_delay_alu instid0(SALU_CYCLE_1)
	s_and_b32 s13, s13, exec_lo
	s_or_saveexec_b32 s37, s37
	v_mov_b32_e32 v178, s36
	s_xor_b32 exec_lo, exec_lo, s37
	s_cbranch_execz .LBB4_952
.LBB4_1631:                             ;   in Loop: Header=BB4_394 Depth=4
	v_cmp_ne_u16_e64 vcc_lo, 0, v167
	v_mov_b32_e32 v178, 0
	s_and_not1_b32 s13, s13, exec_lo
	s_delay_alu instid0(VALU_DEP_2) | instskip(NEXT) | instid1(SALU_CYCLE_1)
	s_and_b32 vcc_lo, vcc_lo, exec_lo
	s_or_b32 s13, s13, vcc_lo
	s_or_b32 exec_lo, exec_lo, s37
	s_and_saveexec_b32 s36, s13
	s_cbranch_execnz .LBB4_953
	s_branch .LBB4_954
.LBB4_1632:                             ;   in Loop: Header=BB4_394 Depth=4
	s_mov_b32 s13, -1
	s_mov_b32 s38, exec_lo
                                        ; implicit-def: $sgpr36
	v_cmpx_eq_u16_e64 0x80, v176
; %bb.1633:                             ;   in Loop: Header=BB4_394 Depth=4
	s_mov_b32 s36, 0x7f800001
	s_xor_b32 s13, exec_lo, -1
; %bb.1634:                             ;   in Loop: Header=BB4_394 Depth=4
	s_or_b32 exec_lo, exec_lo, s38
	s_delay_alu instid0(SALU_CYCLE_1)
	s_and_b32 s13, s13, exec_lo
	s_or_saveexec_b32 s37, s37
	v_mov_b32_e32 v177, s36
	s_xor_b32 exec_lo, exec_lo, s37
	s_cbranch_execz .LBB4_959
.LBB4_1635:                             ;   in Loop: Header=BB4_394 Depth=4
	v_cmp_ne_u16_e64 vcc_lo, 0, v176
	v_mov_b32_e32 v177, 0
	s_and_not1_b32 s13, s13, exec_lo
	s_delay_alu instid0(VALU_DEP_2) | instskip(NEXT) | instid1(SALU_CYCLE_1)
	s_and_b32 vcc_lo, vcc_lo, exec_lo
	s_or_b32 s13, s13, vcc_lo
	s_or_b32 exec_lo, exec_lo, s37
	s_and_saveexec_b32 s36, s13
	s_cbranch_execnz .LBB4_960
	s_branch .LBB4_961
.LBB4_1636:                             ;   in Loop: Header=BB4_394 Depth=4
	s_mov_b32 s13, -1
	s_mov_b32 s38, exec_lo
                                        ; implicit-def: $sgpr36
	v_cmpx_eq_u16_e64 0x80, v167
; %bb.1637:                             ;   in Loop: Header=BB4_394 Depth=4
	s_mov_b32 s36, 0x7f800001
	s_xor_b32 s13, exec_lo, -1
; %bb.1638:                             ;   in Loop: Header=BB4_394 Depth=4
	s_or_b32 exec_lo, exec_lo, s38
	s_delay_alu instid0(SALU_CYCLE_1)
	s_and_b32 s13, s13, exec_lo
	s_or_saveexec_b32 s37, s37
	v_mov_b32_e32 v12, s36
	s_xor_b32 exec_lo, exec_lo, s37
	s_cbranch_execz .LBB4_963
.LBB4_1639:                             ;   in Loop: Header=BB4_394 Depth=4
	v_cmp_ne_u16_e64 vcc_lo, 0, v167
	v_mov_b32_e32 v12, 0
	s_and_not1_b32 s13, s13, exec_lo
	s_delay_alu instid0(VALU_DEP_2) | instskip(NEXT) | instid1(SALU_CYCLE_1)
	s_and_b32 vcc_lo, vcc_lo, exec_lo
	s_or_b32 s13, s13, vcc_lo
	s_or_b32 exec_lo, exec_lo, s37
	s_and_saveexec_b32 s36, s13
	s_cbranch_execnz .LBB4_964
	s_branch .LBB4_965
.LBB4_1640:                             ;   in Loop: Header=BB4_394 Depth=4
	s_mov_b32 s36, -1
	s_mov_b32 s38, exec_lo
                                        ; implicit-def: $sgpr37
	v_cmpx_eq_u16_e32 0x80, v12
; %bb.1641:                             ;   in Loop: Header=BB4_394 Depth=4
	s_mov_b32 s37, 0x7f800001
	s_xor_b32 s36, exec_lo, -1
; %bb.1642:                             ;   in Loop: Header=BB4_394 Depth=4
	s_or_b32 exec_lo, exec_lo, s38
	s_delay_alu instid0(SALU_CYCLE_1)
	s_and_b32 s36, s36, exec_lo
	s_or_saveexec_b32 s13, s13
	v_mov_b32_e32 v167, s37
	s_xor_b32 exec_lo, exec_lo, s13
	s_cbranch_execz .LBB4_977
.LBB4_1643:                             ;   in Loop: Header=BB4_394 Depth=4
	v_cmp_ne_u16_e32 vcc_lo, 0, v12
	v_mov_b32_e32 v167, 0
	s_and_not1_b32 s36, s36, exec_lo
	s_and_b32 vcc_lo, vcc_lo, exec_lo
	s_delay_alu instid0(SALU_CYCLE_1)
	s_or_b32 s36, s36, vcc_lo
	s_or_b32 exec_lo, exec_lo, s13
	s_and_saveexec_b32 s13, s36
	s_cbranch_execnz .LBB4_978
	s_branch .LBB4_979
.LBB4_1644:                             ;   in Loop: Header=BB4_394 Depth=4
	s_mov_b32 s13, -1
	s_mov_b32 s38, exec_lo
                                        ; implicit-def: $sgpr36
	v_cmpx_eq_u16_e64 0x80, v177
; %bb.1645:                             ;   in Loop: Header=BB4_394 Depth=4
	s_mov_b32 s36, 0x7f800001
	s_xor_b32 s13, exec_lo, -1
; %bb.1646:                             ;   in Loop: Header=BB4_394 Depth=4
	s_or_b32 exec_lo, exec_lo, s38
	s_delay_alu instid0(SALU_CYCLE_1)
	s_and_b32 s13, s13, exec_lo
                                        ; implicit-def: $vgpr177
	s_or_saveexec_b32 s37, s37
	v_mov_b32_e32 v176, s36
	s_xor_b32 exec_lo, exec_lo, s37
	s_cbranch_execz .LBB4_981
.LBB4_1647:                             ;   in Loop: Header=BB4_394 Depth=4
	v_cmp_ne_u16_e64 vcc_lo, 0, v177
	v_mov_b32_e32 v176, 0
	s_and_not1_b32 s13, s13, exec_lo
	s_delay_alu instid0(VALU_DEP_2) | instskip(NEXT) | instid1(SALU_CYCLE_1)
	s_and_b32 vcc_lo, vcc_lo, exec_lo
	s_or_b32 s13, s13, vcc_lo
	s_or_b32 exec_lo, exec_lo, s37
	s_and_saveexec_b32 s36, s13
	s_cbranch_execnz .LBB4_982
	s_branch .LBB4_983
.LBB4_1648:                             ;   in Loop: Header=BB4_394 Depth=4
	s_mov_b32 s13, -1
	s_mov_b32 s38, exec_lo
                                        ; implicit-def: $sgpr36
	v_cmpx_eq_u16_e32 0x80, v12
; %bb.1649:                             ;   in Loop: Header=BB4_394 Depth=4
	s_mov_b32 s36, 0x7f800001
	s_xor_b32 s13, exec_lo, -1
; %bb.1650:                             ;   in Loop: Header=BB4_394 Depth=4
	s_or_b32 exec_lo, exec_lo, s38
	s_delay_alu instid0(SALU_CYCLE_1)
	s_and_b32 s13, s13, exec_lo
                                        ; implicit-def: $vgpr12
	s_or_saveexec_b32 s37, s37
	v_mov_b32_e32 v167, s36
	s_xor_b32 exec_lo, exec_lo, s37
	s_cbranch_execz .LBB4_988
.LBB4_1651:                             ;   in Loop: Header=BB4_394 Depth=4
	v_cmp_ne_u16_e32 vcc_lo, 0, v12
	v_mov_b32_e32 v167, 0
	s_and_not1_b32 s13, s13, exec_lo
	s_and_b32 vcc_lo, vcc_lo, exec_lo
	s_delay_alu instid0(SALU_CYCLE_1)
	s_or_b32 s13, s13, vcc_lo
	s_or_b32 exec_lo, exec_lo, s37
	s_and_saveexec_b32 s36, s13
	s_cbranch_execnz .LBB4_989
	s_branch .LBB4_990
.LBB4_1652:                             ;   in Loop: Header=BB4_394 Depth=4
	s_mov_b32 s13, -1
	s_mov_b32 s38, exec_lo
                                        ; implicit-def: $sgpr36
	v_cmpx_eq_u16_e64 0x80, v176
; %bb.1653:                             ;   in Loop: Header=BB4_394 Depth=4
	s_mov_b32 s36, 0x7f800001
	s_xor_b32 s13, exec_lo, -1
; %bb.1654:                             ;   in Loop: Header=BB4_394 Depth=4
	s_or_b32 exec_lo, exec_lo, s38
	s_delay_alu instid0(SALU_CYCLE_1)
	s_and_b32 s13, s13, exec_lo
                                        ; implicit-def: $vgpr176
	s_or_saveexec_b32 s37, s37
	v_mov_b32_e32 v12, s36
	s_xor_b32 exec_lo, exec_lo, s37
	s_cbranch_execz .LBB4_992
.LBB4_1655:                             ;   in Loop: Header=BB4_394 Depth=4
	v_cmp_ne_u16_e64 vcc_lo, 0, v176
	v_mov_b32_e32 v12, 0
	s_and_not1_b32 s13, s13, exec_lo
	s_delay_alu instid0(VALU_DEP_2) | instskip(NEXT) | instid1(SALU_CYCLE_1)
	s_and_b32 vcc_lo, vcc_lo, exec_lo
	s_or_b32 s13, s13, vcc_lo
	s_or_b32 exec_lo, exec_lo, s37
	s_and_saveexec_b32 s36, s13
	s_cbranch_execnz .LBB4_993
	s_branch .LBB4_994
.LBB4_1656:                             ;   in Loop: Header=BB4_394 Depth=4
	s_mov_b32 s36, -1
	s_mov_b32 s38, exec_lo
                                        ; implicit-def: $sgpr37
	v_cmpx_eq_u16_e64 0x80, v176
; %bb.1657:                             ;   in Loop: Header=BB4_394 Depth=4
	s_mov_b32 s37, 0x7f800001
	s_xor_b32 s36, exec_lo, -1
; %bb.1658:                             ;   in Loop: Header=BB4_394 Depth=4
	s_or_b32 exec_lo, exec_lo, s38
	s_delay_alu instid0(SALU_CYCLE_1)
	s_and_b32 s36, s36, exec_lo
	s_or_saveexec_b32 s13, s13
	v_mov_b32_e32 v177, s37
	s_xor_b32 exec_lo, exec_lo, s13
	s_cbranch_execz .LBB4_1006
.LBB4_1659:                             ;   in Loop: Header=BB4_394 Depth=4
	v_cmp_ne_u16_e64 vcc_lo, 0, v176
	v_mov_b32_e32 v177, 0
	s_and_not1_b32 s36, s36, exec_lo
	s_delay_alu instid0(VALU_DEP_2) | instskip(NEXT) | instid1(SALU_CYCLE_1)
	s_and_b32 vcc_lo, vcc_lo, exec_lo
	s_or_b32 s36, s36, vcc_lo
	s_or_b32 exec_lo, exec_lo, s13
	s_and_saveexec_b32 s13, s36
	s_cbranch_execnz .LBB4_1007
	s_branch .LBB4_1008
.LBB4_1660:                             ;   in Loop: Header=BB4_394 Depth=4
	s_mov_b32 s13, -1
	s_mov_b32 s38, exec_lo
                                        ; implicit-def: $sgpr36
	v_cmpx_eq_u16_e64 0x80, v167
; %bb.1661:                             ;   in Loop: Header=BB4_394 Depth=4
	s_mov_b32 s36, 0x7f800001
	s_xor_b32 s13, exec_lo, -1
; %bb.1662:                             ;   in Loop: Header=BB4_394 Depth=4
	s_or_b32 exec_lo, exec_lo, s38
	s_delay_alu instid0(SALU_CYCLE_1)
	s_and_b32 s13, s13, exec_lo
	s_or_saveexec_b32 s37, s37
	v_mov_b32_e32 v178, s36
	s_xor_b32 exec_lo, exec_lo, s37
	s_cbranch_execz .LBB4_1010
.LBB4_1663:                             ;   in Loop: Header=BB4_394 Depth=4
	v_cmp_ne_u16_e64 vcc_lo, 0, v167
	v_mov_b32_e32 v178, 0
	s_and_not1_b32 s13, s13, exec_lo
	s_delay_alu instid0(VALU_DEP_2) | instskip(NEXT) | instid1(SALU_CYCLE_1)
	s_and_b32 vcc_lo, vcc_lo, exec_lo
	s_or_b32 s13, s13, vcc_lo
	s_or_b32 exec_lo, exec_lo, s37
	s_and_saveexec_b32 s36, s13
	s_cbranch_execnz .LBB4_1011
	s_branch .LBB4_1012
.LBB4_1664:                             ;   in Loop: Header=BB4_394 Depth=4
	s_mov_b32 s13, -1
	s_mov_b32 s38, exec_lo
                                        ; implicit-def: $sgpr36
	v_cmpx_eq_u16_e64 0x80, v176
; %bb.1665:                             ;   in Loop: Header=BB4_394 Depth=4
	s_mov_b32 s36, 0x7f800001
	s_xor_b32 s13, exec_lo, -1
; %bb.1666:                             ;   in Loop: Header=BB4_394 Depth=4
	s_or_b32 exec_lo, exec_lo, s38
	s_delay_alu instid0(SALU_CYCLE_1)
	s_and_b32 s13, s13, exec_lo
	s_or_saveexec_b32 s37, s37
	v_mov_b32_e32 v177, s36
	s_xor_b32 exec_lo, exec_lo, s37
	s_cbranch_execz .LBB4_1017
.LBB4_1667:                             ;   in Loop: Header=BB4_394 Depth=4
	v_cmp_ne_u16_e64 vcc_lo, 0, v176
	v_mov_b32_e32 v177, 0
	s_and_not1_b32 s13, s13, exec_lo
	s_delay_alu instid0(VALU_DEP_2) | instskip(NEXT) | instid1(SALU_CYCLE_1)
	s_and_b32 vcc_lo, vcc_lo, exec_lo
	s_or_b32 s13, s13, vcc_lo
	s_or_b32 exec_lo, exec_lo, s37
	s_and_saveexec_b32 s36, s13
	s_cbranch_execnz .LBB4_1018
	s_branch .LBB4_1019
.LBB4_1668:                             ;   in Loop: Header=BB4_394 Depth=4
	s_mov_b32 s13, -1
	s_mov_b32 s38, exec_lo
                                        ; implicit-def: $sgpr36
	v_cmpx_eq_u16_e64 0x80, v167
; %bb.1669:                             ;   in Loop: Header=BB4_394 Depth=4
	s_mov_b32 s36, 0x7f800001
	s_xor_b32 s13, exec_lo, -1
; %bb.1670:                             ;   in Loop: Header=BB4_394 Depth=4
	s_or_b32 exec_lo, exec_lo, s38
	s_delay_alu instid0(SALU_CYCLE_1)
	s_and_b32 s13, s13, exec_lo
	s_or_saveexec_b32 s37, s37
	v_mov_b32_e32 v176, s36
	s_xor_b32 exec_lo, exec_lo, s37
	s_cbranch_execz .LBB4_1021
.LBB4_1671:                             ;   in Loop: Header=BB4_394 Depth=4
	v_cmp_ne_u16_e64 vcc_lo, 0, v167
	v_mov_b32_e32 v176, 0
	s_and_not1_b32 s13, s13, exec_lo
	s_delay_alu instid0(VALU_DEP_2) | instskip(NEXT) | instid1(SALU_CYCLE_1)
	s_and_b32 vcc_lo, vcc_lo, exec_lo
	s_or_b32 s13, s13, vcc_lo
	s_or_b32 exec_lo, exec_lo, s37
	s_and_saveexec_b32 s36, s13
	s_cbranch_execnz .LBB4_1022
	s_branch .LBB4_1023
.LBB4_1672:                             ;   in Loop: Header=BB4_394 Depth=4
	s_mov_b32 s36, -1
	s_mov_b32 s38, exec_lo
                                        ; implicit-def: $sgpr37
	v_cmpx_eq_u16_e64 0x80, v178
; %bb.1673:                             ;   in Loop: Header=BB4_394 Depth=4
	s_mov_b32 s37, 0x7f800001
	s_xor_b32 s36, exec_lo, -1
; %bb.1674:                             ;   in Loop: Header=BB4_394 Depth=4
	s_or_b32 exec_lo, exec_lo, s38
	s_delay_alu instid0(SALU_CYCLE_1)
	s_and_b32 s36, s36, exec_lo
	s_or_saveexec_b32 s13, s13
	v_mov_b32_e32 v179, s37
	s_xor_b32 exec_lo, exec_lo, s13
	s_cbranch_execz .LBB4_1035
.LBB4_1675:                             ;   in Loop: Header=BB4_394 Depth=4
	v_cmp_ne_u16_e64 vcc_lo, 0, v178
	v_mov_b32_e32 v179, 0
	s_and_not1_b32 s36, s36, exec_lo
	s_delay_alu instid0(VALU_DEP_2) | instskip(NEXT) | instid1(SALU_CYCLE_1)
	s_and_b32 vcc_lo, vcc_lo, exec_lo
	s_or_b32 s36, s36, vcc_lo
	s_or_b32 exec_lo, exec_lo, s13
	s_and_saveexec_b32 s13, s36
	s_cbranch_execnz .LBB4_1036
	s_branch .LBB4_1037
.LBB4_1676:                             ;   in Loop: Header=BB4_394 Depth=4
	s_mov_b32 s13, -1
	s_mov_b32 s38, exec_lo
                                        ; implicit-def: $sgpr36
	v_cmpx_eq_u16_e64 0x80, v181
; %bb.1677:                             ;   in Loop: Header=BB4_394 Depth=4
	s_mov_b32 s36, 0x7f800001
	s_xor_b32 s13, exec_lo, -1
; %bb.1678:                             ;   in Loop: Header=BB4_394 Depth=4
	s_or_b32 exec_lo, exec_lo, s38
	s_delay_alu instid0(SALU_CYCLE_1)
	s_and_b32 s13, s13, exec_lo
                                        ; implicit-def: $vgpr181
	s_or_saveexec_b32 s37, s37
	v_mov_b32_e32 v180, s36
	s_xor_b32 exec_lo, exec_lo, s37
	s_cbranch_execz .LBB4_1039
.LBB4_1679:                             ;   in Loop: Header=BB4_394 Depth=4
	v_cmp_ne_u16_e64 vcc_lo, 0, v181
	v_mov_b32_e32 v180, 0
	s_and_not1_b32 s13, s13, exec_lo
	s_delay_alu instid0(VALU_DEP_2) | instskip(NEXT) | instid1(SALU_CYCLE_1)
	s_and_b32 vcc_lo, vcc_lo, exec_lo
	s_or_b32 s13, s13, vcc_lo
	s_or_b32 exec_lo, exec_lo, s37
	s_and_saveexec_b32 s36, s13
	s_cbranch_execnz .LBB4_1040
	s_branch .LBB4_1041
.LBB4_1680:                             ;   in Loop: Header=BB4_394 Depth=4
	s_mov_b32 s13, -1
	s_mov_b32 s38, exec_lo
                                        ; implicit-def: $sgpr36
	v_cmpx_eq_u16_e64 0x80, v178
; %bb.1681:                             ;   in Loop: Header=BB4_394 Depth=4
	s_mov_b32 s36, 0x7f800001
	s_xor_b32 s13, exec_lo, -1
; %bb.1682:                             ;   in Loop: Header=BB4_394 Depth=4
	s_or_b32 exec_lo, exec_lo, s38
	s_delay_alu instid0(SALU_CYCLE_1)
	s_and_b32 s13, s13, exec_lo
                                        ; implicit-def: $vgpr178
	s_or_saveexec_b32 s37, s37
	v_mov_b32_e32 v179, s36
	s_xor_b32 exec_lo, exec_lo, s37
	s_cbranch_execz .LBB4_1046
.LBB4_1683:                             ;   in Loop: Header=BB4_394 Depth=4
	v_cmp_ne_u16_e64 vcc_lo, 0, v178
	v_mov_b32_e32 v179, 0
	s_and_not1_b32 s13, s13, exec_lo
	s_delay_alu instid0(VALU_DEP_2) | instskip(NEXT) | instid1(SALU_CYCLE_1)
	s_and_b32 vcc_lo, vcc_lo, exec_lo
	s_or_b32 s13, s13, vcc_lo
	s_or_b32 exec_lo, exec_lo, s37
	s_and_saveexec_b32 s36, s13
	s_cbranch_execnz .LBB4_1047
	s_branch .LBB4_1048
.LBB4_1684:                             ;   in Loop: Header=BB4_394 Depth=4
	s_mov_b32 s13, -1
	s_mov_b32 s38, exec_lo
                                        ; implicit-def: $sgpr36
	v_cmpx_eq_u16_e64 0x80, v178
; %bb.1685:                             ;   in Loop: Header=BB4_394 Depth=4
	s_mov_b32 s36, 0x7f800001
	s_xor_b32 s13, exec_lo, -1
; %bb.1686:                             ;   in Loop: Header=BB4_394 Depth=4
	s_or_b32 exec_lo, exec_lo, s38
	s_delay_alu instid0(SALU_CYCLE_1)
	s_and_b32 s13, s13, exec_lo
                                        ; implicit-def: $vgpr178
	s_or_saveexec_b32 s37, s37
	v_mov_b32_e32 v177, s36
	s_xor_b32 exec_lo, exec_lo, s37
	s_cbranch_execz .LBB4_1050
.LBB4_1687:                             ;   in Loop: Header=BB4_394 Depth=4
	v_cmp_ne_u16_e64 vcc_lo, 0, v178
	v_mov_b32_e32 v177, 0
	s_and_not1_b32 s13, s13, exec_lo
	s_delay_alu instid0(VALU_DEP_2) | instskip(NEXT) | instid1(SALU_CYCLE_1)
	s_and_b32 vcc_lo, vcc_lo, exec_lo
	s_or_b32 s13, s13, vcc_lo
	s_or_b32 exec_lo, exec_lo, s37
	s_and_saveexec_b32 s36, s13
	s_cbranch_execnz .LBB4_1051
	s_branch .LBB4_1052
.LBB4_1688:                             ;   in Loop: Header=BB4_394 Depth=4
	s_mov_b32 s36, -1
	s_mov_b32 s38, exec_lo
                                        ; implicit-def: $sgpr37
	v_cmpx_eq_u16_e64 0x80, v178
; %bb.1689:                             ;   in Loop: Header=BB4_394 Depth=4
	s_mov_b32 s37, 0x7f800001
	s_xor_b32 s36, exec_lo, -1
; %bb.1690:                             ;   in Loop: Header=BB4_394 Depth=4
	s_or_b32 exec_lo, exec_lo, s38
	s_delay_alu instid0(SALU_CYCLE_1)
	s_and_b32 s36, s36, exec_lo
	s_or_saveexec_b32 s13, s13
	v_mov_b32_e32 v179, s37
	s_xor_b32 exec_lo, exec_lo, s13
	s_cbranch_execz .LBB4_1064
.LBB4_1691:                             ;   in Loop: Header=BB4_394 Depth=4
	v_cmp_ne_u16_e64 vcc_lo, 0, v178
	v_mov_b32_e32 v179, 0
	s_and_not1_b32 s36, s36, exec_lo
	s_delay_alu instid0(VALU_DEP_2) | instskip(NEXT) | instid1(SALU_CYCLE_1)
	s_and_b32 vcc_lo, vcc_lo, exec_lo
	s_or_b32 s36, s36, vcc_lo
	s_or_b32 exec_lo, exec_lo, s13
	s_and_saveexec_b32 s13, s36
	s_cbranch_execnz .LBB4_1065
	s_branch .LBB4_1066
.LBB4_1692:                             ;   in Loop: Header=BB4_394 Depth=4
	s_mov_b32 s13, -1
	s_mov_b32 s38, exec_lo
                                        ; implicit-def: $sgpr36
	v_cmpx_eq_u16_e64 0x80, v177
; %bb.1693:                             ;   in Loop: Header=BB4_394 Depth=4
	s_mov_b32 s36, 0x7f800001
	s_xor_b32 s13, exec_lo, -1
; %bb.1694:                             ;   in Loop: Header=BB4_394 Depth=4
	s_or_b32 exec_lo, exec_lo, s38
	s_delay_alu instid0(SALU_CYCLE_1)
	s_and_b32 s13, s13, exec_lo
	s_or_saveexec_b32 s37, s37
	v_mov_b32_e32 v180, s36
	s_xor_b32 exec_lo, exec_lo, s37
	s_cbranch_execz .LBB4_1068
.LBB4_1695:                             ;   in Loop: Header=BB4_394 Depth=4
	v_cmp_ne_u16_e64 vcc_lo, 0, v177
	v_mov_b32_e32 v180, 0
	s_and_not1_b32 s13, s13, exec_lo
	s_delay_alu instid0(VALU_DEP_2) | instskip(NEXT) | instid1(SALU_CYCLE_1)
	s_and_b32 vcc_lo, vcc_lo, exec_lo
	s_or_b32 s13, s13, vcc_lo
	s_or_b32 exec_lo, exec_lo, s37
	s_and_saveexec_b32 s36, s13
	s_cbranch_execnz .LBB4_1069
	s_branch .LBB4_1070
.LBB4_1696:                             ;   in Loop: Header=BB4_394 Depth=4
	s_mov_b32 s13, -1
	s_mov_b32 s38, exec_lo
                                        ; implicit-def: $sgpr36
	v_cmpx_eq_u16_e64 0x80, v178
; %bb.1697:                             ;   in Loop: Header=BB4_394 Depth=4
	s_mov_b32 s36, 0x7f800001
	s_xor_b32 s13, exec_lo, -1
; %bb.1698:                             ;   in Loop: Header=BB4_394 Depth=4
	s_or_b32 exec_lo, exec_lo, s38
	s_delay_alu instid0(SALU_CYCLE_1)
	s_and_b32 s13, s13, exec_lo
	s_or_saveexec_b32 s37, s37
	v_mov_b32_e32 v179, s36
	s_xor_b32 exec_lo, exec_lo, s37
	s_cbranch_execz .LBB4_1075
.LBB4_1699:                             ;   in Loop: Header=BB4_394 Depth=4
	v_cmp_ne_u16_e64 vcc_lo, 0, v178
	v_mov_b32_e32 v179, 0
	s_and_not1_b32 s13, s13, exec_lo
	s_delay_alu instid0(VALU_DEP_2) | instskip(NEXT) | instid1(SALU_CYCLE_1)
	s_and_b32 vcc_lo, vcc_lo, exec_lo
	s_or_b32 s13, s13, vcc_lo
	s_or_b32 exec_lo, exec_lo, s37
	s_and_saveexec_b32 s36, s13
	s_cbranch_execnz .LBB4_1076
	s_branch .LBB4_1077
.LBB4_1700:                             ;   in Loop: Header=BB4_394 Depth=4
	s_mov_b32 s13, -1
	s_mov_b32 s38, exec_lo
                                        ; implicit-def: $sgpr36
	v_cmpx_eq_u16_e64 0x80, v177
; %bb.1701:                             ;   in Loop: Header=BB4_394 Depth=4
	s_mov_b32 s36, 0x7f800001
	s_xor_b32 s13, exec_lo, -1
; %bb.1702:                             ;   in Loop: Header=BB4_394 Depth=4
	s_or_b32 exec_lo, exec_lo, s38
	s_delay_alu instid0(SALU_CYCLE_1)
	s_and_b32 s13, s13, exec_lo
	s_or_saveexec_b32 s37, s37
	v_mov_b32_e32 v13, s36
	s_xor_b32 exec_lo, exec_lo, s37
	s_cbranch_execz .LBB4_1079
.LBB4_1703:                             ;   in Loop: Header=BB4_394 Depth=4
	v_cmp_ne_u16_e64 vcc_lo, 0, v177
	v_mov_b32_e32 v13, 0
	s_and_not1_b32 s13, s13, exec_lo
	s_delay_alu instid0(VALU_DEP_2) | instskip(NEXT) | instid1(SALU_CYCLE_1)
	s_and_b32 vcc_lo, vcc_lo, exec_lo
	s_or_b32 s13, s13, vcc_lo
	s_or_b32 exec_lo, exec_lo, s37
	s_and_saveexec_b32 s36, s13
	s_cbranch_execnz .LBB4_1080
	s_branch .LBB4_1081
.LBB4_1704:                             ;   in Loop: Header=BB4_394 Depth=4
	s_mov_b32 s36, -1
	s_mov_b32 s38, exec_lo
                                        ; implicit-def: $sgpr37
	v_cmpx_eq_u16_e32 0x80, v13
; %bb.1705:                             ;   in Loop: Header=BB4_394 Depth=4
	s_mov_b32 s37, 0x7f800001
	s_xor_b32 s36, exec_lo, -1
; %bb.1706:                             ;   in Loop: Header=BB4_394 Depth=4
	s_or_b32 exec_lo, exec_lo, s38
	s_delay_alu instid0(SALU_CYCLE_1)
	s_and_b32 s36, s36, exec_lo
	s_or_saveexec_b32 s13, s13
	v_mov_b32_e32 v177, s37
	s_xor_b32 exec_lo, exec_lo, s13
	s_cbranch_execz .LBB4_1093
.LBB4_1707:                             ;   in Loop: Header=BB4_394 Depth=4
	v_cmp_ne_u16_e32 vcc_lo, 0, v13
	v_mov_b32_e32 v177, 0
	s_and_not1_b32 s36, s36, exec_lo
	s_and_b32 vcc_lo, vcc_lo, exec_lo
	s_delay_alu instid0(SALU_CYCLE_1)
	s_or_b32 s36, s36, vcc_lo
	s_or_b32 exec_lo, exec_lo, s13
	s_and_saveexec_b32 s13, s36
	s_cbranch_execnz .LBB4_1094
	s_branch .LBB4_1095
.LBB4_1708:                             ;   in Loop: Header=BB4_394 Depth=4
	s_mov_b32 s13, -1
	s_mov_b32 s38, exec_lo
                                        ; implicit-def: $sgpr36
	v_cmpx_eq_u16_e64 0x80, v179
; %bb.1709:                             ;   in Loop: Header=BB4_394 Depth=4
	s_mov_b32 s36, 0x7f800001
	s_xor_b32 s13, exec_lo, -1
; %bb.1710:                             ;   in Loop: Header=BB4_394 Depth=4
	s_or_b32 exec_lo, exec_lo, s38
	s_delay_alu instid0(SALU_CYCLE_1)
	s_and_b32 s13, s13, exec_lo
                                        ; implicit-def: $vgpr179
	s_or_saveexec_b32 s37, s37
	v_mov_b32_e32 v178, s36
	s_xor_b32 exec_lo, exec_lo, s37
	s_cbranch_execz .LBB4_1097
.LBB4_1711:                             ;   in Loop: Header=BB4_394 Depth=4
	v_cmp_ne_u16_e64 vcc_lo, 0, v179
	v_mov_b32_e32 v178, 0
	s_and_not1_b32 s13, s13, exec_lo
	s_delay_alu instid0(VALU_DEP_2) | instskip(NEXT) | instid1(SALU_CYCLE_1)
	s_and_b32 vcc_lo, vcc_lo, exec_lo
	s_or_b32 s13, s13, vcc_lo
	s_or_b32 exec_lo, exec_lo, s37
	s_and_saveexec_b32 s36, s13
	s_cbranch_execnz .LBB4_1098
	s_branch .LBB4_1099
.LBB4_1712:                             ;   in Loop: Header=BB4_394 Depth=4
	s_mov_b32 s13, -1
	s_mov_b32 s38, exec_lo
                                        ; implicit-def: $sgpr36
	v_cmpx_eq_u16_e32 0x80, v13
; %bb.1713:                             ;   in Loop: Header=BB4_394 Depth=4
	s_mov_b32 s36, 0x7f800001
	s_xor_b32 s13, exec_lo, -1
; %bb.1714:                             ;   in Loop: Header=BB4_394 Depth=4
	s_or_b32 exec_lo, exec_lo, s38
	s_delay_alu instid0(SALU_CYCLE_1)
	s_and_b32 s13, s13, exec_lo
                                        ; implicit-def: $vgpr13
	s_or_saveexec_b32 s37, s37
	v_mov_b32_e32 v177, s36
	s_xor_b32 exec_lo, exec_lo, s37
	s_cbranch_execz .LBB4_1104
.LBB4_1715:                             ;   in Loop: Header=BB4_394 Depth=4
	v_cmp_ne_u16_e32 vcc_lo, 0, v13
	v_mov_b32_e32 v177, 0
	s_and_not1_b32 s13, s13, exec_lo
	s_and_b32 vcc_lo, vcc_lo, exec_lo
	s_delay_alu instid0(SALU_CYCLE_1)
	s_or_b32 s13, s13, vcc_lo
	s_or_b32 exec_lo, exec_lo, s37
	s_and_saveexec_b32 s36, s13
	s_cbranch_execnz .LBB4_1105
	s_branch .LBB4_1106
.LBB4_1716:                             ;   in Loop: Header=BB4_394 Depth=4
	s_mov_b32 s13, -1
	s_mov_b32 s38, exec_lo
                                        ; implicit-def: $sgpr36
	v_cmpx_eq_u16_e64 0x80, v178
; %bb.1717:                             ;   in Loop: Header=BB4_394 Depth=4
	s_mov_b32 s36, 0x7f800001
	s_xor_b32 s13, exec_lo, -1
; %bb.1718:                             ;   in Loop: Header=BB4_394 Depth=4
	s_or_b32 exec_lo, exec_lo, s38
	s_delay_alu instid0(SALU_CYCLE_1)
	s_and_b32 s13, s13, exec_lo
                                        ; implicit-def: $vgpr178
	s_or_saveexec_b32 s37, s37
	v_mov_b32_e32 v13, s36
	s_xor_b32 exec_lo, exec_lo, s37
	s_cbranch_execz .LBB4_1108
.LBB4_1719:                             ;   in Loop: Header=BB4_394 Depth=4
	v_cmp_ne_u16_e64 vcc_lo, 0, v178
	v_mov_b32_e32 v13, 0
	s_and_not1_b32 s13, s13, exec_lo
	s_delay_alu instid0(VALU_DEP_2) | instskip(NEXT) | instid1(SALU_CYCLE_1)
	s_and_b32 vcc_lo, vcc_lo, exec_lo
	s_or_b32 s13, s13, vcc_lo
	s_or_b32 exec_lo, exec_lo, s37
	s_and_saveexec_b32 s36, s13
	s_cbranch_execnz .LBB4_1109
	s_branch .LBB4_1110
.LBB4_1720:                             ;   in Loop: Header=BB4_394 Depth=4
	s_mov_b32 s36, -1
	s_mov_b32 s38, exec_lo
                                        ; implicit-def: $sgpr37
	v_cmpx_eq_u16_e64 0x80, v178
; %bb.1721:                             ;   in Loop: Header=BB4_394 Depth=4
	s_mov_b32 s37, 0x7f800001
	s_xor_b32 s36, exec_lo, -1
; %bb.1722:                             ;   in Loop: Header=BB4_394 Depth=4
	s_or_b32 exec_lo, exec_lo, s38
	s_delay_alu instid0(SALU_CYCLE_1)
	s_and_b32 s36, s36, exec_lo
	s_or_saveexec_b32 s13, s13
	v_mov_b32_e32 v179, s37
	s_xor_b32 exec_lo, exec_lo, s13
	s_cbranch_execz .LBB4_1122
.LBB4_1723:                             ;   in Loop: Header=BB4_394 Depth=4
	v_cmp_ne_u16_e64 vcc_lo, 0, v178
	v_mov_b32_e32 v179, 0
	s_and_not1_b32 s36, s36, exec_lo
	s_delay_alu instid0(VALU_DEP_2) | instskip(NEXT) | instid1(SALU_CYCLE_1)
	s_and_b32 vcc_lo, vcc_lo, exec_lo
	s_or_b32 s36, s36, vcc_lo
	s_or_b32 exec_lo, exec_lo, s13
	s_and_saveexec_b32 s13, s36
	s_cbranch_execnz .LBB4_1123
	s_branch .LBB4_1124
.LBB4_1724:                             ;   in Loop: Header=BB4_394 Depth=4
	s_mov_b32 s13, -1
	s_mov_b32 s38, exec_lo
                                        ; implicit-def: $sgpr36
	v_cmpx_eq_u16_e64 0x80, v177
; %bb.1725:                             ;   in Loop: Header=BB4_394 Depth=4
	s_mov_b32 s36, 0x7f800001
	s_xor_b32 s13, exec_lo, -1
; %bb.1726:                             ;   in Loop: Header=BB4_394 Depth=4
	s_or_b32 exec_lo, exec_lo, s38
	s_delay_alu instid0(SALU_CYCLE_1)
	s_and_b32 s13, s13, exec_lo
	s_or_saveexec_b32 s37, s37
	v_mov_b32_e32 v180, s36
	s_xor_b32 exec_lo, exec_lo, s37
	s_cbranch_execz .LBB4_1126
.LBB4_1727:                             ;   in Loop: Header=BB4_394 Depth=4
	v_cmp_ne_u16_e64 vcc_lo, 0, v177
	v_mov_b32_e32 v180, 0
	s_and_not1_b32 s13, s13, exec_lo
	s_delay_alu instid0(VALU_DEP_2) | instskip(NEXT) | instid1(SALU_CYCLE_1)
	s_and_b32 vcc_lo, vcc_lo, exec_lo
	s_or_b32 s13, s13, vcc_lo
	s_or_b32 exec_lo, exec_lo, s37
	s_and_saveexec_b32 s36, s13
	s_cbranch_execnz .LBB4_1127
	s_branch .LBB4_1128
.LBB4_1728:                             ;   in Loop: Header=BB4_394 Depth=4
	s_mov_b32 s13, -1
	s_mov_b32 s38, exec_lo
                                        ; implicit-def: $sgpr36
	v_cmpx_eq_u16_e64 0x80, v178
; %bb.1729:                             ;   in Loop: Header=BB4_394 Depth=4
	s_mov_b32 s36, 0x7f800001
	s_xor_b32 s13, exec_lo, -1
; %bb.1730:                             ;   in Loop: Header=BB4_394 Depth=4
	s_or_b32 exec_lo, exec_lo, s38
	s_delay_alu instid0(SALU_CYCLE_1)
	s_and_b32 s13, s13, exec_lo
	s_or_saveexec_b32 s37, s37
	v_mov_b32_e32 v179, s36
	s_xor_b32 exec_lo, exec_lo, s37
	s_cbranch_execz .LBB4_1133
.LBB4_1731:                             ;   in Loop: Header=BB4_394 Depth=4
	v_cmp_ne_u16_e64 vcc_lo, 0, v178
	v_mov_b32_e32 v179, 0
	s_and_not1_b32 s13, s13, exec_lo
	s_delay_alu instid0(VALU_DEP_2) | instskip(NEXT) | instid1(SALU_CYCLE_1)
	s_and_b32 vcc_lo, vcc_lo, exec_lo
	s_or_b32 s13, s13, vcc_lo
	s_or_b32 exec_lo, exec_lo, s37
	s_and_saveexec_b32 s36, s13
	s_cbranch_execnz .LBB4_1134
	s_branch .LBB4_1135
.LBB4_1732:                             ;   in Loop: Header=BB4_394 Depth=4
	s_mov_b32 s13, -1
	s_mov_b32 s38, exec_lo
                                        ; implicit-def: $sgpr36
	v_cmpx_eq_u16_e64 0x80, v177
; %bb.1733:                             ;   in Loop: Header=BB4_394 Depth=4
	s_mov_b32 s36, 0x7f800001
	s_xor_b32 s13, exec_lo, -1
; %bb.1734:                             ;   in Loop: Header=BB4_394 Depth=4
	s_or_b32 exec_lo, exec_lo, s38
	s_delay_alu instid0(SALU_CYCLE_1)
	s_and_b32 s13, s13, exec_lo
	s_or_saveexec_b32 s37, s37
	v_mov_b32_e32 v178, s36
	s_xor_b32 exec_lo, exec_lo, s37
	s_cbranch_execz .LBB4_1137
.LBB4_1735:                             ;   in Loop: Header=BB4_394 Depth=4
	v_cmp_ne_u16_e64 vcc_lo, 0, v177
	v_mov_b32_e32 v178, 0
	s_and_not1_b32 s13, s13, exec_lo
	s_delay_alu instid0(VALU_DEP_2) | instskip(NEXT) | instid1(SALU_CYCLE_1)
	s_and_b32 vcc_lo, vcc_lo, exec_lo
	s_or_b32 s13, s13, vcc_lo
	s_or_b32 exec_lo, exec_lo, s37
	s_and_saveexec_b32 s36, s13
	s_cbranch_execnz .LBB4_1138
	s_branch .LBB4_1139
.LBB4_1736:                             ;   in Loop: Header=BB4_394 Depth=4
	s_mov_b32 s36, -1
	s_mov_b32 s38, exec_lo
                                        ; implicit-def: $sgpr37
	v_cmpx_eq_u16_e64 0x80, v180
; %bb.1737:                             ;   in Loop: Header=BB4_394 Depth=4
	s_mov_b32 s37, 0x7f800001
	s_xor_b32 s36, exec_lo, -1
; %bb.1738:                             ;   in Loop: Header=BB4_394 Depth=4
	s_or_b32 exec_lo, exec_lo, s38
	s_delay_alu instid0(SALU_CYCLE_1)
	s_and_b32 s36, s36, exec_lo
	s_or_saveexec_b32 s13, s13
	v_mov_b32_e32 v181, s37
	s_xor_b32 exec_lo, exec_lo, s13
	s_cbranch_execz .LBB4_1151
.LBB4_1739:                             ;   in Loop: Header=BB4_394 Depth=4
	v_cmp_ne_u16_e64 vcc_lo, 0, v180
	v_mov_b32_e32 v181, 0
	s_and_not1_b32 s36, s36, exec_lo
	s_delay_alu instid0(VALU_DEP_2) | instskip(NEXT) | instid1(SALU_CYCLE_1)
	s_and_b32 vcc_lo, vcc_lo, exec_lo
	s_or_b32 s36, s36, vcc_lo
	s_or_b32 exec_lo, exec_lo, s13
	s_and_saveexec_b32 s13, s36
	s_cbranch_execnz .LBB4_1152
	s_branch .LBB4_1153
.LBB4_1740:                             ;   in Loop: Header=BB4_394 Depth=4
	s_mov_b32 s13, -1
	s_mov_b32 s38, exec_lo
                                        ; implicit-def: $sgpr36
	v_cmpx_eq_u16_e64 0x80, v183
; %bb.1741:                             ;   in Loop: Header=BB4_394 Depth=4
	s_mov_b32 s36, 0x7f800001
	s_xor_b32 s13, exec_lo, -1
; %bb.1742:                             ;   in Loop: Header=BB4_394 Depth=4
	s_or_b32 exec_lo, exec_lo, s38
	s_delay_alu instid0(SALU_CYCLE_1)
	s_and_b32 s13, s13, exec_lo
                                        ; implicit-def: $vgpr183
	s_or_saveexec_b32 s37, s37
	v_mov_b32_e32 v182, s36
	s_xor_b32 exec_lo, exec_lo, s37
	s_cbranch_execz .LBB4_1155
.LBB4_1743:                             ;   in Loop: Header=BB4_394 Depth=4
	v_cmp_ne_u16_e64 vcc_lo, 0, v183
	v_mov_b32_e32 v182, 0
	s_and_not1_b32 s13, s13, exec_lo
	s_delay_alu instid0(VALU_DEP_2) | instskip(NEXT) | instid1(SALU_CYCLE_1)
	s_and_b32 vcc_lo, vcc_lo, exec_lo
	s_or_b32 s13, s13, vcc_lo
	s_or_b32 exec_lo, exec_lo, s37
	s_and_saveexec_b32 s36, s13
	s_cbranch_execnz .LBB4_1156
	s_branch .LBB4_1157
.LBB4_1744:                             ;   in Loop: Header=BB4_394 Depth=4
	s_mov_b32 s13, -1
	s_mov_b32 s38, exec_lo
                                        ; implicit-def: $sgpr36
	v_cmpx_eq_u16_e64 0x80, v180
; %bb.1745:                             ;   in Loop: Header=BB4_394 Depth=4
	s_mov_b32 s36, 0x7f800001
	s_xor_b32 s13, exec_lo, -1
; %bb.1746:                             ;   in Loop: Header=BB4_394 Depth=4
	s_or_b32 exec_lo, exec_lo, s38
	s_delay_alu instid0(SALU_CYCLE_1)
	s_and_b32 s13, s13, exec_lo
                                        ; implicit-def: $vgpr180
	s_or_saveexec_b32 s37, s37
	v_mov_b32_e32 v181, s36
	s_xor_b32 exec_lo, exec_lo, s37
	s_cbranch_execz .LBB4_1162
.LBB4_1747:                             ;   in Loop: Header=BB4_394 Depth=4
	v_cmp_ne_u16_e64 vcc_lo, 0, v180
	v_mov_b32_e32 v181, 0
	s_and_not1_b32 s13, s13, exec_lo
	s_delay_alu instid0(VALU_DEP_2) | instskip(NEXT) | instid1(SALU_CYCLE_1)
	s_and_b32 vcc_lo, vcc_lo, exec_lo
	s_or_b32 s13, s13, vcc_lo
	s_or_b32 exec_lo, exec_lo, s37
	s_and_saveexec_b32 s36, s13
	s_cbranch_execnz .LBB4_1163
	s_branch .LBB4_1164
.LBB4_1748:                             ;   in Loop: Header=BB4_394 Depth=4
	s_mov_b32 s13, -1
	s_mov_b32 s38, exec_lo
                                        ; implicit-def: $sgpr36
	v_cmpx_eq_u16_e64 0x80, v180
; %bb.1749:                             ;   in Loop: Header=BB4_394 Depth=4
	s_mov_b32 s36, 0x7f800001
	s_xor_b32 s13, exec_lo, -1
; %bb.1750:                             ;   in Loop: Header=BB4_394 Depth=4
	s_or_b32 exec_lo, exec_lo, s38
	s_delay_alu instid0(SALU_CYCLE_1)
	s_and_b32 s13, s13, exec_lo
                                        ; implicit-def: $vgpr180
	s_or_saveexec_b32 s37, s37
	v_mov_b32_e32 v179, s36
	s_xor_b32 exec_lo, exec_lo, s37
	s_cbranch_execz .LBB4_1166
.LBB4_1751:                             ;   in Loop: Header=BB4_394 Depth=4
	v_cmp_ne_u16_e64 vcc_lo, 0, v180
	v_mov_b32_e32 v179, 0
	s_and_not1_b32 s13, s13, exec_lo
	s_delay_alu instid0(VALU_DEP_2) | instskip(NEXT) | instid1(SALU_CYCLE_1)
	s_and_b32 vcc_lo, vcc_lo, exec_lo
	s_or_b32 s13, s13, vcc_lo
	s_or_b32 exec_lo, exec_lo, s37
	s_and_saveexec_b32 s36, s13
	s_cbranch_execnz .LBB4_1167
	s_branch .LBB4_1168
.LBB4_1752:                             ;   in Loop: Header=BB4_394 Depth=4
	s_mov_b32 s36, -1
	s_mov_b32 s38, exec_lo
                                        ; implicit-def: $sgpr37
	v_cmpx_eq_u16_e64 0x80, v180
; %bb.1753:                             ;   in Loop: Header=BB4_394 Depth=4
	s_mov_b32 s37, 0x7f800001
	s_xor_b32 s36, exec_lo, -1
; %bb.1754:                             ;   in Loop: Header=BB4_394 Depth=4
	s_or_b32 exec_lo, exec_lo, s38
	s_delay_alu instid0(SALU_CYCLE_1)
	s_and_b32 s36, s36, exec_lo
	s_or_saveexec_b32 s13, s13
	v_mov_b32_e32 v181, s37
	s_xor_b32 exec_lo, exec_lo, s13
	s_cbranch_execz .LBB4_1180
.LBB4_1755:                             ;   in Loop: Header=BB4_394 Depth=4
	v_cmp_ne_u16_e64 vcc_lo, 0, v180
	v_mov_b32_e32 v181, 0
	s_and_not1_b32 s36, s36, exec_lo
	s_delay_alu instid0(VALU_DEP_2) | instskip(NEXT) | instid1(SALU_CYCLE_1)
	s_and_b32 vcc_lo, vcc_lo, exec_lo
	s_or_b32 s36, s36, vcc_lo
	s_or_b32 exec_lo, exec_lo, s13
	s_and_saveexec_b32 s13, s36
	s_cbranch_execnz .LBB4_1181
	s_branch .LBB4_1182
.LBB4_1756:                             ;   in Loop: Header=BB4_394 Depth=4
	s_mov_b32 s13, -1
	s_mov_b32 s38, exec_lo
                                        ; implicit-def: $sgpr36
	v_cmpx_eq_u16_e64 0x80, v179
; %bb.1757:                             ;   in Loop: Header=BB4_394 Depth=4
	s_mov_b32 s36, 0x7f800001
	s_xor_b32 s13, exec_lo, -1
; %bb.1758:                             ;   in Loop: Header=BB4_394 Depth=4
	s_or_b32 exec_lo, exec_lo, s38
	s_delay_alu instid0(SALU_CYCLE_1)
	s_and_b32 s13, s13, exec_lo
	s_or_saveexec_b32 s37, s37
	v_mov_b32_e32 v182, s36
	s_xor_b32 exec_lo, exec_lo, s37
	s_cbranch_execz .LBB4_1184
.LBB4_1759:                             ;   in Loop: Header=BB4_394 Depth=4
	v_cmp_ne_u16_e64 vcc_lo, 0, v179
	v_mov_b32_e32 v182, 0
	s_and_not1_b32 s13, s13, exec_lo
	s_delay_alu instid0(VALU_DEP_2) | instskip(NEXT) | instid1(SALU_CYCLE_1)
	s_and_b32 vcc_lo, vcc_lo, exec_lo
	s_or_b32 s13, s13, vcc_lo
	s_or_b32 exec_lo, exec_lo, s37
	s_and_saveexec_b32 s36, s13
	s_cbranch_execnz .LBB4_1185
	s_branch .LBB4_1186
.LBB4_1760:                             ;   in Loop: Header=BB4_394 Depth=4
	s_mov_b32 s13, -1
	s_mov_b32 s38, exec_lo
                                        ; implicit-def: $sgpr36
	v_cmpx_eq_u16_e64 0x80, v180
; %bb.1761:                             ;   in Loop: Header=BB4_394 Depth=4
	s_mov_b32 s36, 0x7f800001
	s_xor_b32 s13, exec_lo, -1
; %bb.1762:                             ;   in Loop: Header=BB4_394 Depth=4
	s_or_b32 exec_lo, exec_lo, s38
	s_delay_alu instid0(SALU_CYCLE_1)
	s_and_b32 s13, s13, exec_lo
	s_or_saveexec_b32 s37, s37
	v_mov_b32_e32 v181, s36
	s_xor_b32 exec_lo, exec_lo, s37
	s_cbranch_execz .LBB4_1191
.LBB4_1763:                             ;   in Loop: Header=BB4_394 Depth=4
	v_cmp_ne_u16_e64 vcc_lo, 0, v180
	v_mov_b32_e32 v181, 0
	s_and_not1_b32 s13, s13, exec_lo
	s_delay_alu instid0(VALU_DEP_2) | instskip(NEXT) | instid1(SALU_CYCLE_1)
	s_and_b32 vcc_lo, vcc_lo, exec_lo
	s_or_b32 s13, s13, vcc_lo
	s_or_b32 exec_lo, exec_lo, s37
	s_and_saveexec_b32 s36, s13
	s_cbranch_execnz .LBB4_1192
	s_branch .LBB4_1193
.LBB4_1764:                             ;   in Loop: Header=BB4_394 Depth=4
	s_mov_b32 s13, -1
	s_mov_b32 s38, exec_lo
                                        ; implicit-def: $sgpr36
	v_cmpx_eq_u16_e64 0x80, v179
; %bb.1765:                             ;   in Loop: Header=BB4_394 Depth=4
	s_mov_b32 s36, 0x7f800001
	s_xor_b32 s13, exec_lo, -1
; %bb.1766:                             ;   in Loop: Header=BB4_394 Depth=4
	s_or_b32 exec_lo, exec_lo, s38
	s_delay_alu instid0(SALU_CYCLE_1)
	s_and_b32 s13, s13, exec_lo
	s_or_saveexec_b32 s37, s37
	v_mov_b32_e32 v14, s36
	s_xor_b32 exec_lo, exec_lo, s37
	s_cbranch_execz .LBB4_1195
.LBB4_1767:                             ;   in Loop: Header=BB4_394 Depth=4
	v_cmp_ne_u16_e64 vcc_lo, 0, v179
	v_mov_b32_e32 v14, 0
	s_and_not1_b32 s13, s13, exec_lo
	s_delay_alu instid0(VALU_DEP_2) | instskip(NEXT) | instid1(SALU_CYCLE_1)
	s_and_b32 vcc_lo, vcc_lo, exec_lo
	s_or_b32 s13, s13, vcc_lo
	s_or_b32 exec_lo, exec_lo, s37
	s_and_saveexec_b32 s36, s13
	s_cbranch_execnz .LBB4_1196
	s_branch .LBB4_1197
.LBB4_1768:                             ;   in Loop: Header=BB4_394 Depth=4
	s_mov_b32 s36, -1
	s_mov_b32 s38, exec_lo
                                        ; implicit-def: $sgpr37
	v_cmpx_eq_u16_e32 0x80, v14
; %bb.1769:                             ;   in Loop: Header=BB4_394 Depth=4
	s_mov_b32 s37, 0x7f800001
	s_xor_b32 s36, exec_lo, -1
; %bb.1770:                             ;   in Loop: Header=BB4_394 Depth=4
	s_or_b32 exec_lo, exec_lo, s38
	s_delay_alu instid0(SALU_CYCLE_1)
	s_and_b32 s36, s36, exec_lo
	s_or_saveexec_b32 s13, s13
	v_mov_b32_e32 v179, s37
	s_xor_b32 exec_lo, exec_lo, s13
	s_cbranch_execz .LBB4_1209
.LBB4_1771:                             ;   in Loop: Header=BB4_394 Depth=4
	v_cmp_ne_u16_e32 vcc_lo, 0, v14
	v_mov_b32_e32 v179, 0
	s_and_not1_b32 s36, s36, exec_lo
	s_and_b32 vcc_lo, vcc_lo, exec_lo
	s_delay_alu instid0(SALU_CYCLE_1)
	s_or_b32 s36, s36, vcc_lo
	s_or_b32 exec_lo, exec_lo, s13
	s_and_saveexec_b32 s13, s36
	s_cbranch_execnz .LBB4_1210
	s_branch .LBB4_1211
.LBB4_1772:                             ;   in Loop: Header=BB4_394 Depth=4
	s_mov_b32 s13, -1
	s_mov_b32 s38, exec_lo
                                        ; implicit-def: $sgpr36
	v_cmpx_eq_u16_e64 0x80, v181
; %bb.1773:                             ;   in Loop: Header=BB4_394 Depth=4
	s_mov_b32 s36, 0x7f800001
	s_xor_b32 s13, exec_lo, -1
; %bb.1774:                             ;   in Loop: Header=BB4_394 Depth=4
	s_or_b32 exec_lo, exec_lo, s38
	s_delay_alu instid0(SALU_CYCLE_1)
	s_and_b32 s13, s13, exec_lo
                                        ; implicit-def: $vgpr181
	s_or_saveexec_b32 s37, s37
	v_mov_b32_e32 v180, s36
	s_xor_b32 exec_lo, exec_lo, s37
	s_cbranch_execz .LBB4_1213
.LBB4_1775:                             ;   in Loop: Header=BB4_394 Depth=4
	v_cmp_ne_u16_e64 vcc_lo, 0, v181
	v_mov_b32_e32 v180, 0
	s_and_not1_b32 s13, s13, exec_lo
	s_delay_alu instid0(VALU_DEP_2) | instskip(NEXT) | instid1(SALU_CYCLE_1)
	s_and_b32 vcc_lo, vcc_lo, exec_lo
	s_or_b32 s13, s13, vcc_lo
	s_or_b32 exec_lo, exec_lo, s37
	s_and_saveexec_b32 s36, s13
	s_cbranch_execnz .LBB4_1214
	s_branch .LBB4_1215
.LBB4_1776:                             ;   in Loop: Header=BB4_394 Depth=4
	s_mov_b32 s13, -1
	s_mov_b32 s38, exec_lo
                                        ; implicit-def: $sgpr36
	v_cmpx_eq_u16_e32 0x80, v14
; %bb.1777:                             ;   in Loop: Header=BB4_394 Depth=4
	s_mov_b32 s36, 0x7f800001
	s_xor_b32 s13, exec_lo, -1
; %bb.1778:                             ;   in Loop: Header=BB4_394 Depth=4
	s_or_b32 exec_lo, exec_lo, s38
	s_delay_alu instid0(SALU_CYCLE_1)
	s_and_b32 s13, s13, exec_lo
                                        ; implicit-def: $vgpr14
	s_or_saveexec_b32 s37, s37
	v_mov_b32_e32 v179, s36
	s_xor_b32 exec_lo, exec_lo, s37
	s_cbranch_execz .LBB4_1220
.LBB4_1779:                             ;   in Loop: Header=BB4_394 Depth=4
	v_cmp_ne_u16_e32 vcc_lo, 0, v14
	v_mov_b32_e32 v179, 0
	s_and_not1_b32 s13, s13, exec_lo
	s_and_b32 vcc_lo, vcc_lo, exec_lo
	s_delay_alu instid0(SALU_CYCLE_1)
	s_or_b32 s13, s13, vcc_lo
	s_or_b32 exec_lo, exec_lo, s37
	s_and_saveexec_b32 s36, s13
	s_cbranch_execnz .LBB4_1221
	s_branch .LBB4_1222
.LBB4_1780:                             ;   in Loop: Header=BB4_394 Depth=4
	s_mov_b32 s13, -1
	s_mov_b32 s38, exec_lo
                                        ; implicit-def: $sgpr36
	v_cmpx_eq_u16_e64 0x80, v180
; %bb.1781:                             ;   in Loop: Header=BB4_394 Depth=4
	s_mov_b32 s36, 0x7f800001
	s_xor_b32 s13, exec_lo, -1
; %bb.1782:                             ;   in Loop: Header=BB4_394 Depth=4
	s_or_b32 exec_lo, exec_lo, s38
	s_delay_alu instid0(SALU_CYCLE_1)
	s_and_b32 s13, s13, exec_lo
                                        ; implicit-def: $vgpr180
	s_or_saveexec_b32 s37, s37
	v_mov_b32_e32 v14, s36
	s_xor_b32 exec_lo, exec_lo, s37
	s_cbranch_execz .LBB4_1224
.LBB4_1783:                             ;   in Loop: Header=BB4_394 Depth=4
	v_cmp_ne_u16_e64 vcc_lo, 0, v180
	v_mov_b32_e32 v14, 0
	s_and_not1_b32 s13, s13, exec_lo
	s_delay_alu instid0(VALU_DEP_2) | instskip(NEXT) | instid1(SALU_CYCLE_1)
	s_and_b32 vcc_lo, vcc_lo, exec_lo
	s_or_b32 s13, s13, vcc_lo
	s_or_b32 exec_lo, exec_lo, s37
	s_and_saveexec_b32 s36, s13
	s_cbranch_execnz .LBB4_1225
	s_branch .LBB4_1226
.LBB4_1784:                             ;   in Loop: Header=BB4_394 Depth=4
	s_mov_b32 s36, -1
	s_mov_b32 s38, exec_lo
                                        ; implicit-def: $sgpr37
	v_cmpx_eq_u16_e64 0x80, v180
; %bb.1785:                             ;   in Loop: Header=BB4_394 Depth=4
	s_mov_b32 s37, 0x7f800001
	s_xor_b32 s36, exec_lo, -1
; %bb.1786:                             ;   in Loop: Header=BB4_394 Depth=4
	s_or_b32 exec_lo, exec_lo, s38
	s_delay_alu instid0(SALU_CYCLE_1)
	s_and_b32 s36, s36, exec_lo
	s_or_saveexec_b32 s13, s13
	v_mov_b32_e32 v181, s37
	s_xor_b32 exec_lo, exec_lo, s13
	s_cbranch_execz .LBB4_1238
.LBB4_1787:                             ;   in Loop: Header=BB4_394 Depth=4
	v_cmp_ne_u16_e64 vcc_lo, 0, v180
	v_mov_b32_e32 v181, 0
	s_and_not1_b32 s36, s36, exec_lo
	s_delay_alu instid0(VALU_DEP_2) | instskip(NEXT) | instid1(SALU_CYCLE_1)
	s_and_b32 vcc_lo, vcc_lo, exec_lo
	s_or_b32 s36, s36, vcc_lo
	s_or_b32 exec_lo, exec_lo, s13
	s_and_saveexec_b32 s13, s36
	s_cbranch_execnz .LBB4_1239
	s_branch .LBB4_1240
.LBB4_1788:                             ;   in Loop: Header=BB4_394 Depth=4
	s_mov_b32 s13, -1
	s_mov_b32 s38, exec_lo
                                        ; implicit-def: $sgpr36
	v_cmpx_eq_u16_e64 0x80, v179
; %bb.1789:                             ;   in Loop: Header=BB4_394 Depth=4
	s_mov_b32 s36, 0x7f800001
	s_xor_b32 s13, exec_lo, -1
; %bb.1790:                             ;   in Loop: Header=BB4_394 Depth=4
	s_or_b32 exec_lo, exec_lo, s38
	s_delay_alu instid0(SALU_CYCLE_1)
	s_and_b32 s13, s13, exec_lo
	s_or_saveexec_b32 s37, s37
	v_mov_b32_e32 v182, s36
	s_xor_b32 exec_lo, exec_lo, s37
	s_cbranch_execz .LBB4_1242
.LBB4_1791:                             ;   in Loop: Header=BB4_394 Depth=4
	v_cmp_ne_u16_e64 vcc_lo, 0, v179
	v_mov_b32_e32 v182, 0
	s_and_not1_b32 s13, s13, exec_lo
	s_delay_alu instid0(VALU_DEP_2) | instskip(NEXT) | instid1(SALU_CYCLE_1)
	s_and_b32 vcc_lo, vcc_lo, exec_lo
	s_or_b32 s13, s13, vcc_lo
	s_or_b32 exec_lo, exec_lo, s37
	s_and_saveexec_b32 s36, s13
	s_cbranch_execnz .LBB4_1243
	s_branch .LBB4_1244
.LBB4_1792:                             ;   in Loop: Header=BB4_394 Depth=4
	s_mov_b32 s13, -1
	s_mov_b32 s38, exec_lo
                                        ; implicit-def: $sgpr36
	v_cmpx_eq_u16_e64 0x80, v180
; %bb.1793:                             ;   in Loop: Header=BB4_394 Depth=4
	s_mov_b32 s36, 0x7f800001
	s_xor_b32 s13, exec_lo, -1
; %bb.1794:                             ;   in Loop: Header=BB4_394 Depth=4
	s_or_b32 exec_lo, exec_lo, s38
	s_delay_alu instid0(SALU_CYCLE_1)
	s_and_b32 s13, s13, exec_lo
	s_or_saveexec_b32 s37, s37
	v_mov_b32_e32 v181, s36
	s_xor_b32 exec_lo, exec_lo, s37
	s_cbranch_execz .LBB4_1249
.LBB4_1795:                             ;   in Loop: Header=BB4_394 Depth=4
	v_cmp_ne_u16_e64 vcc_lo, 0, v180
	v_mov_b32_e32 v181, 0
	s_and_not1_b32 s13, s13, exec_lo
	s_delay_alu instid0(VALU_DEP_2) | instskip(NEXT) | instid1(SALU_CYCLE_1)
	s_and_b32 vcc_lo, vcc_lo, exec_lo
	s_or_b32 s13, s13, vcc_lo
	s_or_b32 exec_lo, exec_lo, s37
	s_and_saveexec_b32 s36, s13
	s_cbranch_execnz .LBB4_1250
	s_branch .LBB4_1251
.LBB4_1796:                             ;   in Loop: Header=BB4_394 Depth=4
	s_mov_b32 s13, -1
	s_mov_b32 s38, exec_lo
                                        ; implicit-def: $sgpr36
	v_cmpx_eq_u16_e64 0x80, v179
; %bb.1797:                             ;   in Loop: Header=BB4_394 Depth=4
	s_mov_b32 s36, 0x7f800001
	s_xor_b32 s13, exec_lo, -1
; %bb.1798:                             ;   in Loop: Header=BB4_394 Depth=4
	s_or_b32 exec_lo, exec_lo, s38
	s_delay_alu instid0(SALU_CYCLE_1)
	s_and_b32 s13, s13, exec_lo
	s_or_saveexec_b32 s37, s37
	v_mov_b32_e32 v180, s36
	s_xor_b32 exec_lo, exec_lo, s37
	s_cbranch_execz .LBB4_1253
.LBB4_1799:                             ;   in Loop: Header=BB4_394 Depth=4
	v_cmp_ne_u16_e64 vcc_lo, 0, v179
	v_mov_b32_e32 v180, 0
	s_and_not1_b32 s13, s13, exec_lo
	s_delay_alu instid0(VALU_DEP_2) | instskip(NEXT) | instid1(SALU_CYCLE_1)
	s_and_b32 vcc_lo, vcc_lo, exec_lo
	s_or_b32 s13, s13, vcc_lo
	s_or_b32 exec_lo, exec_lo, s37
	s_and_saveexec_b32 s36, s13
	s_cbranch_execnz .LBB4_1254
	s_branch .LBB4_1255
.LBB4_1800:                             ;   in Loop: Header=BB4_394 Depth=4
	s_mov_b32 s36, -1
	s_mov_b32 s38, exec_lo
                                        ; implicit-def: $sgpr37
	v_cmpx_eq_u16_e64 0x80, v182
; %bb.1801:                             ;   in Loop: Header=BB4_394 Depth=4
	s_mov_b32 s37, 0x7f800001
	s_xor_b32 s36, exec_lo, -1
; %bb.1802:                             ;   in Loop: Header=BB4_394 Depth=4
	s_or_b32 exec_lo, exec_lo, s38
	s_delay_alu instid0(SALU_CYCLE_1)
	s_and_b32 s36, s36, exec_lo
	s_or_saveexec_b32 s13, s13
	v_mov_b32_e32 v183, s37
	s_xor_b32 exec_lo, exec_lo, s13
	s_cbranch_execz .LBB4_1267
.LBB4_1803:                             ;   in Loop: Header=BB4_394 Depth=4
	v_cmp_ne_u16_e64 vcc_lo, 0, v182
	v_mov_b32_e32 v183, 0
	s_and_not1_b32 s36, s36, exec_lo
	s_delay_alu instid0(VALU_DEP_2) | instskip(NEXT) | instid1(SALU_CYCLE_1)
	s_and_b32 vcc_lo, vcc_lo, exec_lo
	s_or_b32 s36, s36, vcc_lo
	s_or_b32 exec_lo, exec_lo, s13
	s_and_saveexec_b32 s13, s36
	s_cbranch_execnz .LBB4_1268
	s_branch .LBB4_1269
.LBB4_1804:                             ;   in Loop: Header=BB4_394 Depth=4
	s_mov_b32 s13, -1
	s_mov_b32 s38, exec_lo
                                        ; implicit-def: $sgpr36
	v_cmpx_eq_u16_e32 0x80, v41
; %bb.1805:                             ;   in Loop: Header=BB4_394 Depth=4
	s_mov_b32 s36, 0x7f800001
	s_xor_b32 s13, exec_lo, -1
; %bb.1806:                             ;   in Loop: Header=BB4_394 Depth=4
	s_or_b32 exec_lo, exec_lo, s38
	s_delay_alu instid0(SALU_CYCLE_1)
	s_and_b32 s13, s13, exec_lo
                                        ; implicit-def: $vgpr41
	s_or_saveexec_b32 s37, s37
	v_mov_b32_e32 v40, s36
	s_xor_b32 exec_lo, exec_lo, s37
	s_cbranch_execz .LBB4_1271
.LBB4_1807:                             ;   in Loop: Header=BB4_394 Depth=4
	v_cmp_ne_u16_e32 vcc_lo, 0, v41
	v_mov_b32_e32 v40, 0
	s_and_not1_b32 s13, s13, exec_lo
	s_and_b32 vcc_lo, vcc_lo, exec_lo
	s_delay_alu instid0(SALU_CYCLE_1)
	s_or_b32 s13, s13, vcc_lo
	s_or_b32 exec_lo, exec_lo, s37
	s_and_saveexec_b32 s36, s13
	s_cbranch_execnz .LBB4_1272
	s_branch .LBB4_1273
.LBB4_1808:                             ;   in Loop: Header=BB4_394 Depth=4
	s_mov_b32 s13, -1
	s_mov_b32 s38, exec_lo
                                        ; implicit-def: $sgpr36
	v_cmpx_eq_u16_e64 0x80, v182
; %bb.1809:                             ;   in Loop: Header=BB4_394 Depth=4
	s_mov_b32 s36, 0x7f800001
	s_xor_b32 s13, exec_lo, -1
; %bb.1810:                             ;   in Loop: Header=BB4_394 Depth=4
	s_or_b32 exec_lo, exec_lo, s38
	s_delay_alu instid0(SALU_CYCLE_1)
	s_and_b32 s13, s13, exec_lo
                                        ; implicit-def: $vgpr182
	s_or_saveexec_b32 s37, s37
	v_mov_b32_e32 v183, s36
	s_xor_b32 exec_lo, exec_lo, s37
	s_cbranch_execz .LBB4_1278
.LBB4_1811:                             ;   in Loop: Header=BB4_394 Depth=4
	v_cmp_ne_u16_e64 vcc_lo, 0, v182
	v_mov_b32_e32 v183, 0
	s_and_not1_b32 s13, s13, exec_lo
	s_delay_alu instid0(VALU_DEP_2) | instskip(NEXT) | instid1(SALU_CYCLE_1)
	s_and_b32 vcc_lo, vcc_lo, exec_lo
	s_or_b32 s13, s13, vcc_lo
	s_or_b32 exec_lo, exec_lo, s37
	s_and_saveexec_b32 s36, s13
	s_cbranch_execnz .LBB4_1279
	s_branch .LBB4_1280
.LBB4_1812:                             ;   in Loop: Header=BB4_394 Depth=4
	s_mov_b32 s13, -1
	s_mov_b32 s38, exec_lo
                                        ; implicit-def: $sgpr36
	v_cmpx_eq_u16_e64 0x80, v182
; %bb.1813:                             ;   in Loop: Header=BB4_394 Depth=4
	s_mov_b32 s36, 0x7f800001
	s_xor_b32 s13, exec_lo, -1
; %bb.1814:                             ;   in Loop: Header=BB4_394 Depth=4
	s_or_b32 exec_lo, exec_lo, s38
	s_delay_alu instid0(SALU_CYCLE_1)
	s_and_b32 s13, s13, exec_lo
                                        ; implicit-def: $vgpr182
	s_or_saveexec_b32 s37, s37
	v_mov_b32_e32 v181, s36
	s_xor_b32 exec_lo, exec_lo, s37
	s_cbranch_execz .LBB4_1282
.LBB4_1815:                             ;   in Loop: Header=BB4_394 Depth=4
	v_cmp_ne_u16_e64 vcc_lo, 0, v182
	v_mov_b32_e32 v181, 0
	s_and_not1_b32 s13, s13, exec_lo
	s_delay_alu instid0(VALU_DEP_2) | instskip(NEXT) | instid1(SALU_CYCLE_1)
	s_and_b32 vcc_lo, vcc_lo, exec_lo
	s_or_b32 s13, s13, vcc_lo
	s_or_b32 exec_lo, exec_lo, s37
	s_and_saveexec_b32 s36, s13
	s_cbranch_execnz .LBB4_1283
	s_branch .LBB4_1284
.LBB4_1816:                             ;   in Loop: Header=BB4_394 Depth=4
	s_mov_b32 s36, -1
	s_mov_b32 s38, exec_lo
                                        ; implicit-def: $sgpr37
	v_cmpx_eq_u16_e64 0x80, v182
; %bb.1817:                             ;   in Loop: Header=BB4_394 Depth=4
	s_mov_b32 s37, 0x7f800001
	s_xor_b32 s36, exec_lo, -1
; %bb.1818:                             ;   in Loop: Header=BB4_394 Depth=4
	s_or_b32 exec_lo, exec_lo, s38
	s_delay_alu instid0(SALU_CYCLE_1)
	s_and_b32 s36, s36, exec_lo
	s_or_saveexec_b32 s13, s13
	v_mov_b32_e32 v183, s37
	s_xor_b32 exec_lo, exec_lo, s13
	s_cbranch_execz .LBB4_1296
.LBB4_1819:                             ;   in Loop: Header=BB4_394 Depth=4
	v_cmp_ne_u16_e64 vcc_lo, 0, v182
	v_mov_b32_e32 v183, 0
	s_and_not1_b32 s36, s36, exec_lo
	s_delay_alu instid0(VALU_DEP_2) | instskip(NEXT) | instid1(SALU_CYCLE_1)
	s_and_b32 vcc_lo, vcc_lo, exec_lo
	s_or_b32 s36, s36, vcc_lo
	s_or_b32 exec_lo, exec_lo, s13
	s_and_saveexec_b32 s13, s36
	s_cbranch_execnz .LBB4_1297
	s_branch .LBB4_1298
.LBB4_1820:                             ;   in Loop: Header=BB4_394 Depth=4
	s_mov_b32 s13, -1
	s_mov_b32 s38, exec_lo
                                        ; implicit-def: $sgpr36
	v_cmpx_eq_u16_e64 0x80, v181
; %bb.1821:                             ;   in Loop: Header=BB4_394 Depth=4
	s_mov_b32 s36, 0x7f800001
	s_xor_b32 s13, exec_lo, -1
; %bb.1822:                             ;   in Loop: Header=BB4_394 Depth=4
	s_or_b32 exec_lo, exec_lo, s38
	s_delay_alu instid0(SALU_CYCLE_1)
	s_and_b32 s13, s13, exec_lo
	s_or_saveexec_b32 s37, s37
	v_mov_b32_e32 v40, s36
	s_xor_b32 exec_lo, exec_lo, s37
	s_cbranch_execz .LBB4_1300
.LBB4_1823:                             ;   in Loop: Header=BB4_394 Depth=4
	v_cmp_ne_u16_e64 vcc_lo, 0, v181
	v_mov_b32_e32 v40, 0
	s_and_not1_b32 s13, s13, exec_lo
	s_delay_alu instid0(VALU_DEP_2) | instskip(NEXT) | instid1(SALU_CYCLE_1)
	s_and_b32 vcc_lo, vcc_lo, exec_lo
	s_or_b32 s13, s13, vcc_lo
	s_or_b32 exec_lo, exec_lo, s37
	s_and_saveexec_b32 s36, s13
	s_cbranch_execnz .LBB4_1301
	s_branch .LBB4_1302
.LBB4_1824:                             ;   in Loop: Header=BB4_394 Depth=4
	s_mov_b32 s13, -1
	s_mov_b32 s38, exec_lo
                                        ; implicit-def: $sgpr36
	v_cmpx_eq_u16_e64 0x80, v182
; %bb.1825:                             ;   in Loop: Header=BB4_394 Depth=4
	s_mov_b32 s36, 0x7f800001
	s_xor_b32 s13, exec_lo, -1
; %bb.1826:                             ;   in Loop: Header=BB4_394 Depth=4
	s_or_b32 exec_lo, exec_lo, s38
	s_delay_alu instid0(SALU_CYCLE_1)
	s_and_b32 s13, s13, exec_lo
	s_or_saveexec_b32 s37, s37
	v_mov_b32_e32 v183, s36
	s_xor_b32 exec_lo, exec_lo, s37
	s_cbranch_execz .LBB4_1307
.LBB4_1827:                             ;   in Loop: Header=BB4_394 Depth=4
	v_cmp_ne_u16_e64 vcc_lo, 0, v182
	v_mov_b32_e32 v183, 0
	s_and_not1_b32 s13, s13, exec_lo
	s_delay_alu instid0(VALU_DEP_2) | instskip(NEXT) | instid1(SALU_CYCLE_1)
	s_and_b32 vcc_lo, vcc_lo, exec_lo
	s_or_b32 s13, s13, vcc_lo
	s_or_b32 exec_lo, exec_lo, s37
	s_and_saveexec_b32 s36, s13
	s_cbranch_execnz .LBB4_1308
	s_branch .LBB4_1309
.LBB4_1828:                             ;   in Loop: Header=BB4_394 Depth=4
	s_mov_b32 s13, -1
	s_mov_b32 s38, exec_lo
                                        ; implicit-def: $sgpr36
	v_cmpx_eq_u16_e64 0x80, v181
; %bb.1829:                             ;   in Loop: Header=BB4_394 Depth=4
	s_mov_b32 s36, 0x7f800001
	s_xor_b32 s13, exec_lo, -1
; %bb.1830:                             ;   in Loop: Header=BB4_394 Depth=4
	s_or_b32 exec_lo, exec_lo, s38
	s_delay_alu instid0(SALU_CYCLE_1)
	s_and_b32 s13, s13, exec_lo
	s_or_saveexec_b32 s37, s37
	v_mov_b32_e32 v15, s36
	s_xor_b32 exec_lo, exec_lo, s37
	s_cbranch_execz .LBB4_1311
.LBB4_1831:                             ;   in Loop: Header=BB4_394 Depth=4
	v_cmp_ne_u16_e64 vcc_lo, 0, v181
	v_mov_b32_e32 v15, 0
	s_and_not1_b32 s13, s13, exec_lo
	s_delay_alu instid0(VALU_DEP_2) | instskip(NEXT) | instid1(SALU_CYCLE_1)
	s_and_b32 vcc_lo, vcc_lo, exec_lo
	s_or_b32 s13, s13, vcc_lo
	s_or_b32 exec_lo, exec_lo, s37
	s_and_saveexec_b32 s36, s13
	s_cbranch_execnz .LBB4_1312
	s_branch .LBB4_1313
.LBB4_1832:                             ;   in Loop: Header=BB4_305 Depth=3
	s_or_b32 exec_lo, exec_lo, s34
.LBB4_1833:                             ;   in Loop: Header=BB4_305 Depth=3
	s_delay_alu instid0(SALU_CYCLE_1) | instskip(SKIP_4) | instid1(VALU_DEP_2)
	s_or_b32 exec_lo, exec_lo, s14
	v_lshlrev_b32_e32 v22, 10, v147
	v_mov_b32_e32 v14, 0
	s_mov_b32 s13, 0
	s_mov_b32 s34, exec_lo
                                        ; implicit-def: $vgpr15
                                        ; implicit-def: $vgpr16
                                        ; implicit-def: $vgpr8
	v_cmpx_ne_u32_e64 v69, v22
	s_cbranch_execz .LBB4_2562
; %bb.1834:                             ;   in Loop: Header=BB4_305 Depth=3
	v_lshlrev_b32_e32 v2, 5, v2
	v_sub_nc_u32_e32 v9, v69, v22
	s_mov_b32 s35, exec_lo
	s_delay_alu instid0(VALU_DEP_2) | instskip(NEXT) | instid1(VALU_DEP_2)
	v_sub_nc_u32_e32 v2, v100, v2
	v_ashrrev_i32_e32 v10, 31, v9
	s_delay_alu instid0(VALU_DEP_2) | instskip(NEXT) | instid1(VALU_DEP_2)
	v_ashrrev_i32_e32 v8, 31, v2
	v_lshrrev_b32_e32 v10, 23, v10
	s_delay_alu instid0(VALU_DEP_2) | instskip(NEXT) | instid1(VALU_DEP_2)
	v_lshrrev_b32_e32 v8, 27, v8
	v_add_nc_u32_e32 v10, v9, v10
	s_delay_alu instid0(VALU_DEP_2) | instskip(NEXT) | instid1(VALU_DEP_1)
	v_add_nc_u32_e32 v8, v2, v8
	v_and_b32_e32 v11, 0xffffffe0, v8
	s_delay_alu instid0(VALU_DEP_1) | instskip(NEXT) | instid1(VALU_DEP_4)
	v_sub_nc_u32_e32 v23, v2, v11
	v_and_b32_e32 v2, 0xfffffe00, v10
	v_ashrrev_i32_e32 v11, 5, v8
	v_ashrrev_i32_e32 v10, 9, v10
	s_delay_alu instid0(VALU_DEP_4) | instskip(NEXT) | instid1(VALU_DEP_4)
	v_lshlrev_b32_e32 v8, 4, v23
	v_sub_nc_u32_e32 v80, v9, v2
	s_delay_alu instid0(VALU_DEP_2) | instskip(NEXT) | instid1(VALU_DEP_2)
	v_lshl_add_u32 v8, v11, 9, v8
	v_cmp_lt_i32_e64 s13, 15, v80
	s_delay_alu instid0(VALU_DEP_2) | instskip(NEXT) | instid1(VALU_DEP_2)
	v_sub_nc_u32_e32 v82, v9, v8
	v_add_co_ci_u32_e64 v10, vcc_lo, 0, v10, s13
	s_delay_alu instid0(VALU_DEP_1) | instskip(NEXT) | instid1(VALU_DEP_3)
	v_sub_nc_u32_e32 v81, v10, v11
	v_cmpx_lt_i32_e32 15, v82
	s_cbranch_execz .LBB4_2559
; %bb.1835:                             ;   in Loop: Header=BB4_305 Depth=3
	s_cbranch_execz .LBB4_1836
; %bb.10862:
	s_getpc_b64 s[48:49]
.Lpost_getpc208:
	s_add_u32 s48, s48, (.LBB4_10538-.Lpost_getpc208)&4294967295
	s_addc_u32 s49, s49, (.LBB4_10538-.Lpost_getpc208)>>32
	s_setpc_b64 s[48:49]
.LBB4_1836:                             ;   in Loop: Header=BB4_305 Depth=3
	ds_load_b128 v[9:12], v0
	ds_load_b64 v[13:14], v0
	v_add_nc_u32_e32 v8, v8, v22
	s_bitcmp1_b32 s31, 0
	s_mov_b32 s36, 0
	s_cselect_b32 s37, -1, 0
	s_delay_alu instid0(VALU_DEP_1) | instskip(SKIP_2) | instid1(VALU_DEP_2)
	v_ashrrev_i32_e32 v15, 31, v8
	s_waitcnt lgkmcnt(1)
	v_add_co_u32 v16, vcc_lo, v9, v8
	v_add_co_ci_u32_e32 v17, vcc_lo, v10, v15, vcc_lo
	v_add_co_u32 v18, vcc_lo, v11, v8
	v_add_co_ci_u32_e32 v19, vcc_lo, v12, v15, vcc_lo
	s_waitcnt lgkmcnt(0)
	v_add_co_u32 v20, vcc_lo, v13, v8
	v_add_co_ci_u32_e32 v21, vcc_lo, v14, v15, vcc_lo
	s_branch .LBB4_1840
.LBB4_1837:                             ;   in Loop: Header=BB4_1840 Depth=4
	s_or_b32 exec_lo, exec_lo, s14
	s_delay_alu instid0(VALU_DEP_1) | instskip(NEXT) | instid1(VALU_DEP_2)
	v_lshrrev_b32_e32 v15, 20, v15
	v_min_i32_e32 v161, 15, v11
	v_cmp_gt_i32_e32 vcc_lo, 16, v11
	v_lshrrev_b32_e32 v162, 24, v163
	s_delay_alu instid0(VALU_DEP_3) | instskip(NEXT) | instid1(VALU_DEP_2)
	v_lshlrev_b32_e32 v161, 3, v161
	v_dual_cndmask_b32 v15, 7, v15 :: v_dual_and_b32 v162, 0x80, v162
	s_delay_alu instid0(VALU_DEP_2) | instskip(NEXT) | instid1(VALU_DEP_2)
	v_and_b32_e32 v161, 0xf8, v161
	v_and_b32_e32 v163, 7, v15
	v_or_b32_e32 v11, v11, v15
	s_delay_alu instid0(VALU_DEP_2) | instskip(NEXT) | instid1(VALU_DEP_2)
	v_or3_b32 v161, v162, v161, v163
	v_cmp_ne_u32_e32 vcc_lo, 0, v11
	s_delay_alu instid0(VALU_DEP_2) | instskip(NEXT) | instid1(VALU_DEP_1)
	v_lshlrev_b32_e32 v15, 8, v161
	v_cndmask_b32_e32 v11, 0, v15, vcc_lo
.LBB4_1838:                             ;   in Loop: Header=BB4_1840 Depth=4
	s_or_b32 exec_lo, exec_lo, s39
.LBB4_1839:                             ;   in Loop: Header=BB4_1840 Depth=4
	s_delay_alu instid0(SALU_CYCLE_1)
	s_or_b32 exec_lo, exec_lo, s38
	v_lshlrev_b32_e32 v15, 8, v147
	v_and_b32_e32 v85, 0xff, v85
	v_or_b32_e32 v9, v9, v148
	v_lshlrev_b32_e32 v84, 8, v84
	v_lshlrev_b32_e32 v147, 8, v149
	v_perm_b32 v12, v15, v12, 0xc0c0500
	v_lshlrev_b32_e32 v15, 16, v85
	v_and_b32_e32 v85, 0xff, v150
	v_lshlrev_b32_e32 v148, 8, v151
	v_lshlrev_b32_e32 v8, 24, v8
	v_perm_b32 v83, v84, v83, 0xc0c0500
	v_lshlrev_b32_e32 v10, 24, v10
	v_lshlrev_b32_e32 v84, 16, v85
	v_perm_b32 v13, v147, v13, 0xc0c0500
	v_perm_b32 v14, v148, v14, 0xc0c0500
	v_or_b32_e32 v11, v11, v160
	v_add_co_u32 v16, vcc_lo, v16, v117
	v_lshl_or_b32 v9, v9, 16, v12
	v_or3_b32 v8, v8, v15, v83
	v_or3_b32 v10, v10, v84, v13
	v_lshl_or_b32 v11, v11, 16, v14
	v_sub_nc_u32_e32 v82, v82, v101
	v_add_co_ci_u32_e32 v17, vcc_lo, v17, v118, vcc_lo
	v_add_co_u32 v18, vcc_lo, v18, v117
	v_add_co_ci_u32_e32 v19, vcc_lo, v19, v118, vcc_lo
	global_store_b128 v[20:21], v[8:11], off glc slc dlc
	v_cmp_gt_i32_e32 vcc_lo, 16, v82
	v_add_co_u32 v20, s14, v20, v117
	s_delay_alu instid0(VALU_DEP_1) | instskip(SKIP_2) | instid1(SALU_CYCLE_1)
	v_add_co_ci_u32_e64 v21, s14, v21, v118, s14
	v_sub_nc_u32_e32 v81, v81, v97
	s_or_b32 s36, vcc_lo, s36
	s_and_not1_b32 exec_lo, exec_lo, s36
	s_cbranch_execz .LBB4_2558
.LBB4_1840:                             ;   Parent Loop BB4_51 Depth=1
                                        ;     Parent Loop BB4_303 Depth=2
                                        ;       Parent Loop BB4_305 Depth=3
                                        ; =>      This Inner Loop Header: Depth=4
	global_load_b128 v[12:15], v[16:17], off slc dlc
	global_load_b128 v[8:11], v[18:19], off slc dlc
	s_and_b32 vcc_lo, exec_lo, s37
	s_cbranch_vccz .LBB4_1850
; %bb.1841:                             ;   in Loop: Header=BB4_1840 Depth=4
	s_waitcnt vmcnt(1)
	v_and_b32_e32 v84, 0xff, v12
	s_mov_b32 s14, 0
	s_mov_b32 s39, exec_lo
                                        ; implicit-def: $sgpr38
	s_delay_alu instid0(VALU_DEP_1)
	v_cmpx_lt_i16_e32 0x7f, v84
	s_xor_b32 s39, exec_lo, s39
	s_cbranch_execnz .LBB4_2302
; %bb.1842:                             ;   in Loop: Header=BB4_1840 Depth=4
	s_or_saveexec_b32 s39, s39
	v_mov_b32_e32 v83, s38
	s_xor_b32 exec_lo, exec_lo, s39
	s_cbranch_execnz .LBB4_2305
.LBB4_1843:                             ;   in Loop: Header=BB4_1840 Depth=4
	s_or_b32 exec_lo, exec_lo, s39
	s_and_saveexec_b32 s38, s14
	s_cbranch_execz .LBB4_1845
.LBB4_1844:                             ;   in Loop: Header=BB4_1840 Depth=4
	v_and_b32_e32 v83, 7, v12
	v_bfe_u32 v147, v12, 3, 4
	s_delay_alu instid0(VALU_DEP_2) | instskip(NEXT) | instid1(VALU_DEP_2)
	v_clz_i32_u32_e32 v84, v83
	v_cmp_eq_u32_e32 vcc_lo, 0, v147
	s_delay_alu instid0(VALU_DEP_2) | instskip(NEXT) | instid1(VALU_DEP_1)
	v_min_u32_e32 v84, 32, v84
	v_subrev_nc_u32_e32 v85, 28, v84
	v_sub_nc_u32_e32 v84, 29, v84
	s_delay_alu instid0(VALU_DEP_2) | instskip(NEXT) | instid1(VALU_DEP_1)
	v_lshlrev_b32_e32 v85, v85, v12
	v_dual_cndmask_b32 v84, v147, v84 :: v_dual_and_b32 v85, 7, v85
	v_lshlrev_b32_e32 v148, 24, v12
	s_delay_alu instid0(VALU_DEP_2) | instskip(NEXT) | instid1(VALU_DEP_3)
	v_lshl_add_u32 v84, v84, 23, 0x3b800000
	v_cndmask_b32_e32 v83, v83, v85, vcc_lo
	s_delay_alu instid0(VALU_DEP_3) | instskip(NEXT) | instid1(VALU_DEP_2)
	v_and_b32_e32 v85, 0x80000000, v148
	v_lshlrev_b32_e32 v83, 20, v83
	s_delay_alu instid0(VALU_DEP_1)
	v_or3_b32 v83, v85, v84, v83
.LBB4_1845:                             ;   in Loop: Header=BB4_1840 Depth=4
	s_or_b32 exec_lo, exec_lo, s38
	s_waitcnt vmcnt(0)
	v_and_b32_e32 v85, 0xff, v8
	s_mov_b32 s14, 0
	s_mov_b32 s39, exec_lo
                                        ; implicit-def: $sgpr38
	s_delay_alu instid0(VALU_DEP_1)
	v_cmpx_lt_i16_e32 0x7f, v85
	s_xor_b32 s39, exec_lo, s39
	s_cbranch_execnz .LBB4_2306
; %bb.1846:                             ;   in Loop: Header=BB4_1840 Depth=4
	s_or_saveexec_b32 s39, s39
	v_mov_b32_e32 v84, s38
	s_xor_b32 exec_lo, exec_lo, s39
	s_cbranch_execnz .LBB4_2309
.LBB4_1847:                             ;   in Loop: Header=BB4_1840 Depth=4
	s_or_b32 exec_lo, exec_lo, s39
	s_and_saveexec_b32 s38, s14
	s_cbranch_execz .LBB4_1849
.LBB4_1848:                             ;   in Loop: Header=BB4_1840 Depth=4
	v_bfe_u32 v148, v8, 3, 4
	s_delay_alu instid0(VALU_DEP_1) | instskip(SKIP_1) | instid1(VALU_DEP_1)
	v_cmp_eq_u32_e32 vcc_lo, 0, v148
	v_and_b32_e32 v84, 7, v8
	v_clz_i32_u32_e32 v85, v84
	s_delay_alu instid0(VALU_DEP_1) | instskip(NEXT) | instid1(VALU_DEP_1)
	v_min_u32_e32 v85, 32, v85
	v_subrev_nc_u32_e32 v147, 28, v85
	v_sub_nc_u32_e32 v85, 29, v85
	s_delay_alu instid0(VALU_DEP_2) | instskip(NEXT) | instid1(VALU_DEP_2)
	v_lshlrev_b32_e32 v147, v147, v8
	v_cndmask_b32_e32 v85, v148, v85, vcc_lo
	s_delay_alu instid0(VALU_DEP_2) | instskip(SKIP_1) | instid1(VALU_DEP_3)
	v_and_b32_e32 v147, 7, v147
	v_lshlrev_b32_e32 v149, 24, v8
	v_lshl_add_u32 v85, v85, 23, 0x3b800000
	s_delay_alu instid0(VALU_DEP_2) | instskip(NEXT) | instid1(VALU_DEP_1)
	v_dual_cndmask_b32 v84, v84, v147 :: v_dual_and_b32 v147, 0x80000000, v149
	v_lshlrev_b32_e32 v84, 20, v84
	s_delay_alu instid0(VALU_DEP_1)
	v_or3_b32 v84, v147, v85, v84
.LBB4_1849:                             ;   in Loop: Header=BB4_1840 Depth=4
	s_or_b32 exec_lo, exec_lo, s38
	s_delay_alu instid0(VALU_DEP_1) | instskip(SKIP_1) | instid1(VALU_DEP_1)
	v_dual_max_f32 v84, v84, v84 :: v_dual_max_f32 v83, v83, v83
	s_mov_b32 s14, 0
	v_max_f32_e32 v84, v83, v84
	s_branch .LBB4_1851
.LBB4_1850:                             ;   in Loop: Header=BB4_1840 Depth=4
	s_mov_b32 s14, -1
                                        ; implicit-def: $vgpr84
.LBB4_1851:                             ;   in Loop: Header=BB4_1840 Depth=4
	s_delay_alu instid0(SALU_CYCLE_1)
	s_and_b32 vcc_lo, exec_lo, s14
	s_cbranch_vccz .LBB4_1861
; %bb.1852:                             ;   in Loop: Header=BB4_1840 Depth=4
	s_waitcnt vmcnt(1)
	v_and_b32_e32 v84, 0xff, v12
	s_mov_b32 s14, 0
	s_mov_b32 s39, exec_lo
                                        ; implicit-def: $sgpr38
	s_delay_alu instid0(VALU_DEP_1)
	v_cmpx_lt_i16_e32 0x7f, v84
	s_xor_b32 s39, exec_lo, s39
	s_cbranch_execnz .LBB4_2310
; %bb.1853:                             ;   in Loop: Header=BB4_1840 Depth=4
	s_or_saveexec_b32 s39, s39
	v_mov_b32_e32 v83, s38
	s_xor_b32 exec_lo, exec_lo, s39
	s_cbranch_execnz .LBB4_2313
.LBB4_1854:                             ;   in Loop: Header=BB4_1840 Depth=4
	s_or_b32 exec_lo, exec_lo, s39
	s_and_saveexec_b32 s38, s14
	s_cbranch_execz .LBB4_1856
.LBB4_1855:                             ;   in Loop: Header=BB4_1840 Depth=4
	v_and_b32_e32 v83, 7, v12
	v_bfe_u32 v147, v12, 3, 4
	s_delay_alu instid0(VALU_DEP_2) | instskip(NEXT) | instid1(VALU_DEP_2)
	v_clz_i32_u32_e32 v84, v83
	v_cmp_eq_u32_e32 vcc_lo, 0, v147
	s_delay_alu instid0(VALU_DEP_2) | instskip(NEXT) | instid1(VALU_DEP_1)
	v_min_u32_e32 v84, 32, v84
	v_subrev_nc_u32_e32 v85, 28, v84
	v_sub_nc_u32_e32 v84, 29, v84
	s_delay_alu instid0(VALU_DEP_2) | instskip(NEXT) | instid1(VALU_DEP_1)
	v_lshlrev_b32_e32 v85, v85, v12
	v_dual_cndmask_b32 v84, v147, v84 :: v_dual_and_b32 v85, 7, v85
	v_lshlrev_b32_e32 v148, 24, v12
	s_delay_alu instid0(VALU_DEP_2) | instskip(NEXT) | instid1(VALU_DEP_3)
	v_lshl_add_u32 v84, v84, 23, 0x3b800000
	v_cndmask_b32_e32 v83, v83, v85, vcc_lo
	s_delay_alu instid0(VALU_DEP_3) | instskip(NEXT) | instid1(VALU_DEP_2)
	v_and_b32_e32 v85, 0x80000000, v148
	v_lshlrev_b32_e32 v83, 20, v83
	s_delay_alu instid0(VALU_DEP_1)
	v_or3_b32 v83, v85, v84, v83
.LBB4_1856:                             ;   in Loop: Header=BB4_1840 Depth=4
	s_or_b32 exec_lo, exec_lo, s38
	s_waitcnt vmcnt(0)
	v_and_b32_e32 v85, 0xff, v8
	s_mov_b32 s14, 0
	s_mov_b32 s39, exec_lo
                                        ; implicit-def: $sgpr38
	s_delay_alu instid0(VALU_DEP_1)
	v_cmpx_lt_i16_e32 0x7f, v85
	s_xor_b32 s39, exec_lo, s39
	s_cbranch_execnz .LBB4_2314
; %bb.1857:                             ;   in Loop: Header=BB4_1840 Depth=4
	s_or_saveexec_b32 s39, s39
	v_mov_b32_e32 v84, s38
	s_xor_b32 exec_lo, exec_lo, s39
	s_cbranch_execnz .LBB4_2317
.LBB4_1858:                             ;   in Loop: Header=BB4_1840 Depth=4
	s_or_b32 exec_lo, exec_lo, s39
	s_and_saveexec_b32 s38, s14
	s_cbranch_execz .LBB4_1860
.LBB4_1859:                             ;   in Loop: Header=BB4_1840 Depth=4
	v_bfe_u32 v148, v8, 3, 4
	s_delay_alu instid0(VALU_DEP_1) | instskip(SKIP_1) | instid1(VALU_DEP_1)
	v_cmp_eq_u32_e32 vcc_lo, 0, v148
	v_and_b32_e32 v84, 7, v8
	v_clz_i32_u32_e32 v85, v84
	s_delay_alu instid0(VALU_DEP_1) | instskip(NEXT) | instid1(VALU_DEP_1)
	v_min_u32_e32 v85, 32, v85
	v_subrev_nc_u32_e32 v147, 28, v85
	v_sub_nc_u32_e32 v85, 29, v85
	s_delay_alu instid0(VALU_DEP_2) | instskip(NEXT) | instid1(VALU_DEP_2)
	v_lshlrev_b32_e32 v147, v147, v8
	v_cndmask_b32_e32 v85, v148, v85, vcc_lo
	s_delay_alu instid0(VALU_DEP_2) | instskip(SKIP_1) | instid1(VALU_DEP_3)
	v_and_b32_e32 v147, 7, v147
	v_lshlrev_b32_e32 v149, 24, v8
	v_lshl_add_u32 v85, v85, 23, 0x3b800000
	s_delay_alu instid0(VALU_DEP_2) | instskip(NEXT) | instid1(VALU_DEP_1)
	v_dual_cndmask_b32 v84, v84, v147 :: v_dual_and_b32 v147, 0x80000000, v149
	v_lshlrev_b32_e32 v84, 20, v84
	s_delay_alu instid0(VALU_DEP_1)
	v_or3_b32 v84, v147, v85, v84
.LBB4_1860:                             ;   in Loop: Header=BB4_1840 Depth=4
	s_or_b32 exec_lo, exec_lo, s38
	s_delay_alu instid0(VALU_DEP_1) | instskip(NEXT) | instid1(VALU_DEP_1)
	v_dual_max_f32 v84, v84, v84 :: v_dual_max_f32 v83, v83, v83
	v_min_f32_e32 v84, v83, v84
.LBB4_1861:                             ;   in Loop: Header=BB4_1840 Depth=4
	s_delay_alu instid0(VALU_DEP_1) | instskip(NEXT) | instid1(VALU_DEP_1)
	v_and_b32_e32 v83, 0x7f800000, v84
	v_cmp_ne_u32_e32 vcc_lo, 0x7f800000, v83
	v_mov_b32_e32 v83, 0x80
	s_and_saveexec_b32 s38, vcc_lo
	s_cbranch_execz .LBB4_1869
; %bb.1862:                             ;   in Loop: Header=BB4_1840 Depth=4
	v_mov_b32_e32 v83, 0
	s_mov_b32 s39, exec_lo
	v_cmpx_ne_u32_e32 0, v84
	s_cbranch_execz .LBB4_1868
; %bb.1863:                             ;   in Loop: Header=BB4_1840 Depth=4
	v_bfe_u32 v83, v84, 23, 8
	v_and_b32_e32 v85, 0x7fffff, v84
	s_delay_alu instid0(VALU_DEP_2) | instskip(SKIP_1) | instid1(VALU_DEP_3)
	v_sub_nc_u32_e32 v147, 0x78, v83
	v_cmp_gt_u32_e32 vcc_lo, 0x79, v83
	v_or_b32_e32 v148, 0x800000, v85
	s_delay_alu instid0(VALU_DEP_3) | instskip(SKIP_2) | instid1(VALU_DEP_3)
	v_cndmask_b32_e32 v147, 0, v147, vcc_lo
	v_cmp_eq_u32_e32 vcc_lo, 0, v83
	v_add_nc_u32_e32 v83, 0xffffff89, v83
	v_cndmask_b32_e64 v147, v147, 0x77, vcc_lo
	v_cndmask_b32_e32 v85, v148, v85, vcc_lo
	s_delay_alu instid0(VALU_DEP_3) | instskip(NEXT) | instid1(VALU_DEP_3)
	v_cndmask_b32_e64 v83, v83, 0xffffff8a, vcc_lo
	v_lshl_add_u32 v148, 0x100000, v147, -1
	s_delay_alu instid0(VALU_DEP_3) | instskip(SKIP_1) | instid1(VALU_DEP_4)
	v_lshrrev_b32_e32 v149, v147, v85
	v_lshlrev_b32_e64 v151, v147, 0x80000
	v_add_nc_u32_e32 v147, v147, v83
	s_delay_alu instid0(VALU_DEP_4) | instskip(NEXT) | instid1(VALU_DEP_4)
	v_and_b32_e32 v85, v148, v85
	v_bfe_u32 v150, v149, 20, 1
	s_delay_alu instid0(VALU_DEP_2) | instskip(NEXT) | instid1(VALU_DEP_2)
	v_cmp_eq_u32_e64 s14, v85, v151
	v_add_nc_u32_e32 v148, -1, v150
	s_delay_alu instid0(VALU_DEP_1) | instskip(SKIP_2) | instid1(VALU_DEP_2)
	v_cndmask_b32_e64 v85, 0, v148, s14
	v_lshrrev_b32_e32 v148, 23, v149
	s_mov_b32 s14, exec_lo
	v_add_nc_u32_e32 v85, v85, v149
	s_delay_alu instid0(VALU_DEP_2) | instskip(NEXT) | instid1(VALU_DEP_2)
	v_xor_b32_e32 v148, 1, v148
	v_and_b32_e32 v83, 0xfffff, v85
	s_delay_alu instid0(VALU_DEP_1) | instskip(NEXT) | instid1(VALU_DEP_3)
	v_add_nc_u32_e32 v85, v83, v149
                                        ; implicit-def: $vgpr83
	v_cmpx_ne_u32_e64 v147, v148
	s_xor_b32 s14, exec_lo, s14
; %bb.1864:                             ;   in Loop: Header=BB4_1840 Depth=4
	s_delay_alu instid0(VALU_DEP_2) | instskip(SKIP_2) | instid1(VALU_DEP_2)
	v_cmp_lt_u32_e32 vcc_lo, 0xffffff, v85
	v_sub_nc_u32_e32 v83, v147, v148
	v_cndmask_b32_e64 v147, 0, 1, vcc_lo
	v_add_co_ci_u32_e32 v83, vcc_lo, 0, v83, vcc_lo
	s_delay_alu instid0(VALU_DEP_2)
	v_lshrrev_b32_e32 v85, v147, v85
; %bb.1865:                             ;   in Loop: Header=BB4_1840 Depth=4
	s_and_not1_saveexec_b32 s14, s14
; %bb.1866:                             ;   in Loop: Header=BB4_1840 Depth=4
	s_delay_alu instid0(VALU_DEP_1)
	v_bfe_u32 v83, v85, 23, 1
; %bb.1867:                             ;   in Loop: Header=BB4_1840 Depth=4
	s_or_b32 exec_lo, exec_lo, s14
	v_lshrrev_b32_e32 v85, 20, v85
	s_delay_alu instid0(VALU_DEP_2) | instskip(SKIP_2) | instid1(VALU_DEP_2)
	v_cmp_gt_i32_e32 vcc_lo, 16, v83
	v_lshrrev_b32_e32 v84, 24, v84
	v_min_i32_e32 v147, 15, v83
	v_dual_cndmask_b32 v85, 7, v85 :: v_dual_and_b32 v84, 0x80, v84
	s_delay_alu instid0(VALU_DEP_2) | instskip(NEXT) | instid1(VALU_DEP_2)
	v_lshlrev_b32_e32 v147, 3, v147
	v_or_b32_e32 v83, v83, v85
	s_delay_alu instid0(VALU_DEP_1) | instskip(SKIP_1) | instid1(VALU_DEP_1)
	v_cmp_ne_u32_e32 vcc_lo, 0, v83
	v_and_b32_e32 v148, 7, v85
	v_or3_b32 v84, v147, v84, v148
	s_delay_alu instid0(VALU_DEP_1)
	v_cndmask_b32_e32 v83, 0, v84, vcc_lo
.LBB4_1868:                             ;   in Loop: Header=BB4_1840 Depth=4
	s_or_b32 exec_lo, exec_lo, s39
.LBB4_1869:                             ;   in Loop: Header=BB4_1840 Depth=4
	s_delay_alu instid0(SALU_CYCLE_1)
	s_or_b32 exec_lo, exec_lo, s38
	s_waitcnt vmcnt(1)
	v_lshrrev_b16 v85, 8, v12
	s_waitcnt vmcnt(0)
	v_lshrrev_b16 v84, 8, v8
	s_and_b32 vcc_lo, exec_lo, s37
	s_cbranch_vccz .LBB4_1879
; %bb.1870:                             ;   in Loop: Header=BB4_1840 Depth=4
	s_mov_b32 s14, 0
	s_mov_b32 s39, exec_lo
                                        ; implicit-def: $sgpr38
	v_cmpx_lt_i16_e32 0x7f, v85
	s_xor_b32 s39, exec_lo, s39
	s_cbranch_execnz .LBB4_2318
; %bb.1871:                             ;   in Loop: Header=BB4_1840 Depth=4
	s_or_saveexec_b32 s39, s39
	v_mov_b32_e32 v147, s38
	s_xor_b32 exec_lo, exec_lo, s39
	s_cbranch_execnz .LBB4_2321
.LBB4_1872:                             ;   in Loop: Header=BB4_1840 Depth=4
	s_or_b32 exec_lo, exec_lo, s39
	s_and_saveexec_b32 s38, s14
	s_cbranch_execz .LBB4_1874
.LBB4_1873:                             ;   in Loop: Header=BB4_1840 Depth=4
	v_and_b32_e32 v147, 0xffff, v85
	v_lshlrev_b32_e32 v151, 16, v12
	s_delay_alu instid0(VALU_DEP_2) | instskip(NEXT) | instid1(VALU_DEP_1)
	v_and_b32_e32 v148, 7, v147
	v_clz_i32_u32_e32 v149, v148
	s_delay_alu instid0(VALU_DEP_1) | instskip(NEXT) | instid1(VALU_DEP_1)
	v_min_u32_e32 v149, 32, v149
	v_subrev_nc_u32_e32 v150, 28, v149
	v_sub_nc_u32_e32 v149, 29, v149
	s_delay_alu instid0(VALU_DEP_2) | instskip(SKIP_1) | instid1(VALU_DEP_2)
	v_lshlrev_b32_e32 v150, v150, v147
	v_bfe_u32 v147, v147, 3, 4
	v_and_b32_e32 v150, 7, v150
	s_delay_alu instid0(VALU_DEP_2) | instskip(NEXT) | instid1(VALU_DEP_2)
	v_cmp_eq_u32_e32 vcc_lo, 0, v147
	v_dual_cndmask_b32 v147, v147, v149 :: v_dual_cndmask_b32 v148, v148, v150
	v_and_b32_e32 v149, 0x80000000, v151
	s_delay_alu instid0(VALU_DEP_2) | instskip(NEXT) | instid1(VALU_DEP_3)
	v_lshl_add_u32 v147, v147, 23, 0x3b800000
	v_lshlrev_b32_e32 v148, 20, v148
	s_delay_alu instid0(VALU_DEP_1)
	v_or3_b32 v147, v149, v147, v148
.LBB4_1874:                             ;   in Loop: Header=BB4_1840 Depth=4
	s_or_b32 exec_lo, exec_lo, s38
	s_mov_b32 s14, 0
	s_mov_b32 s39, exec_lo
                                        ; implicit-def: $sgpr38
	v_cmpx_lt_i16_e32 0x7f, v84
	s_xor_b32 s39, exec_lo, s39
	s_cbranch_execnz .LBB4_2322
; %bb.1875:                             ;   in Loop: Header=BB4_1840 Depth=4
	s_or_saveexec_b32 s39, s39
	v_mov_b32_e32 v148, s38
	s_xor_b32 exec_lo, exec_lo, s39
	s_cbranch_execnz .LBB4_2325
.LBB4_1876:                             ;   in Loop: Header=BB4_1840 Depth=4
	s_or_b32 exec_lo, exec_lo, s39
	s_and_saveexec_b32 s38, s14
	s_cbranch_execz .LBB4_1878
.LBB4_1877:                             ;   in Loop: Header=BB4_1840 Depth=4
	v_and_b32_e32 v148, 0xffff, v84
	v_lshlrev_b32_e32 v160, 16, v8
	s_delay_alu instid0(VALU_DEP_2) | instskip(NEXT) | instid1(VALU_DEP_1)
	v_and_b32_e32 v149, 7, v148
	v_clz_i32_u32_e32 v150, v149
	s_delay_alu instid0(VALU_DEP_1) | instskip(NEXT) | instid1(VALU_DEP_1)
	v_min_u32_e32 v150, 32, v150
	v_subrev_nc_u32_e32 v151, 28, v150
	v_sub_nc_u32_e32 v150, 29, v150
	s_delay_alu instid0(VALU_DEP_2) | instskip(SKIP_1) | instid1(VALU_DEP_2)
	v_lshlrev_b32_e32 v151, v151, v148
	v_bfe_u32 v148, v148, 3, 4
	v_and_b32_e32 v151, 7, v151
	s_delay_alu instid0(VALU_DEP_2) | instskip(NEXT) | instid1(VALU_DEP_2)
	v_cmp_eq_u32_e32 vcc_lo, 0, v148
	v_dual_cndmask_b32 v148, v148, v150 :: v_dual_cndmask_b32 v149, v149, v151
	v_and_b32_e32 v150, 0x80000000, v160
	s_delay_alu instid0(VALU_DEP_2) | instskip(NEXT) | instid1(VALU_DEP_3)
	v_lshl_add_u32 v148, v148, 23, 0x3b800000
	v_lshlrev_b32_e32 v149, 20, v149
	s_delay_alu instid0(VALU_DEP_1)
	v_or3_b32 v148, v150, v148, v149
.LBB4_1878:                             ;   in Loop: Header=BB4_1840 Depth=4
	s_or_b32 exec_lo, exec_lo, s38
	s_delay_alu instid0(VALU_DEP_1) | instskip(SKIP_1) | instid1(VALU_DEP_1)
	v_dual_max_f32 v148, v148, v148 :: v_dual_max_f32 v147, v147, v147
	s_mov_b32 s14, 0
	v_max_f32_e32 v147, v147, v148
	s_branch .LBB4_1880
.LBB4_1879:                             ;   in Loop: Header=BB4_1840 Depth=4
	s_mov_b32 s14, -1
                                        ; implicit-def: $vgpr147
.LBB4_1880:                             ;   in Loop: Header=BB4_1840 Depth=4
	s_delay_alu instid0(SALU_CYCLE_1)
	s_and_b32 vcc_lo, exec_lo, s14
	s_cbranch_vccz .LBB4_1890
; %bb.1881:                             ;   in Loop: Header=BB4_1840 Depth=4
	s_mov_b32 s14, 0
	s_mov_b32 s39, exec_lo
                                        ; implicit-def: $sgpr38
	v_cmpx_lt_i16_e32 0x7f, v85
	s_xor_b32 s39, exec_lo, s39
	s_cbranch_execnz .LBB4_2326
; %bb.1882:                             ;   in Loop: Header=BB4_1840 Depth=4
	s_or_saveexec_b32 s39, s39
	v_mov_b32_e32 v147, s38
	s_xor_b32 exec_lo, exec_lo, s39
	s_cbranch_execnz .LBB4_2329
.LBB4_1883:                             ;   in Loop: Header=BB4_1840 Depth=4
	s_or_b32 exec_lo, exec_lo, s39
	s_and_saveexec_b32 s38, s14
	s_cbranch_execz .LBB4_1885
.LBB4_1884:                             ;   in Loop: Header=BB4_1840 Depth=4
	v_and_b32_e32 v85, 0xffff, v85
	s_delay_alu instid0(VALU_DEP_1) | instskip(NEXT) | instid1(VALU_DEP_1)
	v_and_b32_e32 v147, 7, v85
	v_clz_i32_u32_e32 v148, v147
	s_delay_alu instid0(VALU_DEP_1) | instskip(NEXT) | instid1(VALU_DEP_1)
	v_min_u32_e32 v148, 32, v148
	v_subrev_nc_u32_e32 v149, 28, v148
	v_sub_nc_u32_e32 v148, 29, v148
	s_delay_alu instid0(VALU_DEP_2) | instskip(SKIP_1) | instid1(VALU_DEP_2)
	v_lshlrev_b32_e32 v149, v149, v85
	v_bfe_u32 v85, v85, 3, 4
	v_and_b32_e32 v149, 7, v149
	s_delay_alu instid0(VALU_DEP_2) | instskip(NEXT) | instid1(VALU_DEP_2)
	v_cmp_eq_u32_e32 vcc_lo, 0, v85
	v_dual_cndmask_b32 v147, v147, v149 :: v_dual_lshlrev_b32 v150, 16, v12
	s_delay_alu instid0(VALU_DEP_1) | instskip(NEXT) | instid1(VALU_DEP_2)
	v_dual_cndmask_b32 v85, v85, v148 :: v_dual_and_b32 v148, 0x80000000, v150
	v_lshlrev_b32_e32 v147, 20, v147
	s_delay_alu instid0(VALU_DEP_2) | instskip(NEXT) | instid1(VALU_DEP_1)
	v_lshl_add_u32 v85, v85, 23, 0x3b800000
	v_or3_b32 v147, v148, v85, v147
.LBB4_1885:                             ;   in Loop: Header=BB4_1840 Depth=4
	s_or_b32 exec_lo, exec_lo, s38
	s_mov_b32 s14, 0
	s_mov_b32 s39, exec_lo
                                        ; implicit-def: $sgpr38
	v_cmpx_lt_i16_e32 0x7f, v84
	s_xor_b32 s39, exec_lo, s39
	s_cbranch_execnz .LBB4_2330
; %bb.1886:                             ;   in Loop: Header=BB4_1840 Depth=4
	s_or_saveexec_b32 s39, s39
	v_mov_b32_e32 v85, s38
	s_xor_b32 exec_lo, exec_lo, s39
	s_cbranch_execnz .LBB4_2333
.LBB4_1887:                             ;   in Loop: Header=BB4_1840 Depth=4
	s_or_b32 exec_lo, exec_lo, s39
	s_and_saveexec_b32 s38, s14
	s_cbranch_execz .LBB4_1889
.LBB4_1888:                             ;   in Loop: Header=BB4_1840 Depth=4
	v_and_b32_e32 v84, 0xffff, v84
	v_lshlrev_b32_e32 v150, 16, v8
	s_delay_alu instid0(VALU_DEP_2) | instskip(NEXT) | instid1(VALU_DEP_1)
	v_and_b32_e32 v85, 7, v84
	v_clz_i32_u32_e32 v148, v85
	s_delay_alu instid0(VALU_DEP_1) | instskip(NEXT) | instid1(VALU_DEP_1)
	v_min_u32_e32 v148, 32, v148
	v_subrev_nc_u32_e32 v149, 28, v148
	v_sub_nc_u32_e32 v148, 29, v148
	s_delay_alu instid0(VALU_DEP_2) | instskip(SKIP_1) | instid1(VALU_DEP_1)
	v_lshlrev_b32_e32 v149, v149, v84
	v_bfe_u32 v84, v84, 3, 4
	v_cmp_eq_u32_e32 vcc_lo, 0, v84
	s_delay_alu instid0(VALU_DEP_3) | instskip(NEXT) | instid1(VALU_DEP_1)
	v_dual_cndmask_b32 v84, v84, v148 :: v_dual_and_b32 v149, 7, v149
	v_dual_cndmask_b32 v85, v85, v149 :: v_dual_and_b32 v148, 0x80000000, v150
	s_delay_alu instid0(VALU_DEP_2) | instskip(NEXT) | instid1(VALU_DEP_2)
	v_lshl_add_u32 v84, v84, 23, 0x3b800000
	v_lshlrev_b32_e32 v85, 20, v85
	s_delay_alu instid0(VALU_DEP_1)
	v_or3_b32 v85, v148, v84, v85
.LBB4_1889:                             ;   in Loop: Header=BB4_1840 Depth=4
	s_or_b32 exec_lo, exec_lo, s38
	s_delay_alu instid0(VALU_DEP_1) | instskip(NEXT) | instid1(VALU_DEP_1)
	v_dual_max_f32 v84, v85, v85 :: v_dual_max_f32 v85, v147, v147
	v_min_f32_e32 v147, v85, v84
.LBB4_1890:                             ;   in Loop: Header=BB4_1840 Depth=4
	s_delay_alu instid0(VALU_DEP_1) | instskip(NEXT) | instid1(VALU_DEP_1)
	v_and_b32_e32 v84, 0x7f800000, v147
	v_cmp_ne_u32_e32 vcc_lo, 0x7f800000, v84
	v_mov_b32_e32 v84, 0x80
	s_and_saveexec_b32 s38, vcc_lo
	s_cbranch_execz .LBB4_1898
; %bb.1891:                             ;   in Loop: Header=BB4_1840 Depth=4
	v_mov_b32_e32 v84, 0
	s_mov_b32 s39, exec_lo
	v_cmpx_ne_u32_e32 0, v147
	s_cbranch_execz .LBB4_1897
; %bb.1892:                             ;   in Loop: Header=BB4_1840 Depth=4
	v_bfe_u32 v84, v147, 23, 8
	s_delay_alu instid0(VALU_DEP_1) | instskip(SKIP_1) | instid1(VALU_DEP_2)
	v_sub_nc_u32_e32 v148, 0x78, v84
	v_cmp_gt_u32_e32 vcc_lo, 0x79, v84
	v_dual_cndmask_b32 v148, 0, v148 :: v_dual_and_b32 v85, 0x7fffff, v147
	s_delay_alu instid0(VALU_DEP_1) | instskip(SKIP_2) | instid1(VALU_DEP_4)
	v_or_b32_e32 v149, 0x800000, v85
	v_cmp_eq_u32_e32 vcc_lo, 0, v84
	v_add_nc_u32_e32 v84, 0xffffff89, v84
	v_cndmask_b32_e64 v148, v148, 0x77, vcc_lo
	s_delay_alu instid0(VALU_DEP_4) | instskip(NEXT) | instid1(VALU_DEP_3)
	v_cndmask_b32_e32 v85, v149, v85, vcc_lo
	v_cndmask_b32_e64 v84, v84, 0xffffff8a, vcc_lo
	s_delay_alu instid0(VALU_DEP_3) | instskip(NEXT) | instid1(VALU_DEP_3)
	v_lshl_add_u32 v149, 0x100000, v148, -1
	v_lshrrev_b32_e32 v150, v148, v85
	v_lshlrev_b32_e64 v160, v148, 0x80000
	s_delay_alu instid0(VALU_DEP_4) | instskip(NEXT) | instid1(VALU_DEP_4)
	v_add_nc_u32_e32 v148, v148, v84
	v_and_b32_e32 v85, v149, v85
	s_delay_alu instid0(VALU_DEP_4) | instskip(NEXT) | instid1(VALU_DEP_2)
	v_bfe_u32 v151, v150, 20, 1
	v_cmp_eq_u32_e64 s14, v85, v160
	s_delay_alu instid0(VALU_DEP_2) | instskip(NEXT) | instid1(VALU_DEP_1)
	v_add_nc_u32_e32 v149, -1, v151
	v_cndmask_b32_e64 v85, 0, v149, s14
	v_lshrrev_b32_e32 v149, 23, v150
	s_mov_b32 s14, exec_lo
	s_delay_alu instid0(VALU_DEP_2) | instskip(NEXT) | instid1(VALU_DEP_2)
	v_add_nc_u32_e32 v85, v85, v150
	v_xor_b32_e32 v149, 1, v149
	s_delay_alu instid0(VALU_DEP_2) | instskip(NEXT) | instid1(VALU_DEP_1)
	v_and_b32_e32 v84, 0xfffff, v85
	v_add_nc_u32_e32 v85, v84, v150
                                        ; implicit-def: $vgpr84
	s_delay_alu instid0(VALU_DEP_3)
	v_cmpx_ne_u32_e64 v148, v149
	s_xor_b32 s14, exec_lo, s14
; %bb.1893:                             ;   in Loop: Header=BB4_1840 Depth=4
	s_delay_alu instid0(VALU_DEP_2) | instskip(SKIP_2) | instid1(VALU_DEP_2)
	v_cmp_lt_u32_e32 vcc_lo, 0xffffff, v85
	v_sub_nc_u32_e32 v84, v148, v149
	v_cndmask_b32_e64 v148, 0, 1, vcc_lo
	v_add_co_ci_u32_e32 v84, vcc_lo, 0, v84, vcc_lo
	s_delay_alu instid0(VALU_DEP_2)
	v_lshrrev_b32_e32 v85, v148, v85
; %bb.1894:                             ;   in Loop: Header=BB4_1840 Depth=4
	s_and_not1_saveexec_b32 s14, s14
; %bb.1895:                             ;   in Loop: Header=BB4_1840 Depth=4
	s_delay_alu instid0(VALU_DEP_1)
	v_bfe_u32 v84, v85, 23, 1
; %bb.1896:                             ;   in Loop: Header=BB4_1840 Depth=4
	s_or_b32 exec_lo, exec_lo, s14
	v_lshrrev_b32_e32 v85, 20, v85
	s_delay_alu instid0(VALU_DEP_2) | instskip(SKIP_2) | instid1(VALU_DEP_2)
	v_cmp_gt_i32_e32 vcc_lo, 16, v84
	v_min_i32_e32 v148, 15, v84
	v_lshrrev_b32_e32 v147, 24, v147
	v_dual_cndmask_b32 v85, 7, v85 :: v_dual_lshlrev_b32 v148, 3, v148
	s_delay_alu instid0(VALU_DEP_1) | instskip(SKIP_1) | instid1(VALU_DEP_2)
	v_or_b32_e32 v84, v84, v85
	v_and_b32_e32 v149, 7, v85
	v_cmp_ne_u32_e32 vcc_lo, 0, v84
	v_and_b32_e32 v147, 0x80, v147
	s_delay_alu instid0(VALU_DEP_1) | instskip(NEXT) | instid1(VALU_DEP_1)
	v_or3_b32 v85, v148, v147, v149
	v_cndmask_b32_e32 v84, 0, v85, vcc_lo
.LBB4_1897:                             ;   in Loop: Header=BB4_1840 Depth=4
	s_or_b32 exec_lo, exec_lo, s39
.LBB4_1898:                             ;   in Loop: Header=BB4_1840 Depth=4
	s_delay_alu instid0(SALU_CYCLE_1)
	s_or_b32 exec_lo, exec_lo, s38
	v_lshrrev_b32_e32 v147, 16, v12
	v_lshrrev_b32_e32 v85, 16, v8
	s_and_b32 vcc_lo, exec_lo, s37
	s_cbranch_vccz .LBB4_1908
; %bb.1899:                             ;   in Loop: Header=BB4_1840 Depth=4
	s_delay_alu instid0(VALU_DEP_2) | instskip(SKIP_2) | instid1(VALU_DEP_1)
	v_and_b32_e32 v149, 0xff, v147
	s_mov_b32 s14, 0
	s_mov_b32 s39, exec_lo
                                        ; implicit-def: $sgpr38
	v_cmpx_lt_i16_e64 0x7f, v149
	s_xor_b32 s39, exec_lo, s39
	s_cbranch_execnz .LBB4_2334
; %bb.1900:                             ;   in Loop: Header=BB4_1840 Depth=4
	s_or_saveexec_b32 s39, s39
	v_mov_b32_e32 v148, s38
	s_xor_b32 exec_lo, exec_lo, s39
	s_cbranch_execnz .LBB4_2337
.LBB4_1901:                             ;   in Loop: Header=BB4_1840 Depth=4
	s_or_b32 exec_lo, exec_lo, s39
	s_and_saveexec_b32 s38, s14
	s_cbranch_execz .LBB4_1903
.LBB4_1902:                             ;   in Loop: Header=BB4_1840 Depth=4
	v_bfe_u32 v148, v12, 16, 3
	v_bfe_u32 v151, v12, 19, 4
	v_lshlrev_b32_e32 v160, 24, v147
	s_delay_alu instid0(VALU_DEP_3) | instskip(NEXT) | instid1(VALU_DEP_3)
	v_clz_i32_u32_e32 v149, v148
	v_cmp_eq_u32_e32 vcc_lo, 0, v151
	s_delay_alu instid0(VALU_DEP_2) | instskip(NEXT) | instid1(VALU_DEP_1)
	v_min_u32_e32 v149, 32, v149
	v_subrev_nc_u32_e32 v150, 28, v149
	v_sub_nc_u32_e32 v149, 29, v149
	s_delay_alu instid0(VALU_DEP_1) | instskip(NEXT) | instid1(VALU_DEP_1)
	v_dual_cndmask_b32 v149, v151, v149 :: v_dual_lshlrev_b32 v150, v150, v147
	v_and_b32_e32 v150, 7, v150
	s_delay_alu instid0(VALU_DEP_2) | instskip(NEXT) | instid1(VALU_DEP_2)
	v_lshl_add_u32 v149, v149, 23, 0x3b800000
	v_cndmask_b32_e32 v148, v148, v150, vcc_lo
	v_and_b32_e32 v150, 0x80000000, v160
	s_delay_alu instid0(VALU_DEP_2) | instskip(NEXT) | instid1(VALU_DEP_1)
	v_lshlrev_b32_e32 v148, 20, v148
	v_or3_b32 v148, v150, v149, v148
.LBB4_1903:                             ;   in Loop: Header=BB4_1840 Depth=4
	s_or_b32 exec_lo, exec_lo, s38
	v_and_b32_e32 v150, 0xff, v85
	s_mov_b32 s14, 0
	s_mov_b32 s39, exec_lo
                                        ; implicit-def: $sgpr38
	s_delay_alu instid0(VALU_DEP_1)
	v_cmpx_lt_i16_e64 0x7f, v150
	s_xor_b32 s39, exec_lo, s39
	s_cbranch_execnz .LBB4_2338
; %bb.1904:                             ;   in Loop: Header=BB4_1840 Depth=4
	s_or_saveexec_b32 s39, s39
	v_mov_b32_e32 v149, s38
	s_xor_b32 exec_lo, exec_lo, s39
	s_cbranch_execnz .LBB4_2341
.LBB4_1905:                             ;   in Loop: Header=BB4_1840 Depth=4
	s_or_b32 exec_lo, exec_lo, s39
	s_and_saveexec_b32 s38, s14
	s_cbranch_execz .LBB4_1907
.LBB4_1906:                             ;   in Loop: Header=BB4_1840 Depth=4
	v_bfe_u32 v149, v8, 16, 3
	v_bfe_u32 v160, v8, 19, 4
	v_lshlrev_b32_e32 v161, 24, v85
	s_delay_alu instid0(VALU_DEP_3) | instskip(NEXT) | instid1(VALU_DEP_3)
	v_clz_i32_u32_e32 v150, v149
	v_cmp_eq_u32_e32 vcc_lo, 0, v160
	s_delay_alu instid0(VALU_DEP_2) | instskip(NEXT) | instid1(VALU_DEP_1)
	v_min_u32_e32 v150, 32, v150
	v_subrev_nc_u32_e32 v151, 28, v150
	v_sub_nc_u32_e32 v150, 29, v150
	s_delay_alu instid0(VALU_DEP_1) | instskip(NEXT) | instid1(VALU_DEP_1)
	v_dual_cndmask_b32 v150, v160, v150 :: v_dual_lshlrev_b32 v151, v151, v85
	v_and_b32_e32 v151, 7, v151
	s_delay_alu instid0(VALU_DEP_2) | instskip(NEXT) | instid1(VALU_DEP_2)
	v_lshl_add_u32 v150, v150, 23, 0x3b800000
	v_cndmask_b32_e32 v149, v149, v151, vcc_lo
	v_and_b32_e32 v151, 0x80000000, v161
	s_delay_alu instid0(VALU_DEP_2) | instskip(NEXT) | instid1(VALU_DEP_1)
	v_lshlrev_b32_e32 v149, 20, v149
	v_or3_b32 v149, v151, v150, v149
.LBB4_1907:                             ;   in Loop: Header=BB4_1840 Depth=4
	s_or_b32 exec_lo, exec_lo, s38
	s_delay_alu instid0(VALU_DEP_1) | instskip(SKIP_1) | instid1(VALU_DEP_1)
	v_dual_max_f32 v149, v149, v149 :: v_dual_max_f32 v148, v148, v148
	s_mov_b32 s14, 0
	v_max_f32_e32 v148, v148, v149
	s_branch .LBB4_1909
.LBB4_1908:                             ;   in Loop: Header=BB4_1840 Depth=4
	s_mov_b32 s14, -1
                                        ; implicit-def: $vgpr148
.LBB4_1909:                             ;   in Loop: Header=BB4_1840 Depth=4
	s_delay_alu instid0(SALU_CYCLE_1)
	s_and_b32 vcc_lo, exec_lo, s14
	s_cbranch_vccz .LBB4_1919
; %bb.1910:                             ;   in Loop: Header=BB4_1840 Depth=4
	v_and_b32_e32 v149, 0xff, v147
	s_mov_b32 s14, 0
	s_mov_b32 s39, exec_lo
                                        ; implicit-def: $sgpr38
	s_delay_alu instid0(VALU_DEP_1)
	v_cmpx_lt_i16_e64 0x7f, v149
	s_xor_b32 s39, exec_lo, s39
	s_cbranch_execnz .LBB4_2342
; %bb.1911:                             ;   in Loop: Header=BB4_1840 Depth=4
	s_or_saveexec_b32 s39, s39
	v_mov_b32_e32 v148, s38
	s_xor_b32 exec_lo, exec_lo, s39
	s_cbranch_execnz .LBB4_2345
.LBB4_1912:                             ;   in Loop: Header=BB4_1840 Depth=4
	s_or_b32 exec_lo, exec_lo, s39
	s_and_saveexec_b32 s38, s14
	s_cbranch_execz .LBB4_1914
.LBB4_1913:                             ;   in Loop: Header=BB4_1840 Depth=4
	v_bfe_u32 v148, v12, 16, 3
	v_bfe_u32 v151, v12, 19, 4
	s_delay_alu instid0(VALU_DEP_2) | instskip(NEXT) | instid1(VALU_DEP_2)
	v_clz_i32_u32_e32 v149, v148
	v_cmp_eq_u32_e32 vcc_lo, 0, v151
	s_delay_alu instid0(VALU_DEP_2) | instskip(NEXT) | instid1(VALU_DEP_1)
	v_min_u32_e32 v149, 32, v149
	v_subrev_nc_u32_e32 v150, 28, v149
	v_sub_nc_u32_e32 v149, 29, v149
	s_delay_alu instid0(VALU_DEP_1) | instskip(NEXT) | instid1(VALU_DEP_1)
	v_dual_cndmask_b32 v149, v151, v149 :: v_dual_lshlrev_b32 v150, v150, v147
	v_and_b32_e32 v150, 7, v150
	v_lshlrev_b32_e32 v147, 24, v147
	s_delay_alu instid0(VALU_DEP_3) | instskip(NEXT) | instid1(VALU_DEP_2)
	v_lshl_add_u32 v149, v149, 23, 0x3b800000
	v_dual_cndmask_b32 v148, v148, v150 :: v_dual_and_b32 v147, 0x80000000, v147
	s_delay_alu instid0(VALU_DEP_1) | instskip(NEXT) | instid1(VALU_DEP_1)
	v_lshlrev_b32_e32 v148, 20, v148
	v_or3_b32 v148, v147, v149, v148
.LBB4_1914:                             ;   in Loop: Header=BB4_1840 Depth=4
	s_or_b32 exec_lo, exec_lo, s38
	v_and_b32_e32 v149, 0xff, v85
	s_mov_b32 s14, 0
	s_mov_b32 s39, exec_lo
                                        ; implicit-def: $sgpr38
	s_delay_alu instid0(VALU_DEP_1)
	v_cmpx_lt_i16_e64 0x7f, v149
	s_xor_b32 s39, exec_lo, s39
	s_cbranch_execnz .LBB4_2346
; %bb.1915:                             ;   in Loop: Header=BB4_1840 Depth=4
	s_or_saveexec_b32 s39, s39
	v_mov_b32_e32 v147, s38
	s_xor_b32 exec_lo, exec_lo, s39
	s_cbranch_execnz .LBB4_2349
.LBB4_1916:                             ;   in Loop: Header=BB4_1840 Depth=4
	s_or_b32 exec_lo, exec_lo, s39
	s_and_saveexec_b32 s38, s14
	s_cbranch_execz .LBB4_1918
.LBB4_1917:                             ;   in Loop: Header=BB4_1840 Depth=4
	v_bfe_u32 v147, v8, 16, 3
	v_bfe_u32 v151, v8, 19, 4
	s_delay_alu instid0(VALU_DEP_2) | instskip(NEXT) | instid1(VALU_DEP_2)
	v_clz_i32_u32_e32 v149, v147
	v_cmp_eq_u32_e32 vcc_lo, 0, v151
	s_delay_alu instid0(VALU_DEP_2) | instskip(NEXT) | instid1(VALU_DEP_1)
	v_min_u32_e32 v149, 32, v149
	v_subrev_nc_u32_e32 v150, 28, v149
	v_sub_nc_u32_e32 v149, 29, v149
	s_delay_alu instid0(VALU_DEP_2) | instskip(SKIP_1) | instid1(VALU_DEP_2)
	v_lshlrev_b32_e32 v150, v150, v85
	v_lshlrev_b32_e32 v85, 24, v85
	v_dual_cndmask_b32 v149, v151, v149 :: v_dual_and_b32 v150, 7, v150
	s_delay_alu instid0(VALU_DEP_2) | instskip(NEXT) | instid1(VALU_DEP_2)
	v_and_b32_e32 v85, 0x80000000, v85
	v_lshl_add_u32 v149, v149, 23, 0x3b800000
	s_delay_alu instid0(VALU_DEP_3) | instskip(NEXT) | instid1(VALU_DEP_1)
	v_cndmask_b32_e32 v147, v147, v150, vcc_lo
	v_lshlrev_b32_e32 v147, 20, v147
	s_delay_alu instid0(VALU_DEP_1)
	v_or3_b32 v147, v85, v149, v147
.LBB4_1918:                             ;   in Loop: Header=BB4_1840 Depth=4
	s_or_b32 exec_lo, exec_lo, s38
	s_delay_alu instid0(VALU_DEP_1) | instskip(SKIP_1) | instid1(VALU_DEP_1)
	v_max_f32_e32 v85, v147, v147
	v_max_f32_e32 v147, v148, v148
	v_min_f32_e32 v148, v147, v85
.LBB4_1919:                             ;   in Loop: Header=BB4_1840 Depth=4
	s_delay_alu instid0(VALU_DEP_1) | instskip(NEXT) | instid1(VALU_DEP_1)
	v_and_b32_e32 v85, 0x7f800000, v148
	v_cmp_ne_u32_e32 vcc_lo, 0x7f800000, v85
	v_mov_b32_e32 v85, 0x80
	s_and_saveexec_b32 s38, vcc_lo
	s_cbranch_execz .LBB4_1927
; %bb.1920:                             ;   in Loop: Header=BB4_1840 Depth=4
	v_mov_b32_e32 v85, 0
	s_mov_b32 s39, exec_lo
	v_cmpx_ne_u32_e32 0, v148
	s_cbranch_execz .LBB4_1926
; %bb.1921:                             ;   in Loop: Header=BB4_1840 Depth=4
	v_bfe_u32 v85, v148, 23, 8
	v_and_b32_e32 v147, 0x7fffff, v148
	s_delay_alu instid0(VALU_DEP_2) | instskip(SKIP_1) | instid1(VALU_DEP_3)
	v_sub_nc_u32_e32 v149, 0x78, v85
	v_cmp_gt_u32_e32 vcc_lo, 0x79, v85
	v_or_b32_e32 v150, 0x800000, v147
	s_delay_alu instid0(VALU_DEP_3) | instskip(SKIP_2) | instid1(VALU_DEP_3)
	v_cndmask_b32_e32 v149, 0, v149, vcc_lo
	v_cmp_eq_u32_e32 vcc_lo, 0, v85
	v_add_nc_u32_e32 v85, 0xffffff89, v85
	v_cndmask_b32_e64 v149, v149, 0x77, vcc_lo
	v_cndmask_b32_e32 v147, v150, v147, vcc_lo
	s_delay_alu instid0(VALU_DEP_3) | instskip(NEXT) | instid1(VALU_DEP_3)
	v_cndmask_b32_e64 v85, v85, 0xffffff8a, vcc_lo
	v_lshl_add_u32 v150, 0x100000, v149, -1
	s_delay_alu instid0(VALU_DEP_3) | instskip(SKIP_1) | instid1(VALU_DEP_4)
	v_lshrrev_b32_e32 v151, v149, v147
	v_lshlrev_b32_e64 v161, v149, 0x80000
	v_add_nc_u32_e32 v149, v149, v85
	s_delay_alu instid0(VALU_DEP_4) | instskip(NEXT) | instid1(VALU_DEP_4)
	v_and_b32_e32 v147, v150, v147
	v_bfe_u32 v160, v151, 20, 1
	s_delay_alu instid0(VALU_DEP_2) | instskip(NEXT) | instid1(VALU_DEP_2)
	v_cmp_eq_u32_e64 s14, v147, v161
	v_add_nc_u32_e32 v150, -1, v160
	s_delay_alu instid0(VALU_DEP_1) | instskip(SKIP_2) | instid1(VALU_DEP_2)
	v_cndmask_b32_e64 v147, 0, v150, s14
	v_lshrrev_b32_e32 v150, 23, v151
	s_mov_b32 s14, exec_lo
	v_add_nc_u32_e32 v147, v147, v151
	s_delay_alu instid0(VALU_DEP_2) | instskip(NEXT) | instid1(VALU_DEP_2)
	v_xor_b32_e32 v150, 1, v150
	v_and_b32_e32 v85, 0xfffff, v147
	s_delay_alu instid0(VALU_DEP_1) | instskip(NEXT) | instid1(VALU_DEP_3)
	v_add_nc_u32_e32 v147, v85, v151
                                        ; implicit-def: $vgpr85
	v_cmpx_ne_u32_e64 v149, v150
	s_xor_b32 s14, exec_lo, s14
; %bb.1922:                             ;   in Loop: Header=BB4_1840 Depth=4
	s_delay_alu instid0(VALU_DEP_2) | instskip(SKIP_2) | instid1(VALU_DEP_2)
	v_cmp_lt_u32_e32 vcc_lo, 0xffffff, v147
	v_sub_nc_u32_e32 v85, v149, v150
	v_cndmask_b32_e64 v149, 0, 1, vcc_lo
	v_add_co_ci_u32_e32 v85, vcc_lo, 0, v85, vcc_lo
	s_delay_alu instid0(VALU_DEP_2)
	v_lshrrev_b32_e32 v147, v149, v147
; %bb.1923:                             ;   in Loop: Header=BB4_1840 Depth=4
	s_and_not1_saveexec_b32 s14, s14
; %bb.1924:                             ;   in Loop: Header=BB4_1840 Depth=4
	s_delay_alu instid0(VALU_DEP_1)
	v_bfe_u32 v85, v147, 23, 1
; %bb.1925:                             ;   in Loop: Header=BB4_1840 Depth=4
	s_or_b32 exec_lo, exec_lo, s14
	v_lshrrev_b32_e32 v147, 20, v147
	s_delay_alu instid0(VALU_DEP_2) | instskip(SKIP_2) | instid1(VALU_DEP_2)
	v_cmp_gt_i32_e32 vcc_lo, 16, v85
	v_lshrrev_b32_e32 v148, 24, v148
	v_min_i32_e32 v149, 15, v85
	v_dual_cndmask_b32 v147, 7, v147 :: v_dual_and_b32 v148, 0x80, v148
	s_delay_alu instid0(VALU_DEP_2) | instskip(NEXT) | instid1(VALU_DEP_2)
	v_lshlrev_b32_e32 v149, 3, v149
	v_and_b32_e32 v150, 7, v147
	v_or_b32_e32 v85, v85, v147
	s_delay_alu instid0(VALU_DEP_2) | instskip(NEXT) | instid1(VALU_DEP_2)
	v_or3_b32 v147, v149, v148, v150
	v_cmp_ne_u32_e32 vcc_lo, 0, v85
	s_delay_alu instid0(VALU_DEP_2)
	v_cndmask_b32_e32 v85, 0, v147, vcc_lo
.LBB4_1926:                             ;   in Loop: Header=BB4_1840 Depth=4
	s_or_b32 exec_lo, exec_lo, s39
.LBB4_1927:                             ;   in Loop: Header=BB4_1840 Depth=4
	s_delay_alu instid0(SALU_CYCLE_1)
	s_or_b32 exec_lo, exec_lo, s38
	v_lshrrev_b32_e32 v148, 24, v12
	v_lshrrev_b32_e32 v147, 24, v8
	s_and_b32 vcc_lo, exec_lo, s37
	s_cbranch_vccz .LBB4_1937
; %bb.1928:                             ;   in Loop: Header=BB4_1840 Depth=4
	s_mov_b32 s14, 0
	s_mov_b32 s39, exec_lo
                                        ; implicit-def: $sgpr38
	v_cmpx_lt_i16_e64 0x7f, v148
	s_xor_b32 s39, exec_lo, s39
	s_cbranch_execnz .LBB4_2350
; %bb.1929:                             ;   in Loop: Header=BB4_1840 Depth=4
	s_or_saveexec_b32 s39, s39
	v_mov_b32_e32 v149, s38
	s_xor_b32 exec_lo, exec_lo, s39
	s_cbranch_execnz .LBB4_2353
.LBB4_1930:                             ;   in Loop: Header=BB4_1840 Depth=4
	s_or_b32 exec_lo, exec_lo, s39
	s_and_saveexec_b32 s38, s14
	s_cbranch_execz .LBB4_1932
.LBB4_1931:                             ;   in Loop: Header=BB4_1840 Depth=4
	v_bfe_u32 v149, v12, 24, 3
	v_bfe_u32 v160, v12, 27, 4
	s_delay_alu instid0(VALU_DEP_2) | instskip(NEXT) | instid1(VALU_DEP_2)
	v_clz_i32_u32_e32 v150, v149
	v_cmp_eq_u32_e32 vcc_lo, 0, v160
	s_delay_alu instid0(VALU_DEP_2) | instskip(NEXT) | instid1(VALU_DEP_1)
	v_min_u32_e32 v150, 32, v150
	v_subrev_nc_u32_e32 v151, 28, v150
	v_sub_nc_u32_e32 v150, 29, v150
	s_delay_alu instid0(VALU_DEP_1) | instskip(NEXT) | instid1(VALU_DEP_1)
	v_dual_cndmask_b32 v150, v160, v150 :: v_dual_lshlrev_b32 v151, v151, v148
	v_and_b32_e32 v151, 7, v151
	s_delay_alu instid0(VALU_DEP_2) | instskip(NEXT) | instid1(VALU_DEP_2)
	v_lshl_add_u32 v150, v150, 23, 0x3b800000
	v_cndmask_b32_e32 v149, v149, v151, vcc_lo
	v_and_b32_e32 v151, 0x80000000, v12
	s_delay_alu instid0(VALU_DEP_2) | instskip(NEXT) | instid1(VALU_DEP_1)
	v_lshlrev_b32_e32 v149, 20, v149
	v_or3_b32 v149, v151, v150, v149
.LBB4_1932:                             ;   in Loop: Header=BB4_1840 Depth=4
	s_or_b32 exec_lo, exec_lo, s38
	s_mov_b32 s14, 0
	s_mov_b32 s39, exec_lo
                                        ; implicit-def: $sgpr38
	v_cmpx_lt_i16_e64 0x7f, v147
	s_xor_b32 s39, exec_lo, s39
	s_cbranch_execnz .LBB4_2354
; %bb.1933:                             ;   in Loop: Header=BB4_1840 Depth=4
	s_or_saveexec_b32 s39, s39
	v_mov_b32_e32 v150, s38
	s_xor_b32 exec_lo, exec_lo, s39
	s_cbranch_execnz .LBB4_2357
.LBB4_1934:                             ;   in Loop: Header=BB4_1840 Depth=4
	s_or_b32 exec_lo, exec_lo, s39
	s_and_saveexec_b32 s38, s14
	s_cbranch_execz .LBB4_1936
.LBB4_1935:                             ;   in Loop: Header=BB4_1840 Depth=4
	v_bfe_u32 v150, v8, 24, 3
	v_bfe_u32 v161, v8, 27, 4
	s_delay_alu instid0(VALU_DEP_2) | instskip(NEXT) | instid1(VALU_DEP_2)
	v_clz_i32_u32_e32 v151, v150
	v_cmp_eq_u32_e32 vcc_lo, 0, v161
	s_delay_alu instid0(VALU_DEP_2) | instskip(NEXT) | instid1(VALU_DEP_1)
	v_min_u32_e32 v151, 32, v151
	v_subrev_nc_u32_e32 v160, 28, v151
	v_sub_nc_u32_e32 v151, 29, v151
	s_delay_alu instid0(VALU_DEP_2) | instskip(NEXT) | instid1(VALU_DEP_1)
	v_lshlrev_b32_e32 v160, v160, v147
	v_dual_cndmask_b32 v151, v161, v151 :: v_dual_and_b32 v160, 7, v160
	s_delay_alu instid0(VALU_DEP_1) | instskip(NEXT) | instid1(VALU_DEP_2)
	v_lshl_add_u32 v151, v151, 23, 0x3b800000
	v_cndmask_b32_e32 v150, v150, v160, vcc_lo
	v_and_b32_e32 v160, 0x80000000, v8
	s_delay_alu instid0(VALU_DEP_2) | instskip(NEXT) | instid1(VALU_DEP_1)
	v_lshlrev_b32_e32 v150, 20, v150
	v_or3_b32 v150, v160, v151, v150
.LBB4_1936:                             ;   in Loop: Header=BB4_1840 Depth=4
	s_or_b32 exec_lo, exec_lo, s38
	s_delay_alu instid0(VALU_DEP_1) | instskip(SKIP_1) | instid1(VALU_DEP_1)
	v_dual_max_f32 v150, v150, v150 :: v_dual_max_f32 v149, v149, v149
	s_mov_b32 s14, 0
	v_max_f32_e32 v149, v149, v150
	s_branch .LBB4_1938
.LBB4_1937:                             ;   in Loop: Header=BB4_1840 Depth=4
	s_mov_b32 s14, -1
                                        ; implicit-def: $vgpr149
.LBB4_1938:                             ;   in Loop: Header=BB4_1840 Depth=4
	s_delay_alu instid0(SALU_CYCLE_1)
	s_and_b32 vcc_lo, exec_lo, s14
	s_cbranch_vccz .LBB4_1948
; %bb.1939:                             ;   in Loop: Header=BB4_1840 Depth=4
	s_mov_b32 s14, 0
	s_mov_b32 s39, exec_lo
                                        ; implicit-def: $sgpr38
	v_cmpx_lt_i16_e64 0x7f, v148
	s_xor_b32 s39, exec_lo, s39
	s_cbranch_execnz .LBB4_2358
; %bb.1940:                             ;   in Loop: Header=BB4_1840 Depth=4
	s_or_saveexec_b32 s39, s39
	v_mov_b32_e32 v149, s38
	s_xor_b32 exec_lo, exec_lo, s39
	s_cbranch_execnz .LBB4_2361
.LBB4_1941:                             ;   in Loop: Header=BB4_1840 Depth=4
	s_or_b32 exec_lo, exec_lo, s39
	s_and_saveexec_b32 s38, s14
	s_cbranch_execz .LBB4_1943
.LBB4_1942:                             ;   in Loop: Header=BB4_1840 Depth=4
	v_bfe_u32 v149, v12, 24, 3
	s_delay_alu instid0(VALU_DEP_1) | instskip(NEXT) | instid1(VALU_DEP_1)
	v_clz_i32_u32_e32 v150, v149
	v_min_u32_e32 v150, 32, v150
	s_delay_alu instid0(VALU_DEP_1) | instskip(SKIP_1) | instid1(VALU_DEP_2)
	v_subrev_nc_u32_e32 v151, 28, v150
	v_sub_nc_u32_e32 v150, 29, v150
	v_lshlrev_b32_e32 v148, v151, v148
	v_bfe_u32 v151, v12, 27, 4
	v_and_b32_e32 v12, 0x80000000, v12
	s_delay_alu instid0(VALU_DEP_3) | instskip(NEXT) | instid1(VALU_DEP_3)
	v_and_b32_e32 v148, 7, v148
	v_cmp_eq_u32_e32 vcc_lo, 0, v151
	v_cndmask_b32_e32 v150, v151, v150, vcc_lo
	s_delay_alu instid0(VALU_DEP_3) | instskip(NEXT) | instid1(VALU_DEP_2)
	v_cndmask_b32_e32 v148, v149, v148, vcc_lo
	v_lshl_add_u32 v149, v150, 23, 0x3b800000
	s_delay_alu instid0(VALU_DEP_2) | instskip(NEXT) | instid1(VALU_DEP_1)
	v_lshlrev_b32_e32 v148, 20, v148
	v_or3_b32 v149, v12, v149, v148
.LBB4_1943:                             ;   in Loop: Header=BB4_1840 Depth=4
	s_or_b32 exec_lo, exec_lo, s38
	s_mov_b32 s14, 0
	s_mov_b32 s39, exec_lo
                                        ; implicit-def: $sgpr38
	v_cmpx_lt_i16_e64 0x7f, v147
	s_xor_b32 s39, exec_lo, s39
	s_cbranch_execnz .LBB4_2362
; %bb.1944:                             ;   in Loop: Header=BB4_1840 Depth=4
	s_or_saveexec_b32 s39, s39
	v_mov_b32_e32 v12, s38
	s_xor_b32 exec_lo, exec_lo, s39
	s_cbranch_execnz .LBB4_2365
.LBB4_1945:                             ;   in Loop: Header=BB4_1840 Depth=4
	s_or_b32 exec_lo, exec_lo, s39
	s_and_saveexec_b32 s38, s14
	s_cbranch_execz .LBB4_1947
.LBB4_1946:                             ;   in Loop: Header=BB4_1840 Depth=4
	v_bfe_u32 v12, v8, 24, 3
	s_delay_alu instid0(VALU_DEP_1) | instskip(NEXT) | instid1(VALU_DEP_1)
	v_clz_i32_u32_e32 v148, v12
	v_min_u32_e32 v148, 32, v148
	s_delay_alu instid0(VALU_DEP_1) | instskip(SKIP_1) | instid1(VALU_DEP_2)
	v_subrev_nc_u32_e32 v150, 28, v148
	v_sub_nc_u32_e32 v148, 29, v148
	v_lshlrev_b32_e32 v147, v150, v147
	v_bfe_u32 v150, v8, 27, 4
	v_and_b32_e32 v8, 0x80000000, v8
	s_delay_alu instid0(VALU_DEP_2) | instskip(NEXT) | instid1(VALU_DEP_4)
	v_cmp_eq_u32_e32 vcc_lo, 0, v150
	v_dual_cndmask_b32 v148, v150, v148 :: v_dual_and_b32 v147, 7, v147
	s_delay_alu instid0(VALU_DEP_1) | instskip(NEXT) | instid1(VALU_DEP_2)
	v_cndmask_b32_e32 v12, v12, v147, vcc_lo
	v_lshl_add_u32 v147, v148, 23, 0x3b800000
	s_delay_alu instid0(VALU_DEP_2) | instskip(NEXT) | instid1(VALU_DEP_1)
	v_lshlrev_b32_e32 v12, 20, v12
	v_or3_b32 v12, v8, v147, v12
.LBB4_1947:                             ;   in Loop: Header=BB4_1840 Depth=4
	s_or_b32 exec_lo, exec_lo, s38
	s_delay_alu instid0(VALU_DEP_1) | instskip(SKIP_1) | instid1(VALU_DEP_1)
	v_max_f32_e32 v8, v12, v12
	v_max_f32_e32 v12, v149, v149
	v_min_f32_e32 v149, v12, v8
.LBB4_1948:                             ;   in Loop: Header=BB4_1840 Depth=4
	s_delay_alu instid0(VALU_DEP_1) | instskip(NEXT) | instid1(VALU_DEP_1)
	v_and_b32_e32 v8, 0x7f800000, v149
	v_cmp_ne_u32_e32 vcc_lo, 0x7f800000, v8
	v_mov_b32_e32 v8, 0x80
	s_and_saveexec_b32 s38, vcc_lo
	s_cbranch_execz .LBB4_1956
; %bb.1949:                             ;   in Loop: Header=BB4_1840 Depth=4
	v_mov_b32_e32 v8, 0
	s_mov_b32 s39, exec_lo
	v_cmpx_ne_u32_e32 0, v149
	s_cbranch_execz .LBB4_1955
; %bb.1950:                             ;   in Loop: Header=BB4_1840 Depth=4
	v_bfe_u32 v8, v149, 23, 8
	s_delay_alu instid0(VALU_DEP_1) | instskip(SKIP_1) | instid1(VALU_DEP_2)
	v_sub_nc_u32_e32 v147, 0x78, v8
	v_cmp_gt_u32_e32 vcc_lo, 0x79, v8
	v_dual_cndmask_b32 v147, 0, v147 :: v_dual_and_b32 v12, 0x7fffff, v149
	s_delay_alu instid0(VALU_DEP_1) | instskip(SKIP_2) | instid1(VALU_DEP_4)
	v_or_b32_e32 v148, 0x800000, v12
	v_cmp_eq_u32_e32 vcc_lo, 0, v8
	v_add_nc_u32_e32 v8, 0xffffff89, v8
	v_cndmask_b32_e64 v147, v147, 0x77, vcc_lo
	s_delay_alu instid0(VALU_DEP_4) | instskip(NEXT) | instid1(VALU_DEP_3)
	v_cndmask_b32_e32 v12, v148, v12, vcc_lo
	v_cndmask_b32_e64 v8, v8, 0xffffff8a, vcc_lo
	s_delay_alu instid0(VALU_DEP_3) | instskip(NEXT) | instid1(VALU_DEP_3)
	v_lshl_add_u32 v148, 0x100000, v147, -1
	v_lshrrev_b32_e32 v150, v147, v12
	v_lshlrev_b32_e64 v160, v147, 0x80000
	s_delay_alu instid0(VALU_DEP_4) | instskip(NEXT) | instid1(VALU_DEP_4)
	v_add_nc_u32_e32 v147, v147, v8
	v_and_b32_e32 v12, v148, v12
	s_delay_alu instid0(VALU_DEP_4) | instskip(NEXT) | instid1(VALU_DEP_2)
	v_bfe_u32 v151, v150, 20, 1
	v_cmp_eq_u32_e64 s14, v12, v160
	s_delay_alu instid0(VALU_DEP_2) | instskip(NEXT) | instid1(VALU_DEP_1)
	v_add_nc_u32_e32 v148, -1, v151
	v_cndmask_b32_e64 v12, 0, v148, s14
	v_lshrrev_b32_e32 v148, 23, v150
	s_mov_b32 s14, exec_lo
	s_delay_alu instid0(VALU_DEP_2) | instskip(NEXT) | instid1(VALU_DEP_2)
	v_add_nc_u32_e32 v12, v12, v150
	v_xor_b32_e32 v148, 1, v148
	s_delay_alu instid0(VALU_DEP_2) | instskip(NEXT) | instid1(VALU_DEP_1)
	v_and_b32_e32 v8, 0xfffff, v12
	v_add_nc_u32_e32 v12, v8, v150
                                        ; implicit-def: $vgpr8
	s_delay_alu instid0(VALU_DEP_3)
	v_cmpx_ne_u32_e64 v147, v148
	s_xor_b32 s14, exec_lo, s14
; %bb.1951:                             ;   in Loop: Header=BB4_1840 Depth=4
	s_delay_alu instid0(VALU_DEP_2) | instskip(SKIP_2) | instid1(VALU_DEP_2)
	v_cmp_lt_u32_e32 vcc_lo, 0xffffff, v12
	v_sub_nc_u32_e32 v8, v147, v148
	v_cndmask_b32_e64 v147, 0, 1, vcc_lo
	v_add_co_ci_u32_e32 v8, vcc_lo, 0, v8, vcc_lo
	s_delay_alu instid0(VALU_DEP_2)
	v_lshrrev_b32_e32 v12, v147, v12
; %bb.1952:                             ;   in Loop: Header=BB4_1840 Depth=4
	s_and_not1_saveexec_b32 s14, s14
; %bb.1953:                             ;   in Loop: Header=BB4_1840 Depth=4
	s_delay_alu instid0(VALU_DEP_1)
	v_bfe_u32 v8, v12, 23, 1
; %bb.1954:                             ;   in Loop: Header=BB4_1840 Depth=4
	s_or_b32 exec_lo, exec_lo, s14
	v_lshrrev_b32_e32 v12, 20, v12
	s_delay_alu instid0(VALU_DEP_2) | instskip(SKIP_2) | instid1(VALU_DEP_2)
	v_cmp_gt_i32_e32 vcc_lo, 16, v8
	v_lshrrev_b32_e32 v147, 24, v149
	v_min_i32_e32 v148, 15, v8
	v_dual_cndmask_b32 v12, 7, v12 :: v_dual_and_b32 v147, 0x80, v147
	s_delay_alu instid0(VALU_DEP_2) | instskip(NEXT) | instid1(VALU_DEP_2)
	v_lshlrev_b32_e32 v148, 3, v148
	v_and_b32_e32 v149, 7, v12
	v_or_b32_e32 v8, v8, v12
	s_delay_alu instid0(VALU_DEP_2) | instskip(NEXT) | instid1(VALU_DEP_2)
	v_or3_b32 v12, v148, v147, v149
	v_cmp_ne_u32_e32 vcc_lo, 0, v8
	s_delay_alu instid0(VALU_DEP_2)
	v_cndmask_b32_e32 v8, 0, v12, vcc_lo
.LBB4_1955:                             ;   in Loop: Header=BB4_1840 Depth=4
	s_or_b32 exec_lo, exec_lo, s39
.LBB4_1956:                             ;   in Loop: Header=BB4_1840 Depth=4
	s_delay_alu instid0(SALU_CYCLE_1) | instskip(NEXT) | instid1(SALU_CYCLE_1)
	s_or_b32 exec_lo, exec_lo, s38
	s_and_b32 vcc_lo, exec_lo, s37
	s_cbranch_vccz .LBB4_1966
; %bb.1957:                             ;   in Loop: Header=BB4_1840 Depth=4
	v_and_b32_e32 v147, 0xff, v13
	s_mov_b32 s14, 0
	s_mov_b32 s39, exec_lo
                                        ; implicit-def: $sgpr38
	s_delay_alu instid0(VALU_DEP_1)
	v_cmpx_lt_i16_e64 0x7f, v147
	s_xor_b32 s39, exec_lo, s39
	s_cbranch_execnz .LBB4_2366
; %bb.1958:                             ;   in Loop: Header=BB4_1840 Depth=4
	s_or_saveexec_b32 s39, s39
	v_mov_b32_e32 v12, s38
	s_xor_b32 exec_lo, exec_lo, s39
	s_cbranch_execnz .LBB4_2369
.LBB4_1959:                             ;   in Loop: Header=BB4_1840 Depth=4
	s_or_b32 exec_lo, exec_lo, s39
	s_and_saveexec_b32 s38, s14
	s_cbranch_execz .LBB4_1961
.LBB4_1960:                             ;   in Loop: Header=BB4_1840 Depth=4
	v_bfe_u32 v149, v13, 3, 4
	v_lshlrev_b32_e32 v150, 24, v13
	s_delay_alu instid0(VALU_DEP_2) | instskip(SKIP_1) | instid1(VALU_DEP_1)
	v_cmp_eq_u32_e32 vcc_lo, 0, v149
	v_and_b32_e32 v12, 7, v13
	v_clz_i32_u32_e32 v147, v12
	s_delay_alu instid0(VALU_DEP_1) | instskip(NEXT) | instid1(VALU_DEP_1)
	v_min_u32_e32 v147, 32, v147
	v_subrev_nc_u32_e32 v148, 28, v147
	v_sub_nc_u32_e32 v147, 29, v147
	s_delay_alu instid0(VALU_DEP_1) | instskip(NEXT) | instid1(VALU_DEP_1)
	v_dual_cndmask_b32 v147, v149, v147 :: v_dual_lshlrev_b32 v148, v148, v13
	v_and_b32_e32 v148, 7, v148
	s_delay_alu instid0(VALU_DEP_2) | instskip(NEXT) | instid1(VALU_DEP_2)
	v_lshl_add_u32 v147, v147, 23, 0x3b800000
	v_cndmask_b32_e32 v12, v12, v148, vcc_lo
	v_and_b32_e32 v148, 0x80000000, v150
	s_delay_alu instid0(VALU_DEP_2) | instskip(NEXT) | instid1(VALU_DEP_1)
	v_lshlrev_b32_e32 v12, 20, v12
	v_or3_b32 v12, v148, v147, v12
.LBB4_1961:                             ;   in Loop: Header=BB4_1840 Depth=4
	s_or_b32 exec_lo, exec_lo, s38
	v_and_b32_e32 v148, 0xff, v9
	s_mov_b32 s14, 0
	s_mov_b32 s39, exec_lo
                                        ; implicit-def: $sgpr38
	s_delay_alu instid0(VALU_DEP_1)
	v_cmpx_lt_i16_e64 0x7f, v148
	s_xor_b32 s39, exec_lo, s39
	s_cbranch_execnz .LBB4_2370
; %bb.1962:                             ;   in Loop: Header=BB4_1840 Depth=4
	s_or_saveexec_b32 s39, s39
	v_mov_b32_e32 v147, s38
	s_xor_b32 exec_lo, exec_lo, s39
	s_cbranch_execnz .LBB4_2373
.LBB4_1963:                             ;   in Loop: Header=BB4_1840 Depth=4
	s_or_b32 exec_lo, exec_lo, s39
	s_and_saveexec_b32 s38, s14
	s_cbranch_execz .LBB4_1965
.LBB4_1964:                             ;   in Loop: Header=BB4_1840 Depth=4
	v_bfe_u32 v150, v9, 3, 4
	v_lshlrev_b32_e32 v151, 24, v9
	s_delay_alu instid0(VALU_DEP_2) | instskip(SKIP_1) | instid1(VALU_DEP_1)
	v_cmp_eq_u32_e32 vcc_lo, 0, v150
	v_and_b32_e32 v147, 7, v9
	v_clz_i32_u32_e32 v148, v147
	s_delay_alu instid0(VALU_DEP_1) | instskip(NEXT) | instid1(VALU_DEP_1)
	v_min_u32_e32 v148, 32, v148
	v_subrev_nc_u32_e32 v149, 28, v148
	v_sub_nc_u32_e32 v148, 29, v148
	s_delay_alu instid0(VALU_DEP_1) | instskip(NEXT) | instid1(VALU_DEP_1)
	v_dual_cndmask_b32 v148, v150, v148 :: v_dual_lshlrev_b32 v149, v149, v9
	v_and_b32_e32 v149, 7, v149
	s_delay_alu instid0(VALU_DEP_2) | instskip(NEXT) | instid1(VALU_DEP_2)
	v_lshl_add_u32 v148, v148, 23, 0x3b800000
	v_cndmask_b32_e32 v147, v147, v149, vcc_lo
	v_and_b32_e32 v149, 0x80000000, v151
	s_delay_alu instid0(VALU_DEP_2) | instskip(NEXT) | instid1(VALU_DEP_1)
	v_lshlrev_b32_e32 v147, 20, v147
	v_or3_b32 v147, v149, v148, v147
.LBB4_1965:                             ;   in Loop: Header=BB4_1840 Depth=4
	s_or_b32 exec_lo, exec_lo, s38
	s_delay_alu instid0(VALU_DEP_1) | instskip(SKIP_1) | instid1(VALU_DEP_1)
	v_dual_max_f32 v147, v147, v147 :: v_dual_max_f32 v12, v12, v12
	s_mov_b32 s14, 0
	v_max_f32_e32 v147, v12, v147
	s_branch .LBB4_1967
.LBB4_1966:                             ;   in Loop: Header=BB4_1840 Depth=4
	s_mov_b32 s14, -1
                                        ; implicit-def: $vgpr147
.LBB4_1967:                             ;   in Loop: Header=BB4_1840 Depth=4
	s_delay_alu instid0(SALU_CYCLE_1)
	s_and_b32 vcc_lo, exec_lo, s14
	s_cbranch_vccz .LBB4_1977
; %bb.1968:                             ;   in Loop: Header=BB4_1840 Depth=4
	v_and_b32_e32 v147, 0xff, v13
	s_mov_b32 s14, 0
	s_mov_b32 s39, exec_lo
                                        ; implicit-def: $sgpr38
	s_delay_alu instid0(VALU_DEP_1)
	v_cmpx_lt_i16_e64 0x7f, v147
	s_xor_b32 s39, exec_lo, s39
	s_cbranch_execnz .LBB4_2374
; %bb.1969:                             ;   in Loop: Header=BB4_1840 Depth=4
	s_or_saveexec_b32 s39, s39
	v_mov_b32_e32 v12, s38
	s_xor_b32 exec_lo, exec_lo, s39
	s_cbranch_execnz .LBB4_2377
.LBB4_1970:                             ;   in Loop: Header=BB4_1840 Depth=4
	s_or_b32 exec_lo, exec_lo, s39
	s_and_saveexec_b32 s38, s14
	s_cbranch_execz .LBB4_1972
.LBB4_1971:                             ;   in Loop: Header=BB4_1840 Depth=4
	v_bfe_u32 v149, v13, 3, 4
	v_lshlrev_b32_e32 v150, 24, v13
	s_delay_alu instid0(VALU_DEP_2) | instskip(SKIP_1) | instid1(VALU_DEP_1)
	v_cmp_eq_u32_e32 vcc_lo, 0, v149
	v_and_b32_e32 v12, 7, v13
	v_clz_i32_u32_e32 v147, v12
	s_delay_alu instid0(VALU_DEP_1) | instskip(NEXT) | instid1(VALU_DEP_1)
	v_min_u32_e32 v147, 32, v147
	v_subrev_nc_u32_e32 v148, 28, v147
	v_sub_nc_u32_e32 v147, 29, v147
	s_delay_alu instid0(VALU_DEP_1) | instskip(NEXT) | instid1(VALU_DEP_1)
	v_dual_cndmask_b32 v147, v149, v147 :: v_dual_lshlrev_b32 v148, v148, v13
	v_and_b32_e32 v148, 7, v148
	s_delay_alu instid0(VALU_DEP_2) | instskip(NEXT) | instid1(VALU_DEP_2)
	v_lshl_add_u32 v147, v147, 23, 0x3b800000
	v_cndmask_b32_e32 v12, v12, v148, vcc_lo
	v_and_b32_e32 v148, 0x80000000, v150
	s_delay_alu instid0(VALU_DEP_2) | instskip(NEXT) | instid1(VALU_DEP_1)
	v_lshlrev_b32_e32 v12, 20, v12
	v_or3_b32 v12, v148, v147, v12
.LBB4_1972:                             ;   in Loop: Header=BB4_1840 Depth=4
	s_or_b32 exec_lo, exec_lo, s38
	v_and_b32_e32 v148, 0xff, v9
	s_mov_b32 s14, 0
	s_mov_b32 s39, exec_lo
                                        ; implicit-def: $sgpr38
	s_delay_alu instid0(VALU_DEP_1)
	v_cmpx_lt_i16_e64 0x7f, v148
	s_xor_b32 s39, exec_lo, s39
	s_cbranch_execnz .LBB4_2378
; %bb.1973:                             ;   in Loop: Header=BB4_1840 Depth=4
	s_or_saveexec_b32 s39, s39
	v_mov_b32_e32 v147, s38
	s_xor_b32 exec_lo, exec_lo, s39
	s_cbranch_execnz .LBB4_2381
.LBB4_1974:                             ;   in Loop: Header=BB4_1840 Depth=4
	s_or_b32 exec_lo, exec_lo, s39
	s_and_saveexec_b32 s38, s14
	s_cbranch_execz .LBB4_1976
.LBB4_1975:                             ;   in Loop: Header=BB4_1840 Depth=4
	v_bfe_u32 v150, v9, 3, 4
	v_lshlrev_b32_e32 v151, 24, v9
	s_delay_alu instid0(VALU_DEP_2) | instskip(SKIP_1) | instid1(VALU_DEP_1)
	v_cmp_eq_u32_e32 vcc_lo, 0, v150
	v_and_b32_e32 v147, 7, v9
	v_clz_i32_u32_e32 v148, v147
	s_delay_alu instid0(VALU_DEP_1) | instskip(NEXT) | instid1(VALU_DEP_1)
	v_min_u32_e32 v148, 32, v148
	v_subrev_nc_u32_e32 v149, 28, v148
	v_sub_nc_u32_e32 v148, 29, v148
	s_delay_alu instid0(VALU_DEP_1) | instskip(NEXT) | instid1(VALU_DEP_1)
	v_dual_cndmask_b32 v148, v150, v148 :: v_dual_lshlrev_b32 v149, v149, v9
	v_and_b32_e32 v149, 7, v149
	s_delay_alu instid0(VALU_DEP_2) | instskip(NEXT) | instid1(VALU_DEP_2)
	v_lshl_add_u32 v148, v148, 23, 0x3b800000
	v_cndmask_b32_e32 v147, v147, v149, vcc_lo
	v_and_b32_e32 v149, 0x80000000, v151
	s_delay_alu instid0(VALU_DEP_2) | instskip(NEXT) | instid1(VALU_DEP_1)
	v_lshlrev_b32_e32 v147, 20, v147
	v_or3_b32 v147, v149, v148, v147
.LBB4_1976:                             ;   in Loop: Header=BB4_1840 Depth=4
	s_or_b32 exec_lo, exec_lo, s38
	s_delay_alu instid0(VALU_DEP_1) | instskip(NEXT) | instid1(VALU_DEP_1)
	v_dual_max_f32 v147, v147, v147 :: v_dual_max_f32 v12, v12, v12
	v_min_f32_e32 v147, v12, v147
.LBB4_1977:                             ;   in Loop: Header=BB4_1840 Depth=4
	s_delay_alu instid0(VALU_DEP_1) | instskip(NEXT) | instid1(VALU_DEP_1)
	v_and_b32_e32 v12, 0x7f800000, v147
	v_cmp_ne_u32_e32 vcc_lo, 0x7f800000, v12
	v_mov_b32_e32 v12, 0x80
	s_and_saveexec_b32 s38, vcc_lo
	s_cbranch_execz .LBB4_1985
; %bb.1978:                             ;   in Loop: Header=BB4_1840 Depth=4
	v_mov_b32_e32 v12, 0
	s_mov_b32 s39, exec_lo
	v_cmpx_ne_u32_e32 0, v147
	s_cbranch_execz .LBB4_1984
; %bb.1979:                             ;   in Loop: Header=BB4_1840 Depth=4
	v_bfe_u32 v12, v147, 23, 8
	s_delay_alu instid0(VALU_DEP_1) | instskip(SKIP_1) | instid1(VALU_DEP_2)
	v_sub_nc_u32_e32 v149, 0x78, v12
	v_cmp_gt_u32_e32 vcc_lo, 0x79, v12
	v_dual_cndmask_b32 v149, 0, v149 :: v_dual_and_b32 v148, 0x7fffff, v147
	s_delay_alu instid0(VALU_DEP_1) | instskip(SKIP_2) | instid1(VALU_DEP_4)
	v_or_b32_e32 v150, 0x800000, v148
	v_cmp_eq_u32_e32 vcc_lo, 0, v12
	v_add_nc_u32_e32 v12, 0xffffff89, v12
	v_cndmask_b32_e64 v149, v149, 0x77, vcc_lo
	s_delay_alu instid0(VALU_DEP_4) | instskip(NEXT) | instid1(VALU_DEP_3)
	v_cndmask_b32_e32 v148, v150, v148, vcc_lo
	v_cndmask_b32_e64 v12, v12, 0xffffff8a, vcc_lo
	s_delay_alu instid0(VALU_DEP_3) | instskip(NEXT) | instid1(VALU_DEP_3)
	v_lshl_add_u32 v150, 0x100000, v149, -1
	v_lshrrev_b32_e32 v151, v149, v148
	v_lshlrev_b32_e64 v161, v149, 0x80000
	s_delay_alu instid0(VALU_DEP_4) | instskip(NEXT) | instid1(VALU_DEP_4)
	v_add_nc_u32_e32 v149, v149, v12
	v_and_b32_e32 v148, v150, v148
	s_delay_alu instid0(VALU_DEP_4) | instskip(NEXT) | instid1(VALU_DEP_2)
	v_bfe_u32 v160, v151, 20, 1
	v_cmp_eq_u32_e64 s14, v148, v161
	s_delay_alu instid0(VALU_DEP_2) | instskip(NEXT) | instid1(VALU_DEP_1)
	v_add_nc_u32_e32 v150, -1, v160
	v_cndmask_b32_e64 v148, 0, v150, s14
	v_lshrrev_b32_e32 v150, 23, v151
	s_mov_b32 s14, exec_lo
	s_delay_alu instid0(VALU_DEP_2) | instskip(NEXT) | instid1(VALU_DEP_2)
	v_add_nc_u32_e32 v148, v148, v151
	v_xor_b32_e32 v150, 1, v150
	s_delay_alu instid0(VALU_DEP_2) | instskip(NEXT) | instid1(VALU_DEP_1)
	v_and_b32_e32 v12, 0xfffff, v148
	v_add_nc_u32_e32 v148, v12, v151
                                        ; implicit-def: $vgpr12
	s_delay_alu instid0(VALU_DEP_3)
	v_cmpx_ne_u32_e64 v149, v150
	s_xor_b32 s14, exec_lo, s14
; %bb.1980:                             ;   in Loop: Header=BB4_1840 Depth=4
	s_delay_alu instid0(VALU_DEP_2) | instskip(SKIP_2) | instid1(VALU_DEP_2)
	v_cmp_lt_u32_e32 vcc_lo, 0xffffff, v148
	v_sub_nc_u32_e32 v12, v149, v150
	v_cndmask_b32_e64 v149, 0, 1, vcc_lo
	v_add_co_ci_u32_e32 v12, vcc_lo, 0, v12, vcc_lo
	s_delay_alu instid0(VALU_DEP_2)
	v_lshrrev_b32_e32 v148, v149, v148
; %bb.1981:                             ;   in Loop: Header=BB4_1840 Depth=4
	s_and_not1_saveexec_b32 s14, s14
; %bb.1982:                             ;   in Loop: Header=BB4_1840 Depth=4
	s_delay_alu instid0(VALU_DEP_1)
	v_bfe_u32 v12, v148, 23, 1
; %bb.1983:                             ;   in Loop: Header=BB4_1840 Depth=4
	s_or_b32 exec_lo, exec_lo, s14
	v_lshrrev_b32_e32 v148, 20, v148
	s_delay_alu instid0(VALU_DEP_2) | instskip(SKIP_2) | instid1(VALU_DEP_2)
	v_cmp_gt_i32_e32 vcc_lo, 16, v12
	v_lshrrev_b32_e32 v147, 24, v147
	v_min_i32_e32 v149, 15, v12
	v_dual_cndmask_b32 v148, 7, v148 :: v_dual_and_b32 v147, 0x80, v147
	s_delay_alu instid0(VALU_DEP_1) | instskip(SKIP_1) | instid1(VALU_DEP_2)
	v_or_b32_e32 v12, v12, v148
	v_and_b32_e32 v150, 7, v148
	v_cmp_ne_u32_e32 vcc_lo, 0, v12
	v_lshlrev_b32_e32 v149, 3, v149
	s_delay_alu instid0(VALU_DEP_1) | instskip(NEXT) | instid1(VALU_DEP_1)
	v_or3_b32 v147, v149, v147, v150
	v_cndmask_b32_e32 v12, 0, v147, vcc_lo
.LBB4_1984:                             ;   in Loop: Header=BB4_1840 Depth=4
	s_or_b32 exec_lo, exec_lo, s39
.LBB4_1985:                             ;   in Loop: Header=BB4_1840 Depth=4
	s_delay_alu instid0(SALU_CYCLE_1)
	s_or_b32 exec_lo, exec_lo, s38
	v_lshrrev_b16 v148, 8, v13
	v_lshrrev_b16 v147, 8, v9
	s_and_b32 vcc_lo, exec_lo, s37
	s_cbranch_vccz .LBB4_1995
; %bb.1986:                             ;   in Loop: Header=BB4_1840 Depth=4
	s_mov_b32 s14, 0
	s_mov_b32 s39, exec_lo
                                        ; implicit-def: $sgpr38
	v_cmpx_lt_i16_e64 0x7f, v148
	s_xor_b32 s39, exec_lo, s39
	s_cbranch_execnz .LBB4_2382
; %bb.1987:                             ;   in Loop: Header=BB4_1840 Depth=4
	s_or_saveexec_b32 s39, s39
	v_mov_b32_e32 v149, s38
	s_xor_b32 exec_lo, exec_lo, s39
	s_cbranch_execnz .LBB4_2385
.LBB4_1988:                             ;   in Loop: Header=BB4_1840 Depth=4
	s_or_b32 exec_lo, exec_lo, s39
	s_and_saveexec_b32 s38, s14
	s_cbranch_execz .LBB4_1990
.LBB4_1989:                             ;   in Loop: Header=BB4_1840 Depth=4
	v_and_b32_e32 v149, 0xffff, v148
	s_delay_alu instid0(VALU_DEP_1) | instskip(NEXT) | instid1(VALU_DEP_1)
	v_and_b32_e32 v150, 7, v149
	v_clz_i32_u32_e32 v151, v150
	s_delay_alu instid0(VALU_DEP_1) | instskip(NEXT) | instid1(VALU_DEP_1)
	v_min_u32_e32 v151, 32, v151
	v_subrev_nc_u32_e32 v160, 28, v151
	v_sub_nc_u32_e32 v151, 29, v151
	s_delay_alu instid0(VALU_DEP_2) | instskip(SKIP_1) | instid1(VALU_DEP_2)
	v_lshlrev_b32_e32 v160, v160, v149
	v_bfe_u32 v149, v149, 3, 4
	v_and_b32_e32 v160, 7, v160
	s_delay_alu instid0(VALU_DEP_2) | instskip(SKIP_1) | instid1(VALU_DEP_3)
	v_cmp_eq_u32_e32 vcc_lo, 0, v149
	v_cndmask_b32_e32 v149, v149, v151, vcc_lo
	v_dual_cndmask_b32 v150, v150, v160 :: v_dual_lshlrev_b32 v161, 16, v13
	s_delay_alu instid0(VALU_DEP_2) | instskip(NEXT) | instid1(VALU_DEP_2)
	v_lshl_add_u32 v149, v149, 23, 0x3b800000
	v_and_b32_e32 v151, 0x80000000, v161
	s_delay_alu instid0(VALU_DEP_3) | instskip(NEXT) | instid1(VALU_DEP_1)
	v_lshlrev_b32_e32 v150, 20, v150
	v_or3_b32 v149, v151, v149, v150
.LBB4_1990:                             ;   in Loop: Header=BB4_1840 Depth=4
	s_or_b32 exec_lo, exec_lo, s38
	s_mov_b32 s14, 0
	s_mov_b32 s39, exec_lo
                                        ; implicit-def: $sgpr38
	v_cmpx_lt_i16_e64 0x7f, v147
	s_xor_b32 s39, exec_lo, s39
	s_cbranch_execnz .LBB4_2386
; %bb.1991:                             ;   in Loop: Header=BB4_1840 Depth=4
	s_or_saveexec_b32 s39, s39
	v_mov_b32_e32 v150, s38
	s_xor_b32 exec_lo, exec_lo, s39
	s_cbranch_execnz .LBB4_2389
.LBB4_1992:                             ;   in Loop: Header=BB4_1840 Depth=4
	s_or_b32 exec_lo, exec_lo, s39
	s_and_saveexec_b32 s38, s14
	s_cbranch_execz .LBB4_1994
.LBB4_1993:                             ;   in Loop: Header=BB4_1840 Depth=4
	v_and_b32_e32 v150, 0xffff, v147
	v_lshlrev_b32_e32 v162, 16, v9
	s_delay_alu instid0(VALU_DEP_2) | instskip(NEXT) | instid1(VALU_DEP_1)
	v_and_b32_e32 v151, 7, v150
	v_clz_i32_u32_e32 v160, v151
	s_delay_alu instid0(VALU_DEP_1) | instskip(NEXT) | instid1(VALU_DEP_1)
	v_min_u32_e32 v160, 32, v160
	v_subrev_nc_u32_e32 v161, 28, v160
	v_sub_nc_u32_e32 v160, 29, v160
	s_delay_alu instid0(VALU_DEP_2) | instskip(SKIP_1) | instid1(VALU_DEP_2)
	v_lshlrev_b32_e32 v161, v161, v150
	v_bfe_u32 v150, v150, 3, 4
	v_and_b32_e32 v161, 7, v161
	s_delay_alu instid0(VALU_DEP_2) | instskip(NEXT) | instid1(VALU_DEP_2)
	v_cmp_eq_u32_e32 vcc_lo, 0, v150
	v_dual_cndmask_b32 v150, v150, v160 :: v_dual_cndmask_b32 v151, v151, v161
	v_and_b32_e32 v160, 0x80000000, v162
	s_delay_alu instid0(VALU_DEP_2) | instskip(NEXT) | instid1(VALU_DEP_3)
	v_lshl_add_u32 v150, v150, 23, 0x3b800000
	v_lshlrev_b32_e32 v151, 20, v151
	s_delay_alu instid0(VALU_DEP_1)
	v_or3_b32 v150, v160, v150, v151
.LBB4_1994:                             ;   in Loop: Header=BB4_1840 Depth=4
	s_or_b32 exec_lo, exec_lo, s38
	s_delay_alu instid0(VALU_DEP_1) | instskip(SKIP_1) | instid1(VALU_DEP_1)
	v_dual_max_f32 v150, v150, v150 :: v_dual_max_f32 v149, v149, v149
	s_mov_b32 s14, 0
	v_max_f32_e32 v149, v149, v150
	s_branch .LBB4_1996
.LBB4_1995:                             ;   in Loop: Header=BB4_1840 Depth=4
	s_mov_b32 s14, -1
                                        ; implicit-def: $vgpr149
.LBB4_1996:                             ;   in Loop: Header=BB4_1840 Depth=4
	s_delay_alu instid0(SALU_CYCLE_1)
	s_and_b32 vcc_lo, exec_lo, s14
	s_cbranch_vccz .LBB4_2006
; %bb.1997:                             ;   in Loop: Header=BB4_1840 Depth=4
	s_mov_b32 s14, 0
	s_mov_b32 s39, exec_lo
                                        ; implicit-def: $sgpr38
	v_cmpx_lt_i16_e64 0x7f, v148
	s_xor_b32 s39, exec_lo, s39
	s_cbranch_execnz .LBB4_2390
; %bb.1998:                             ;   in Loop: Header=BB4_1840 Depth=4
	s_or_saveexec_b32 s39, s39
	v_mov_b32_e32 v149, s38
	s_xor_b32 exec_lo, exec_lo, s39
	s_cbranch_execnz .LBB4_2393
.LBB4_1999:                             ;   in Loop: Header=BB4_1840 Depth=4
	s_or_b32 exec_lo, exec_lo, s39
	s_and_saveexec_b32 s38, s14
	s_cbranch_execz .LBB4_2001
.LBB4_2000:                             ;   in Loop: Header=BB4_1840 Depth=4
	v_and_b32_e32 v148, 0xffff, v148
	v_lshlrev_b32_e32 v160, 16, v13
	s_delay_alu instid0(VALU_DEP_2) | instskip(NEXT) | instid1(VALU_DEP_1)
	v_and_b32_e32 v149, 7, v148
	v_clz_i32_u32_e32 v150, v149
	s_delay_alu instid0(VALU_DEP_1) | instskip(NEXT) | instid1(VALU_DEP_1)
	v_min_u32_e32 v150, 32, v150
	v_subrev_nc_u32_e32 v151, 28, v150
	v_sub_nc_u32_e32 v150, 29, v150
	s_delay_alu instid0(VALU_DEP_2) | instskip(SKIP_1) | instid1(VALU_DEP_2)
	v_lshlrev_b32_e32 v151, v151, v148
	v_bfe_u32 v148, v148, 3, 4
	v_and_b32_e32 v151, 7, v151
	s_delay_alu instid0(VALU_DEP_2) | instskip(NEXT) | instid1(VALU_DEP_2)
	v_cmp_eq_u32_e32 vcc_lo, 0, v148
	v_dual_cndmask_b32 v148, v148, v150 :: v_dual_cndmask_b32 v149, v149, v151
	v_and_b32_e32 v150, 0x80000000, v160
	s_delay_alu instid0(VALU_DEP_2) | instskip(NEXT) | instid1(VALU_DEP_3)
	v_lshl_add_u32 v148, v148, 23, 0x3b800000
	v_lshlrev_b32_e32 v149, 20, v149
	s_delay_alu instid0(VALU_DEP_1)
	v_or3_b32 v149, v150, v148, v149
.LBB4_2001:                             ;   in Loop: Header=BB4_1840 Depth=4
	s_or_b32 exec_lo, exec_lo, s38
	s_mov_b32 s14, 0
	s_mov_b32 s39, exec_lo
                                        ; implicit-def: $sgpr38
	v_cmpx_lt_i16_e64 0x7f, v147
	s_xor_b32 s39, exec_lo, s39
	s_cbranch_execnz .LBB4_2394
; %bb.2002:                             ;   in Loop: Header=BB4_1840 Depth=4
	s_or_saveexec_b32 s39, s39
	v_mov_b32_e32 v148, s38
	s_xor_b32 exec_lo, exec_lo, s39
	s_cbranch_execnz .LBB4_2397
.LBB4_2003:                             ;   in Loop: Header=BB4_1840 Depth=4
	s_or_b32 exec_lo, exec_lo, s39
	s_and_saveexec_b32 s38, s14
	s_cbranch_execz .LBB4_2005
.LBB4_2004:                             ;   in Loop: Header=BB4_1840 Depth=4
	v_and_b32_e32 v147, 0xffff, v147
	v_lshlrev_b32_e32 v160, 16, v9
	s_delay_alu instid0(VALU_DEP_2) | instskip(NEXT) | instid1(VALU_DEP_1)
	v_and_b32_e32 v148, 7, v147
	v_clz_i32_u32_e32 v150, v148
	s_delay_alu instid0(VALU_DEP_1) | instskip(NEXT) | instid1(VALU_DEP_1)
	v_min_u32_e32 v150, 32, v150
	v_subrev_nc_u32_e32 v151, 28, v150
	v_sub_nc_u32_e32 v150, 29, v150
	s_delay_alu instid0(VALU_DEP_2) | instskip(SKIP_1) | instid1(VALU_DEP_2)
	v_lshlrev_b32_e32 v151, v151, v147
	v_bfe_u32 v147, v147, 3, 4
	v_and_b32_e32 v151, 7, v151
	s_delay_alu instid0(VALU_DEP_2) | instskip(NEXT) | instid1(VALU_DEP_2)
	v_cmp_eq_u32_e32 vcc_lo, 0, v147
	v_dual_cndmask_b32 v147, v147, v150 :: v_dual_cndmask_b32 v148, v148, v151
	v_and_b32_e32 v150, 0x80000000, v160
	s_delay_alu instid0(VALU_DEP_2) | instskip(NEXT) | instid1(VALU_DEP_3)
	v_lshl_add_u32 v147, v147, 23, 0x3b800000
	v_lshlrev_b32_e32 v148, 20, v148
	s_delay_alu instid0(VALU_DEP_1)
	v_or3_b32 v148, v150, v147, v148
.LBB4_2005:                             ;   in Loop: Header=BB4_1840 Depth=4
	s_or_b32 exec_lo, exec_lo, s38
	s_delay_alu instid0(VALU_DEP_1) | instskip(NEXT) | instid1(VALU_DEP_1)
	v_dual_max_f32 v147, v148, v148 :: v_dual_max_f32 v148, v149, v149
	v_min_f32_e32 v149, v148, v147
.LBB4_2006:                             ;   in Loop: Header=BB4_1840 Depth=4
	s_delay_alu instid0(VALU_DEP_1) | instskip(NEXT) | instid1(VALU_DEP_1)
	v_and_b32_e32 v147, 0x7f800000, v149
	v_cmp_ne_u32_e32 vcc_lo, 0x7f800000, v147
	v_mov_b32_e32 v147, 0x80
	s_and_saveexec_b32 s38, vcc_lo
	s_cbranch_execz .LBB4_2014
; %bb.2007:                             ;   in Loop: Header=BB4_1840 Depth=4
	v_mov_b32_e32 v147, 0
	s_mov_b32 s39, exec_lo
	v_cmpx_ne_u32_e32 0, v149
	s_cbranch_execz .LBB4_2013
; %bb.2008:                             ;   in Loop: Header=BB4_1840 Depth=4
	v_bfe_u32 v147, v149, 23, 8
	v_and_b32_e32 v148, 0x7fffff, v149
	s_delay_alu instid0(VALU_DEP_2) | instskip(SKIP_1) | instid1(VALU_DEP_3)
	v_sub_nc_u32_e32 v150, 0x78, v147
	v_cmp_gt_u32_e32 vcc_lo, 0x79, v147
	v_or_b32_e32 v151, 0x800000, v148
	s_delay_alu instid0(VALU_DEP_3) | instskip(SKIP_2) | instid1(VALU_DEP_3)
	v_cndmask_b32_e32 v150, 0, v150, vcc_lo
	v_cmp_eq_u32_e32 vcc_lo, 0, v147
	v_add_nc_u32_e32 v147, 0xffffff89, v147
	v_cndmask_b32_e64 v150, v150, 0x77, vcc_lo
	v_cndmask_b32_e32 v148, v151, v148, vcc_lo
	s_delay_alu instid0(VALU_DEP_3) | instskip(NEXT) | instid1(VALU_DEP_3)
	v_cndmask_b32_e64 v147, v147, 0xffffff8a, vcc_lo
	v_lshl_add_u32 v151, 0x100000, v150, -1
	s_delay_alu instid0(VALU_DEP_3) | instskip(SKIP_1) | instid1(VALU_DEP_4)
	v_lshrrev_b32_e32 v160, v150, v148
	v_lshlrev_b32_e64 v162, v150, 0x80000
	v_add_nc_u32_e32 v150, v150, v147
	s_delay_alu instid0(VALU_DEP_4) | instskip(NEXT) | instid1(VALU_DEP_4)
	v_and_b32_e32 v148, v151, v148
	v_bfe_u32 v161, v160, 20, 1
	s_delay_alu instid0(VALU_DEP_2) | instskip(NEXT) | instid1(VALU_DEP_2)
	v_cmp_eq_u32_e64 s14, v148, v162
	v_add_nc_u32_e32 v151, -1, v161
	s_delay_alu instid0(VALU_DEP_1) | instskip(SKIP_2) | instid1(VALU_DEP_2)
	v_cndmask_b32_e64 v148, 0, v151, s14
	v_lshrrev_b32_e32 v151, 23, v160
	s_mov_b32 s14, exec_lo
	v_add_nc_u32_e32 v148, v148, v160
	s_delay_alu instid0(VALU_DEP_2) | instskip(NEXT) | instid1(VALU_DEP_2)
	v_xor_b32_e32 v151, 1, v151
	v_and_b32_e32 v147, 0xfffff, v148
	s_delay_alu instid0(VALU_DEP_1) | instskip(NEXT) | instid1(VALU_DEP_3)
	v_add_nc_u32_e32 v148, v147, v160
                                        ; implicit-def: $vgpr147
	v_cmpx_ne_u32_e64 v150, v151
	s_xor_b32 s14, exec_lo, s14
; %bb.2009:                             ;   in Loop: Header=BB4_1840 Depth=4
	s_delay_alu instid0(VALU_DEP_2) | instskip(SKIP_2) | instid1(VALU_DEP_2)
	v_cmp_lt_u32_e32 vcc_lo, 0xffffff, v148
	v_sub_nc_u32_e32 v147, v150, v151
	v_cndmask_b32_e64 v150, 0, 1, vcc_lo
	v_add_co_ci_u32_e32 v147, vcc_lo, 0, v147, vcc_lo
	s_delay_alu instid0(VALU_DEP_2)
	v_lshrrev_b32_e32 v148, v150, v148
; %bb.2010:                             ;   in Loop: Header=BB4_1840 Depth=4
	s_and_not1_saveexec_b32 s14, s14
; %bb.2011:                             ;   in Loop: Header=BB4_1840 Depth=4
	s_delay_alu instid0(VALU_DEP_1)
	v_bfe_u32 v147, v148, 23, 1
; %bb.2012:                             ;   in Loop: Header=BB4_1840 Depth=4
	s_or_b32 exec_lo, exec_lo, s14
	v_lshrrev_b32_e32 v148, 20, v148
	s_delay_alu instid0(VALU_DEP_2) | instskip(SKIP_2) | instid1(VALU_DEP_2)
	v_cmp_gt_i32_e32 vcc_lo, 16, v147
	v_lshrrev_b32_e32 v149, 24, v149
	v_min_i32_e32 v150, 15, v147
	v_dual_cndmask_b32 v148, 7, v148 :: v_dual_and_b32 v149, 0x80, v149
	s_delay_alu instid0(VALU_DEP_1) | instskip(SKIP_1) | instid1(VALU_DEP_2)
	v_or_b32_e32 v147, v147, v148
	v_and_b32_e32 v151, 7, v148
	v_cmp_ne_u32_e32 vcc_lo, 0, v147
	v_lshlrev_b32_e32 v150, 3, v150
	s_delay_alu instid0(VALU_DEP_1) | instskip(NEXT) | instid1(VALU_DEP_1)
	v_or3_b32 v148, v150, v149, v151
	v_cndmask_b32_e32 v147, 0, v148, vcc_lo
.LBB4_2013:                             ;   in Loop: Header=BB4_1840 Depth=4
	s_or_b32 exec_lo, exec_lo, s39
.LBB4_2014:                             ;   in Loop: Header=BB4_1840 Depth=4
	s_delay_alu instid0(SALU_CYCLE_1)
	s_or_b32 exec_lo, exec_lo, s38
	v_lshrrev_b32_e32 v149, 16, v13
	v_lshrrev_b32_e32 v148, 16, v9
	s_and_b32 vcc_lo, exec_lo, s37
	s_cbranch_vccz .LBB4_2024
; %bb.2015:                             ;   in Loop: Header=BB4_1840 Depth=4
	s_delay_alu instid0(VALU_DEP_2) | instskip(SKIP_2) | instid1(VALU_DEP_1)
	v_and_b32_e32 v151, 0xff, v149
	s_mov_b32 s14, 0
	s_mov_b32 s39, exec_lo
                                        ; implicit-def: $sgpr38
	v_cmpx_lt_i16_e64 0x7f, v151
	s_xor_b32 s39, exec_lo, s39
	s_cbranch_execnz .LBB4_2398
; %bb.2016:                             ;   in Loop: Header=BB4_1840 Depth=4
	s_or_saveexec_b32 s39, s39
	v_mov_b32_e32 v150, s38
	s_xor_b32 exec_lo, exec_lo, s39
	s_cbranch_execnz .LBB4_2401
.LBB4_2017:                             ;   in Loop: Header=BB4_1840 Depth=4
	s_or_b32 exec_lo, exec_lo, s39
	s_and_saveexec_b32 s38, s14
	s_cbranch_execz .LBB4_2019
.LBB4_2018:                             ;   in Loop: Header=BB4_1840 Depth=4
	v_bfe_u32 v150, v13, 16, 3
	v_bfe_u32 v161, v13, 19, 4
	v_lshlrev_b32_e32 v162, 24, v149
	s_delay_alu instid0(VALU_DEP_3) | instskip(NEXT) | instid1(VALU_DEP_3)
	v_clz_i32_u32_e32 v151, v150
	v_cmp_eq_u32_e32 vcc_lo, 0, v161
	s_delay_alu instid0(VALU_DEP_2) | instskip(NEXT) | instid1(VALU_DEP_1)
	v_min_u32_e32 v151, 32, v151
	v_subrev_nc_u32_e32 v160, 28, v151
	v_sub_nc_u32_e32 v151, 29, v151
	s_delay_alu instid0(VALU_DEP_1) | instskip(NEXT) | instid1(VALU_DEP_1)
	v_dual_cndmask_b32 v151, v161, v151 :: v_dual_lshlrev_b32 v160, v160, v149
	v_and_b32_e32 v160, 7, v160
	s_delay_alu instid0(VALU_DEP_2) | instskip(NEXT) | instid1(VALU_DEP_2)
	v_lshl_add_u32 v151, v151, 23, 0x3b800000
	v_cndmask_b32_e32 v150, v150, v160, vcc_lo
	v_and_b32_e32 v160, 0x80000000, v162
	s_delay_alu instid0(VALU_DEP_2) | instskip(NEXT) | instid1(VALU_DEP_1)
	v_lshlrev_b32_e32 v150, 20, v150
	v_or3_b32 v150, v160, v151, v150
.LBB4_2019:                             ;   in Loop: Header=BB4_1840 Depth=4
	s_or_b32 exec_lo, exec_lo, s38
	v_and_b32_e32 v160, 0xff, v148
	s_mov_b32 s14, 0
	s_mov_b32 s39, exec_lo
                                        ; implicit-def: $sgpr38
	s_delay_alu instid0(VALU_DEP_1)
	v_cmpx_lt_i16_e64 0x7f, v160
	s_xor_b32 s39, exec_lo, s39
	s_cbranch_execnz .LBB4_2402
; %bb.2020:                             ;   in Loop: Header=BB4_1840 Depth=4
	s_or_saveexec_b32 s39, s39
	v_mov_b32_e32 v151, s38
	s_xor_b32 exec_lo, exec_lo, s39
	s_cbranch_execnz .LBB4_2405
.LBB4_2021:                             ;   in Loop: Header=BB4_1840 Depth=4
	s_or_b32 exec_lo, exec_lo, s39
	s_and_saveexec_b32 s38, s14
	s_cbranch_execz .LBB4_2023
.LBB4_2022:                             ;   in Loop: Header=BB4_1840 Depth=4
	v_bfe_u32 v151, v9, 16, 3
	v_bfe_u32 v162, v9, 19, 4
	v_lshlrev_b32_e32 v163, 24, v148
	s_delay_alu instid0(VALU_DEP_3) | instskip(NEXT) | instid1(VALU_DEP_3)
	v_clz_i32_u32_e32 v160, v151
	v_cmp_eq_u32_e32 vcc_lo, 0, v162
	s_delay_alu instid0(VALU_DEP_2) | instskip(NEXT) | instid1(VALU_DEP_1)
	v_min_u32_e32 v160, 32, v160
	v_subrev_nc_u32_e32 v161, 28, v160
	v_sub_nc_u32_e32 v160, 29, v160
	s_delay_alu instid0(VALU_DEP_2) | instskip(NEXT) | instid1(VALU_DEP_1)
	v_lshlrev_b32_e32 v161, v161, v148
	v_dual_cndmask_b32 v160, v162, v160 :: v_dual_and_b32 v161, 7, v161
	s_delay_alu instid0(VALU_DEP_1) | instskip(NEXT) | instid1(VALU_DEP_2)
	v_lshl_add_u32 v160, v160, 23, 0x3b800000
	v_cndmask_b32_e32 v151, v151, v161, vcc_lo
	v_and_b32_e32 v161, 0x80000000, v163
	s_delay_alu instid0(VALU_DEP_2) | instskip(NEXT) | instid1(VALU_DEP_1)
	v_lshlrev_b32_e32 v151, 20, v151
	v_or3_b32 v151, v161, v160, v151
.LBB4_2023:                             ;   in Loop: Header=BB4_1840 Depth=4
	s_or_b32 exec_lo, exec_lo, s38
	s_delay_alu instid0(VALU_DEP_1) | instskip(SKIP_1) | instid1(VALU_DEP_1)
	v_dual_max_f32 v151, v151, v151 :: v_dual_max_f32 v150, v150, v150
	s_mov_b32 s14, 0
	v_max_f32_e32 v150, v150, v151
	s_branch .LBB4_2025
.LBB4_2024:                             ;   in Loop: Header=BB4_1840 Depth=4
	s_mov_b32 s14, -1
                                        ; implicit-def: $vgpr150
.LBB4_2025:                             ;   in Loop: Header=BB4_1840 Depth=4
	s_delay_alu instid0(SALU_CYCLE_1)
	s_and_b32 vcc_lo, exec_lo, s14
	s_cbranch_vccz .LBB4_2035
; %bb.2026:                             ;   in Loop: Header=BB4_1840 Depth=4
	v_and_b32_e32 v151, 0xff, v149
	s_mov_b32 s14, 0
	s_mov_b32 s39, exec_lo
                                        ; implicit-def: $sgpr38
	s_delay_alu instid0(VALU_DEP_1)
	v_cmpx_lt_i16_e64 0x7f, v151
	s_xor_b32 s39, exec_lo, s39
	s_cbranch_execnz .LBB4_2406
; %bb.2027:                             ;   in Loop: Header=BB4_1840 Depth=4
	s_or_saveexec_b32 s39, s39
	v_mov_b32_e32 v150, s38
	s_xor_b32 exec_lo, exec_lo, s39
	s_cbranch_execnz .LBB4_2409
.LBB4_2028:                             ;   in Loop: Header=BB4_1840 Depth=4
	s_or_b32 exec_lo, exec_lo, s39
	s_and_saveexec_b32 s38, s14
	s_cbranch_execz .LBB4_2030
.LBB4_2029:                             ;   in Loop: Header=BB4_1840 Depth=4
	v_bfe_u32 v150, v13, 16, 3
	v_bfe_u32 v161, v13, 19, 4
	s_delay_alu instid0(VALU_DEP_2) | instskip(NEXT) | instid1(VALU_DEP_2)
	v_clz_i32_u32_e32 v151, v150
	v_cmp_eq_u32_e32 vcc_lo, 0, v161
	s_delay_alu instid0(VALU_DEP_2) | instskip(NEXT) | instid1(VALU_DEP_1)
	v_min_u32_e32 v151, 32, v151
	v_subrev_nc_u32_e32 v160, 28, v151
	v_sub_nc_u32_e32 v151, 29, v151
	s_delay_alu instid0(VALU_DEP_1) | instskip(NEXT) | instid1(VALU_DEP_1)
	v_dual_cndmask_b32 v151, v161, v151 :: v_dual_lshlrev_b32 v160, v160, v149
	v_and_b32_e32 v160, 7, v160
	v_lshlrev_b32_e32 v149, 24, v149
	s_delay_alu instid0(VALU_DEP_3) | instskip(NEXT) | instid1(VALU_DEP_2)
	v_lshl_add_u32 v151, v151, 23, 0x3b800000
	v_dual_cndmask_b32 v150, v150, v160 :: v_dual_and_b32 v149, 0x80000000, v149
	s_delay_alu instid0(VALU_DEP_1) | instskip(NEXT) | instid1(VALU_DEP_1)
	v_lshlrev_b32_e32 v150, 20, v150
	v_or3_b32 v150, v149, v151, v150
.LBB4_2030:                             ;   in Loop: Header=BB4_1840 Depth=4
	s_or_b32 exec_lo, exec_lo, s38
	v_and_b32_e32 v151, 0xff, v148
	s_mov_b32 s14, 0
	s_mov_b32 s39, exec_lo
                                        ; implicit-def: $sgpr38
	s_delay_alu instid0(VALU_DEP_1)
	v_cmpx_lt_i16_e64 0x7f, v151
	s_xor_b32 s39, exec_lo, s39
	s_cbranch_execnz .LBB4_2410
; %bb.2031:                             ;   in Loop: Header=BB4_1840 Depth=4
	s_or_saveexec_b32 s39, s39
	v_mov_b32_e32 v149, s38
	s_xor_b32 exec_lo, exec_lo, s39
	s_cbranch_execnz .LBB4_2413
.LBB4_2032:                             ;   in Loop: Header=BB4_1840 Depth=4
	s_or_b32 exec_lo, exec_lo, s39
	s_and_saveexec_b32 s38, s14
	s_cbranch_execz .LBB4_2034
.LBB4_2033:                             ;   in Loop: Header=BB4_1840 Depth=4
	v_bfe_u32 v149, v9, 16, 3
	v_bfe_u32 v161, v9, 19, 4
	s_delay_alu instid0(VALU_DEP_2) | instskip(NEXT) | instid1(VALU_DEP_2)
	v_clz_i32_u32_e32 v151, v149
	v_cmp_eq_u32_e32 vcc_lo, 0, v161
	s_delay_alu instid0(VALU_DEP_2) | instskip(NEXT) | instid1(VALU_DEP_1)
	v_min_u32_e32 v151, 32, v151
	v_subrev_nc_u32_e32 v160, 28, v151
	v_sub_nc_u32_e32 v151, 29, v151
	s_delay_alu instid0(VALU_DEP_1) | instskip(SKIP_1) | instid1(VALU_DEP_2)
	v_dual_cndmask_b32 v151, v161, v151 :: v_dual_lshlrev_b32 v160, v160, v148
	v_lshlrev_b32_e32 v148, 24, v148
	v_and_b32_e32 v160, 7, v160
	s_delay_alu instid0(VALU_DEP_3) | instskip(NEXT) | instid1(VALU_DEP_3)
	v_lshl_add_u32 v151, v151, 23, 0x3b800000
	v_and_b32_e32 v148, 0x80000000, v148
	s_delay_alu instid0(VALU_DEP_3) | instskip(NEXT) | instid1(VALU_DEP_1)
	v_cndmask_b32_e32 v149, v149, v160, vcc_lo
	v_lshlrev_b32_e32 v149, 20, v149
	s_delay_alu instid0(VALU_DEP_1)
	v_or3_b32 v149, v148, v151, v149
.LBB4_2034:                             ;   in Loop: Header=BB4_1840 Depth=4
	s_or_b32 exec_lo, exec_lo, s38
	s_delay_alu instid0(VALU_DEP_1) | instskip(NEXT) | instid1(VALU_DEP_1)
	v_dual_max_f32 v148, v149, v149 :: v_dual_max_f32 v149, v150, v150
	v_min_f32_e32 v150, v149, v148
.LBB4_2035:                             ;   in Loop: Header=BB4_1840 Depth=4
	s_delay_alu instid0(VALU_DEP_1) | instskip(NEXT) | instid1(VALU_DEP_1)
	v_and_b32_e32 v148, 0x7f800000, v150
	v_cmp_ne_u32_e32 vcc_lo, 0x7f800000, v148
	v_mov_b32_e32 v148, 0x80
	s_and_saveexec_b32 s38, vcc_lo
	s_cbranch_execz .LBB4_2043
; %bb.2036:                             ;   in Loop: Header=BB4_1840 Depth=4
	v_mov_b32_e32 v148, 0
	s_mov_b32 s39, exec_lo
	v_cmpx_ne_u32_e32 0, v150
	s_cbranch_execz .LBB4_2042
; %bb.2037:                             ;   in Loop: Header=BB4_1840 Depth=4
	v_bfe_u32 v148, v150, 23, 8
	v_and_b32_e32 v149, 0x7fffff, v150
	s_delay_alu instid0(VALU_DEP_2) | instskip(SKIP_1) | instid1(VALU_DEP_3)
	v_sub_nc_u32_e32 v151, 0x78, v148
	v_cmp_gt_u32_e32 vcc_lo, 0x79, v148
	v_or_b32_e32 v160, 0x800000, v149
	s_delay_alu instid0(VALU_DEP_3) | instskip(SKIP_2) | instid1(VALU_DEP_3)
	v_cndmask_b32_e32 v151, 0, v151, vcc_lo
	v_cmp_eq_u32_e32 vcc_lo, 0, v148
	v_add_nc_u32_e32 v148, 0xffffff89, v148
	v_cndmask_b32_e64 v151, v151, 0x77, vcc_lo
	v_cndmask_b32_e32 v149, v160, v149, vcc_lo
	s_delay_alu instid0(VALU_DEP_3) | instskip(NEXT) | instid1(VALU_DEP_3)
	v_cndmask_b32_e64 v148, v148, 0xffffff8a, vcc_lo
	v_lshl_add_u32 v160, 0x100000, v151, -1
	s_delay_alu instid0(VALU_DEP_3) | instskip(SKIP_1) | instid1(VALU_DEP_4)
	v_lshrrev_b32_e32 v161, v151, v149
	v_lshlrev_b32_e64 v163, v151, 0x80000
	v_add_nc_u32_e32 v151, v151, v148
	s_delay_alu instid0(VALU_DEP_4) | instskip(NEXT) | instid1(VALU_DEP_4)
	v_and_b32_e32 v149, v160, v149
	v_bfe_u32 v162, v161, 20, 1
	s_delay_alu instid0(VALU_DEP_2) | instskip(NEXT) | instid1(VALU_DEP_2)
	v_cmp_eq_u32_e64 s14, v149, v163
	v_add_nc_u32_e32 v160, -1, v162
	s_delay_alu instid0(VALU_DEP_1) | instskip(SKIP_2) | instid1(VALU_DEP_2)
	v_cndmask_b32_e64 v149, 0, v160, s14
	v_lshrrev_b32_e32 v160, 23, v161
	s_mov_b32 s14, exec_lo
	v_add_nc_u32_e32 v149, v149, v161
	s_delay_alu instid0(VALU_DEP_2) | instskip(NEXT) | instid1(VALU_DEP_2)
	v_xor_b32_e32 v160, 1, v160
	v_and_b32_e32 v148, 0xfffff, v149
	s_delay_alu instid0(VALU_DEP_1) | instskip(NEXT) | instid1(VALU_DEP_3)
	v_add_nc_u32_e32 v149, v148, v161
                                        ; implicit-def: $vgpr148
	v_cmpx_ne_u32_e64 v151, v160
	s_xor_b32 s14, exec_lo, s14
; %bb.2038:                             ;   in Loop: Header=BB4_1840 Depth=4
	s_delay_alu instid0(VALU_DEP_2) | instskip(SKIP_2) | instid1(VALU_DEP_2)
	v_cmp_lt_u32_e32 vcc_lo, 0xffffff, v149
	v_sub_nc_u32_e32 v148, v151, v160
	v_cndmask_b32_e64 v151, 0, 1, vcc_lo
	v_add_co_ci_u32_e32 v148, vcc_lo, 0, v148, vcc_lo
	s_delay_alu instid0(VALU_DEP_2)
	v_lshrrev_b32_e32 v149, v151, v149
; %bb.2039:                             ;   in Loop: Header=BB4_1840 Depth=4
	s_and_not1_saveexec_b32 s14, s14
; %bb.2040:                             ;   in Loop: Header=BB4_1840 Depth=4
	s_delay_alu instid0(VALU_DEP_1)
	v_bfe_u32 v148, v149, 23, 1
; %bb.2041:                             ;   in Loop: Header=BB4_1840 Depth=4
	s_or_b32 exec_lo, exec_lo, s14
	v_lshrrev_b32_e32 v149, 20, v149
	s_delay_alu instid0(VALU_DEP_2) | instskip(SKIP_2) | instid1(VALU_DEP_2)
	v_cmp_gt_i32_e32 vcc_lo, 16, v148
	v_lshrrev_b32_e32 v150, 24, v150
	v_min_i32_e32 v151, 15, v148
	v_dual_cndmask_b32 v149, 7, v149 :: v_dual_and_b32 v150, 0x80, v150
	s_delay_alu instid0(VALU_DEP_1) | instskip(SKIP_1) | instid1(VALU_DEP_2)
	v_or_b32_e32 v148, v148, v149
	v_and_b32_e32 v160, 7, v149
	v_cmp_ne_u32_e32 vcc_lo, 0, v148
	v_lshlrev_b32_e32 v151, 3, v151
	s_delay_alu instid0(VALU_DEP_1) | instskip(NEXT) | instid1(VALU_DEP_1)
	v_and_b32_e32 v151, 0xf8, v151
	v_or3_b32 v149, v151, v150, v160
	s_delay_alu instid0(VALU_DEP_1)
	v_cndmask_b32_e32 v148, 0, v149, vcc_lo
.LBB4_2042:                             ;   in Loop: Header=BB4_1840 Depth=4
	s_or_b32 exec_lo, exec_lo, s39
.LBB4_2043:                             ;   in Loop: Header=BB4_1840 Depth=4
	s_delay_alu instid0(SALU_CYCLE_1)
	s_or_b32 exec_lo, exec_lo, s38
	v_lshrrev_b32_e32 v150, 24, v13
	v_lshrrev_b32_e32 v149, 24, v9
	s_and_b32 vcc_lo, exec_lo, s37
	s_cbranch_vccz .LBB4_2053
; %bb.2044:                             ;   in Loop: Header=BB4_1840 Depth=4
	s_mov_b32 s14, 0
	s_mov_b32 s39, exec_lo
                                        ; implicit-def: $sgpr38
	v_cmpx_lt_i16_e64 0x7f, v150
	s_xor_b32 s39, exec_lo, s39
	s_cbranch_execnz .LBB4_2414
; %bb.2045:                             ;   in Loop: Header=BB4_1840 Depth=4
	s_or_saveexec_b32 s39, s39
	v_mov_b32_e32 v151, s38
	s_xor_b32 exec_lo, exec_lo, s39
	s_cbranch_execnz .LBB4_2417
.LBB4_2046:                             ;   in Loop: Header=BB4_1840 Depth=4
	s_or_b32 exec_lo, exec_lo, s39
	s_and_saveexec_b32 s38, s14
	s_cbranch_execz .LBB4_2048
.LBB4_2047:                             ;   in Loop: Header=BB4_1840 Depth=4
	v_bfe_u32 v151, v13, 24, 3
	v_bfe_u32 v162, v13, 27, 4
	s_delay_alu instid0(VALU_DEP_2) | instskip(NEXT) | instid1(VALU_DEP_2)
	v_clz_i32_u32_e32 v160, v151
	v_cmp_eq_u32_e32 vcc_lo, 0, v162
	s_delay_alu instid0(VALU_DEP_2) | instskip(NEXT) | instid1(VALU_DEP_1)
	v_min_u32_e32 v160, 32, v160
	v_subrev_nc_u32_e32 v161, 28, v160
	v_sub_nc_u32_e32 v160, 29, v160
	s_delay_alu instid0(VALU_DEP_1) | instskip(NEXT) | instid1(VALU_DEP_1)
	v_dual_cndmask_b32 v160, v162, v160 :: v_dual_lshlrev_b32 v161, v161, v150
	v_and_b32_e32 v161, 7, v161
	s_delay_alu instid0(VALU_DEP_2) | instskip(NEXT) | instid1(VALU_DEP_2)
	v_lshl_add_u32 v160, v160, 23, 0x3b800000
	v_cndmask_b32_e32 v151, v151, v161, vcc_lo
	v_and_b32_e32 v161, 0x80000000, v13
	s_delay_alu instid0(VALU_DEP_2) | instskip(NEXT) | instid1(VALU_DEP_1)
	v_lshlrev_b32_e32 v151, 20, v151
	v_or3_b32 v151, v161, v160, v151
.LBB4_2048:                             ;   in Loop: Header=BB4_1840 Depth=4
	s_or_b32 exec_lo, exec_lo, s38
	s_mov_b32 s14, 0
	s_mov_b32 s39, exec_lo
                                        ; implicit-def: $sgpr38
	v_cmpx_lt_i16_e64 0x7f, v149
	s_xor_b32 s39, exec_lo, s39
	s_cbranch_execnz .LBB4_2418
; %bb.2049:                             ;   in Loop: Header=BB4_1840 Depth=4
	s_or_saveexec_b32 s39, s39
	v_mov_b32_e32 v160, s38
	s_xor_b32 exec_lo, exec_lo, s39
	s_cbranch_execnz .LBB4_2421
.LBB4_2050:                             ;   in Loop: Header=BB4_1840 Depth=4
	s_or_b32 exec_lo, exec_lo, s39
	s_and_saveexec_b32 s38, s14
	s_cbranch_execz .LBB4_2052
.LBB4_2051:                             ;   in Loop: Header=BB4_1840 Depth=4
	v_bfe_u32 v160, v9, 24, 3
	v_bfe_u32 v163, v9, 27, 4
	s_delay_alu instid0(VALU_DEP_2) | instskip(NEXT) | instid1(VALU_DEP_2)
	v_clz_i32_u32_e32 v161, v160
	v_cmp_eq_u32_e32 vcc_lo, 0, v163
	s_delay_alu instid0(VALU_DEP_2) | instskip(NEXT) | instid1(VALU_DEP_1)
	v_min_u32_e32 v161, 32, v161
	v_subrev_nc_u32_e32 v162, 28, v161
	v_sub_nc_u32_e32 v161, 29, v161
	s_delay_alu instid0(VALU_DEP_2) | instskip(NEXT) | instid1(VALU_DEP_1)
	v_lshlrev_b32_e32 v162, v162, v149
	v_dual_cndmask_b32 v161, v163, v161 :: v_dual_and_b32 v162, 7, v162
	s_delay_alu instid0(VALU_DEP_1) | instskip(NEXT) | instid1(VALU_DEP_2)
	v_lshl_add_u32 v161, v161, 23, 0x3b800000
	v_cndmask_b32_e32 v160, v160, v162, vcc_lo
	v_and_b32_e32 v162, 0x80000000, v9
	s_delay_alu instid0(VALU_DEP_2) | instskip(NEXT) | instid1(VALU_DEP_1)
	v_lshlrev_b32_e32 v160, 20, v160
	v_or3_b32 v160, v162, v161, v160
.LBB4_2052:                             ;   in Loop: Header=BB4_1840 Depth=4
	s_or_b32 exec_lo, exec_lo, s38
	s_delay_alu instid0(VALU_DEP_1) | instskip(SKIP_1) | instid1(VALU_DEP_1)
	v_dual_max_f32 v160, v160, v160 :: v_dual_max_f32 v151, v151, v151
	s_mov_b32 s14, 0
	v_max_f32_e32 v151, v151, v160
	s_branch .LBB4_2054
.LBB4_2053:                             ;   in Loop: Header=BB4_1840 Depth=4
	s_mov_b32 s14, -1
                                        ; implicit-def: $vgpr151
.LBB4_2054:                             ;   in Loop: Header=BB4_1840 Depth=4
	s_delay_alu instid0(SALU_CYCLE_1)
	s_and_b32 vcc_lo, exec_lo, s14
	s_cbranch_vccz .LBB4_2064
; %bb.2055:                             ;   in Loop: Header=BB4_1840 Depth=4
	s_mov_b32 s14, 0
	s_mov_b32 s39, exec_lo
                                        ; implicit-def: $sgpr38
	v_cmpx_lt_i16_e64 0x7f, v150
	s_xor_b32 s39, exec_lo, s39
	s_cbranch_execnz .LBB4_2422
; %bb.2056:                             ;   in Loop: Header=BB4_1840 Depth=4
	s_or_saveexec_b32 s39, s39
	v_mov_b32_e32 v151, s38
	s_xor_b32 exec_lo, exec_lo, s39
	s_cbranch_execnz .LBB4_2425
.LBB4_2057:                             ;   in Loop: Header=BB4_1840 Depth=4
	s_or_b32 exec_lo, exec_lo, s39
	s_and_saveexec_b32 s38, s14
	s_cbranch_execz .LBB4_2059
.LBB4_2058:                             ;   in Loop: Header=BB4_1840 Depth=4
	v_bfe_u32 v151, v13, 24, 3
	s_delay_alu instid0(VALU_DEP_1) | instskip(NEXT) | instid1(VALU_DEP_1)
	v_clz_i32_u32_e32 v160, v151
	v_min_u32_e32 v160, 32, v160
	s_delay_alu instid0(VALU_DEP_1) | instskip(SKIP_1) | instid1(VALU_DEP_2)
	v_subrev_nc_u32_e32 v161, 28, v160
	v_sub_nc_u32_e32 v160, 29, v160
	v_lshlrev_b32_e32 v150, v161, v150
	v_bfe_u32 v161, v13, 27, 4
	v_and_b32_e32 v13, 0x80000000, v13
	s_delay_alu instid0(VALU_DEP_3) | instskip(NEXT) | instid1(VALU_DEP_3)
	v_and_b32_e32 v150, 7, v150
	v_cmp_eq_u32_e32 vcc_lo, 0, v161
	v_cndmask_b32_e32 v160, v161, v160, vcc_lo
	s_delay_alu instid0(VALU_DEP_3) | instskip(NEXT) | instid1(VALU_DEP_2)
	v_cndmask_b32_e32 v150, v151, v150, vcc_lo
	v_lshl_add_u32 v151, v160, 23, 0x3b800000
	s_delay_alu instid0(VALU_DEP_2) | instskip(NEXT) | instid1(VALU_DEP_1)
	v_lshlrev_b32_e32 v150, 20, v150
	v_or3_b32 v151, v13, v151, v150
.LBB4_2059:                             ;   in Loop: Header=BB4_1840 Depth=4
	s_or_b32 exec_lo, exec_lo, s38
	s_mov_b32 s14, 0
	s_mov_b32 s39, exec_lo
                                        ; implicit-def: $sgpr38
	v_cmpx_lt_i16_e64 0x7f, v149
	s_xor_b32 s39, exec_lo, s39
	s_cbranch_execnz .LBB4_2426
; %bb.2060:                             ;   in Loop: Header=BB4_1840 Depth=4
	s_or_saveexec_b32 s39, s39
	v_mov_b32_e32 v13, s38
	s_xor_b32 exec_lo, exec_lo, s39
	s_cbranch_execnz .LBB4_2429
.LBB4_2061:                             ;   in Loop: Header=BB4_1840 Depth=4
	s_or_b32 exec_lo, exec_lo, s39
	s_and_saveexec_b32 s38, s14
	s_cbranch_execz .LBB4_2063
.LBB4_2062:                             ;   in Loop: Header=BB4_1840 Depth=4
	v_bfe_u32 v13, v9, 24, 3
	s_delay_alu instid0(VALU_DEP_1) | instskip(NEXT) | instid1(VALU_DEP_1)
	v_clz_i32_u32_e32 v150, v13
	v_min_u32_e32 v150, 32, v150
	s_delay_alu instid0(VALU_DEP_1) | instskip(SKIP_1) | instid1(VALU_DEP_2)
	v_subrev_nc_u32_e32 v160, 28, v150
	v_sub_nc_u32_e32 v150, 29, v150
	v_lshlrev_b32_e32 v149, v160, v149
	v_bfe_u32 v160, v9, 27, 4
	v_and_b32_e32 v9, 0x80000000, v9
	s_delay_alu instid0(VALU_DEP_2) | instskip(NEXT) | instid1(VALU_DEP_4)
	v_cmp_eq_u32_e32 vcc_lo, 0, v160
	v_dual_cndmask_b32 v150, v160, v150 :: v_dual_and_b32 v149, 7, v149
	s_delay_alu instid0(VALU_DEP_1) | instskip(NEXT) | instid1(VALU_DEP_2)
	v_cndmask_b32_e32 v13, v13, v149, vcc_lo
	v_lshl_add_u32 v149, v150, 23, 0x3b800000
	s_delay_alu instid0(VALU_DEP_2) | instskip(NEXT) | instid1(VALU_DEP_1)
	v_lshlrev_b32_e32 v13, 20, v13
	v_or3_b32 v13, v9, v149, v13
.LBB4_2063:                             ;   in Loop: Header=BB4_1840 Depth=4
	s_or_b32 exec_lo, exec_lo, s38
	s_delay_alu instid0(VALU_DEP_1) | instskip(SKIP_1) | instid1(VALU_DEP_1)
	v_max_f32_e32 v9, v13, v13
	v_max_f32_e32 v13, v151, v151
	v_min_f32_e32 v151, v13, v9
.LBB4_2064:                             ;   in Loop: Header=BB4_1840 Depth=4
	s_delay_alu instid0(VALU_DEP_1) | instskip(NEXT) | instid1(VALU_DEP_1)
	v_and_b32_e32 v9, 0x7f800000, v151
	v_cmp_ne_u32_e32 vcc_lo, 0x7f800000, v9
	v_mov_b32_e32 v9, 0x8000
	s_and_saveexec_b32 s38, vcc_lo
	s_cbranch_execz .LBB4_2072
; %bb.2065:                             ;   in Loop: Header=BB4_1840 Depth=4
	v_mov_b32_e32 v9, 0
	s_mov_b32 s39, exec_lo
	v_cmpx_ne_u32_e32 0, v151
	s_cbranch_execz .LBB4_2071
; %bb.2066:                             ;   in Loop: Header=BB4_1840 Depth=4
	v_bfe_u32 v9, v151, 23, 8
	v_and_b32_e32 v13, 0x7fffff, v151
	s_delay_alu instid0(VALU_DEP_2) | instskip(SKIP_1) | instid1(VALU_DEP_3)
	v_sub_nc_u32_e32 v149, 0x78, v9
	v_cmp_gt_u32_e32 vcc_lo, 0x79, v9
	v_or_b32_e32 v150, 0x800000, v13
	s_delay_alu instid0(VALU_DEP_3) | instskip(SKIP_2) | instid1(VALU_DEP_3)
	v_cndmask_b32_e32 v149, 0, v149, vcc_lo
	v_cmp_eq_u32_e32 vcc_lo, 0, v9
	v_add_nc_u32_e32 v9, 0xffffff89, v9
	v_cndmask_b32_e64 v149, v149, 0x77, vcc_lo
	v_cndmask_b32_e32 v13, v150, v13, vcc_lo
	s_delay_alu instid0(VALU_DEP_3) | instskip(NEXT) | instid1(VALU_DEP_3)
	v_cndmask_b32_e64 v9, v9, 0xffffff8a, vcc_lo
	v_lshl_add_u32 v150, 0x100000, v149, -1
	s_delay_alu instid0(VALU_DEP_3) | instskip(SKIP_1) | instid1(VALU_DEP_4)
	v_lshrrev_b32_e32 v160, v149, v13
	v_lshlrev_b32_e64 v162, v149, 0x80000
	v_add_nc_u32_e32 v149, v149, v9
	s_delay_alu instid0(VALU_DEP_4) | instskip(NEXT) | instid1(VALU_DEP_4)
	v_and_b32_e32 v13, v150, v13
	v_bfe_u32 v161, v160, 20, 1
	s_delay_alu instid0(VALU_DEP_2) | instskip(NEXT) | instid1(VALU_DEP_2)
	v_cmp_eq_u32_e64 s14, v13, v162
	v_add_nc_u32_e32 v150, -1, v161
	s_delay_alu instid0(VALU_DEP_1) | instskip(SKIP_2) | instid1(VALU_DEP_2)
	v_cndmask_b32_e64 v13, 0, v150, s14
	v_lshrrev_b32_e32 v150, 23, v160
	s_mov_b32 s14, exec_lo
	v_add_nc_u32_e32 v13, v13, v160
	s_delay_alu instid0(VALU_DEP_2) | instskip(NEXT) | instid1(VALU_DEP_2)
	v_xor_b32_e32 v150, 1, v150
	v_and_b32_e32 v9, 0xfffff, v13
	s_delay_alu instid0(VALU_DEP_1) | instskip(NEXT) | instid1(VALU_DEP_3)
	v_add_nc_u32_e32 v13, v9, v160
                                        ; implicit-def: $vgpr9
	v_cmpx_ne_u32_e64 v149, v150
	s_xor_b32 s14, exec_lo, s14
; %bb.2067:                             ;   in Loop: Header=BB4_1840 Depth=4
	s_delay_alu instid0(VALU_DEP_2) | instskip(SKIP_2) | instid1(VALU_DEP_2)
	v_cmp_lt_u32_e32 vcc_lo, 0xffffff, v13
	v_sub_nc_u32_e32 v9, v149, v150
	v_cndmask_b32_e64 v149, 0, 1, vcc_lo
	v_add_co_ci_u32_e32 v9, vcc_lo, 0, v9, vcc_lo
	s_delay_alu instid0(VALU_DEP_2)
	v_lshrrev_b32_e32 v13, v149, v13
; %bb.2068:                             ;   in Loop: Header=BB4_1840 Depth=4
	s_and_not1_saveexec_b32 s14, s14
; %bb.2069:                             ;   in Loop: Header=BB4_1840 Depth=4
	s_delay_alu instid0(VALU_DEP_1)
	v_bfe_u32 v9, v13, 23, 1
; %bb.2070:                             ;   in Loop: Header=BB4_1840 Depth=4
	s_or_b32 exec_lo, exec_lo, s14
	v_lshrrev_b32_e32 v13, 20, v13
	s_delay_alu instid0(VALU_DEP_2) | instskip(SKIP_2) | instid1(VALU_DEP_3)
	v_min_i32_e32 v149, 15, v9
	v_cmp_gt_i32_e32 vcc_lo, 16, v9
	v_lshrrev_b32_e32 v150, 24, v151
	v_lshlrev_b32_e32 v149, 3, v149
	s_delay_alu instid0(VALU_DEP_2) | instskip(NEXT) | instid1(VALU_DEP_2)
	v_dual_cndmask_b32 v13, 7, v13 :: v_dual_and_b32 v150, 0x80, v150
	v_and_b32_e32 v149, 0xf8, v149
	s_delay_alu instid0(VALU_DEP_2) | instskip(SKIP_1) | instid1(VALU_DEP_2)
	v_and_b32_e32 v151, 7, v13
	v_or_b32_e32 v9, v9, v13
	v_or3_b32 v149, v150, v149, v151
	s_delay_alu instid0(VALU_DEP_2) | instskip(NEXT) | instid1(VALU_DEP_2)
	v_cmp_ne_u32_e32 vcc_lo, 0, v9
	v_lshlrev_b32_e32 v13, 8, v149
	s_delay_alu instid0(VALU_DEP_1)
	v_cndmask_b32_e32 v9, 0, v13, vcc_lo
.LBB4_2071:                             ;   in Loop: Header=BB4_1840 Depth=4
	s_or_b32 exec_lo, exec_lo, s39
.LBB4_2072:                             ;   in Loop: Header=BB4_1840 Depth=4
	s_delay_alu instid0(SALU_CYCLE_1) | instskip(NEXT) | instid1(SALU_CYCLE_1)
	s_or_b32 exec_lo, exec_lo, s38
	s_and_b32 vcc_lo, exec_lo, s37
	s_cbranch_vccz .LBB4_2082
; %bb.2073:                             ;   in Loop: Header=BB4_1840 Depth=4
	v_and_b32_e32 v149, 0xff, v14
	s_mov_b32 s14, 0
	s_mov_b32 s39, exec_lo
                                        ; implicit-def: $sgpr38
	s_delay_alu instid0(VALU_DEP_1)
	v_cmpx_lt_i16_e64 0x7f, v149
	s_xor_b32 s39, exec_lo, s39
	s_cbranch_execnz .LBB4_2430
; %bb.2074:                             ;   in Loop: Header=BB4_1840 Depth=4
	s_or_saveexec_b32 s39, s39
	v_mov_b32_e32 v13, s38
	s_xor_b32 exec_lo, exec_lo, s39
	s_cbranch_execnz .LBB4_2433
.LBB4_2075:                             ;   in Loop: Header=BB4_1840 Depth=4
	s_or_b32 exec_lo, exec_lo, s39
	s_and_saveexec_b32 s38, s14
	s_cbranch_execz .LBB4_2077
.LBB4_2076:                             ;   in Loop: Header=BB4_1840 Depth=4
	v_and_b32_e32 v13, 7, v14
	v_bfe_u32 v151, v14, 3, 4
	v_lshlrev_b32_e32 v160, 24, v14
	s_delay_alu instid0(VALU_DEP_3) | instskip(NEXT) | instid1(VALU_DEP_3)
	v_clz_i32_u32_e32 v149, v13
	v_cmp_eq_u32_e32 vcc_lo, 0, v151
	s_delay_alu instid0(VALU_DEP_2) | instskip(NEXT) | instid1(VALU_DEP_1)
	v_min_u32_e32 v149, 32, v149
	v_subrev_nc_u32_e32 v150, 28, v149
	v_sub_nc_u32_e32 v149, 29, v149
	s_delay_alu instid0(VALU_DEP_1) | instskip(NEXT) | instid1(VALU_DEP_1)
	v_dual_cndmask_b32 v149, v151, v149 :: v_dual_lshlrev_b32 v150, v150, v14
	v_and_b32_e32 v150, 7, v150
	s_delay_alu instid0(VALU_DEP_2) | instskip(NEXT) | instid1(VALU_DEP_2)
	v_lshl_add_u32 v149, v149, 23, 0x3b800000
	v_dual_cndmask_b32 v13, v13, v150 :: v_dual_and_b32 v150, 0x80000000, v160
	s_delay_alu instid0(VALU_DEP_1) | instskip(NEXT) | instid1(VALU_DEP_1)
	v_lshlrev_b32_e32 v13, 20, v13
	v_or3_b32 v13, v150, v149, v13
.LBB4_2077:                             ;   in Loop: Header=BB4_1840 Depth=4
	s_or_b32 exec_lo, exec_lo, s38
	v_and_b32_e32 v150, 0xff, v10
	s_mov_b32 s14, 0
	s_mov_b32 s39, exec_lo
                                        ; implicit-def: $sgpr38
	s_delay_alu instid0(VALU_DEP_1)
	v_cmpx_lt_i16_e64 0x7f, v150
	s_xor_b32 s39, exec_lo, s39
	s_cbranch_execnz .LBB4_2434
; %bb.2078:                             ;   in Loop: Header=BB4_1840 Depth=4
	s_or_saveexec_b32 s39, s39
	v_mov_b32_e32 v149, s38
	s_xor_b32 exec_lo, exec_lo, s39
	s_cbranch_execnz .LBB4_2437
.LBB4_2079:                             ;   in Loop: Header=BB4_1840 Depth=4
	s_or_b32 exec_lo, exec_lo, s39
	s_and_saveexec_b32 s38, s14
	s_cbranch_execz .LBB4_2081
.LBB4_2080:                             ;   in Loop: Header=BB4_1840 Depth=4
	v_and_b32_e32 v149, 7, v10
	v_bfe_u32 v160, v10, 3, 4
	v_lshlrev_b32_e32 v161, 24, v10
	s_delay_alu instid0(VALU_DEP_3) | instskip(NEXT) | instid1(VALU_DEP_3)
	v_clz_i32_u32_e32 v150, v149
	v_cmp_eq_u32_e32 vcc_lo, 0, v160
	s_delay_alu instid0(VALU_DEP_2) | instskip(NEXT) | instid1(VALU_DEP_1)
	v_min_u32_e32 v150, 32, v150
	v_subrev_nc_u32_e32 v151, 28, v150
	v_sub_nc_u32_e32 v150, 29, v150
	s_delay_alu instid0(VALU_DEP_2) | instskip(NEXT) | instid1(VALU_DEP_1)
	v_lshlrev_b32_e32 v151, v151, v10
	v_dual_cndmask_b32 v150, v160, v150 :: v_dual_and_b32 v151, 7, v151
	s_delay_alu instid0(VALU_DEP_1) | instskip(NEXT) | instid1(VALU_DEP_2)
	v_lshl_add_u32 v150, v150, 23, 0x3b800000
	v_cndmask_b32_e32 v149, v149, v151, vcc_lo
	v_and_b32_e32 v151, 0x80000000, v161
	s_delay_alu instid0(VALU_DEP_2) | instskip(NEXT) | instid1(VALU_DEP_1)
	v_lshlrev_b32_e32 v149, 20, v149
	v_or3_b32 v149, v151, v150, v149
.LBB4_2081:                             ;   in Loop: Header=BB4_1840 Depth=4
	s_or_b32 exec_lo, exec_lo, s38
	s_delay_alu instid0(VALU_DEP_1) | instskip(SKIP_2) | instid1(VALU_DEP_1)
	v_max_f32_e32 v149, v149, v149
	v_max_f32_e32 v13, v13, v13
	s_mov_b32 s14, 0
	v_max_f32_e32 v149, v13, v149
	s_branch .LBB4_2083
.LBB4_2082:                             ;   in Loop: Header=BB4_1840 Depth=4
	s_mov_b32 s14, -1
                                        ; implicit-def: $vgpr149
.LBB4_2083:                             ;   in Loop: Header=BB4_1840 Depth=4
	s_delay_alu instid0(SALU_CYCLE_1)
	s_and_b32 vcc_lo, exec_lo, s14
	s_cbranch_vccz .LBB4_2093
; %bb.2084:                             ;   in Loop: Header=BB4_1840 Depth=4
	v_and_b32_e32 v149, 0xff, v14
	s_mov_b32 s14, 0
	s_mov_b32 s39, exec_lo
                                        ; implicit-def: $sgpr38
	s_delay_alu instid0(VALU_DEP_1)
	v_cmpx_lt_i16_e64 0x7f, v149
	s_xor_b32 s39, exec_lo, s39
	s_cbranch_execnz .LBB4_2438
; %bb.2085:                             ;   in Loop: Header=BB4_1840 Depth=4
	s_or_saveexec_b32 s39, s39
	v_mov_b32_e32 v13, s38
	s_xor_b32 exec_lo, exec_lo, s39
	s_cbranch_execnz .LBB4_2441
.LBB4_2086:                             ;   in Loop: Header=BB4_1840 Depth=4
	s_or_b32 exec_lo, exec_lo, s39
	s_and_saveexec_b32 s38, s14
	s_cbranch_execz .LBB4_2088
.LBB4_2087:                             ;   in Loop: Header=BB4_1840 Depth=4
	v_and_b32_e32 v13, 7, v14
	v_bfe_u32 v151, v14, 3, 4
	v_lshlrev_b32_e32 v160, 24, v14
	s_delay_alu instid0(VALU_DEP_3) | instskip(NEXT) | instid1(VALU_DEP_3)
	v_clz_i32_u32_e32 v149, v13
	v_cmp_eq_u32_e32 vcc_lo, 0, v151
	s_delay_alu instid0(VALU_DEP_2) | instskip(NEXT) | instid1(VALU_DEP_1)
	v_min_u32_e32 v149, 32, v149
	v_subrev_nc_u32_e32 v150, 28, v149
	v_sub_nc_u32_e32 v149, 29, v149
	s_delay_alu instid0(VALU_DEP_1) | instskip(NEXT) | instid1(VALU_DEP_1)
	v_dual_cndmask_b32 v149, v151, v149 :: v_dual_lshlrev_b32 v150, v150, v14
	v_and_b32_e32 v150, 7, v150
	s_delay_alu instid0(VALU_DEP_2) | instskip(NEXT) | instid1(VALU_DEP_2)
	v_lshl_add_u32 v149, v149, 23, 0x3b800000
	v_dual_cndmask_b32 v13, v13, v150 :: v_dual_and_b32 v150, 0x80000000, v160
	s_delay_alu instid0(VALU_DEP_1) | instskip(NEXT) | instid1(VALU_DEP_1)
	v_lshlrev_b32_e32 v13, 20, v13
	v_or3_b32 v13, v150, v149, v13
.LBB4_2088:                             ;   in Loop: Header=BB4_1840 Depth=4
	s_or_b32 exec_lo, exec_lo, s38
	v_and_b32_e32 v150, 0xff, v10
	s_mov_b32 s14, 0
	s_mov_b32 s39, exec_lo
                                        ; implicit-def: $sgpr38
	s_delay_alu instid0(VALU_DEP_1)
	v_cmpx_lt_i16_e64 0x7f, v150
	s_xor_b32 s39, exec_lo, s39
	s_cbranch_execnz .LBB4_2442
; %bb.2089:                             ;   in Loop: Header=BB4_1840 Depth=4
	s_or_saveexec_b32 s39, s39
	v_mov_b32_e32 v149, s38
	s_xor_b32 exec_lo, exec_lo, s39
	s_cbranch_execnz .LBB4_2445
.LBB4_2090:                             ;   in Loop: Header=BB4_1840 Depth=4
	s_or_b32 exec_lo, exec_lo, s39
	s_and_saveexec_b32 s38, s14
	s_cbranch_execz .LBB4_2092
.LBB4_2091:                             ;   in Loop: Header=BB4_1840 Depth=4
	v_and_b32_e32 v149, 7, v10
	v_bfe_u32 v160, v10, 3, 4
	v_lshlrev_b32_e32 v161, 24, v10
	s_delay_alu instid0(VALU_DEP_3) | instskip(NEXT) | instid1(VALU_DEP_3)
	v_clz_i32_u32_e32 v150, v149
	v_cmp_eq_u32_e32 vcc_lo, 0, v160
	s_delay_alu instid0(VALU_DEP_2) | instskip(NEXT) | instid1(VALU_DEP_1)
	v_min_u32_e32 v150, 32, v150
	v_subrev_nc_u32_e32 v151, 28, v150
	v_sub_nc_u32_e32 v150, 29, v150
	s_delay_alu instid0(VALU_DEP_2) | instskip(NEXT) | instid1(VALU_DEP_1)
	v_lshlrev_b32_e32 v151, v151, v10
	v_dual_cndmask_b32 v150, v160, v150 :: v_dual_and_b32 v151, 7, v151
	s_delay_alu instid0(VALU_DEP_1) | instskip(NEXT) | instid1(VALU_DEP_2)
	v_lshl_add_u32 v150, v150, 23, 0x3b800000
	v_cndmask_b32_e32 v149, v149, v151, vcc_lo
	v_and_b32_e32 v151, 0x80000000, v161
	s_delay_alu instid0(VALU_DEP_2) | instskip(NEXT) | instid1(VALU_DEP_1)
	v_lshlrev_b32_e32 v149, 20, v149
	v_or3_b32 v149, v151, v150, v149
.LBB4_2092:                             ;   in Loop: Header=BB4_1840 Depth=4
	s_or_b32 exec_lo, exec_lo, s38
	s_delay_alu instid0(VALU_DEP_1) | instskip(SKIP_1) | instid1(VALU_DEP_1)
	v_max_f32_e32 v149, v149, v149
	v_max_f32_e32 v13, v13, v13
	v_min_f32_e32 v149, v13, v149
.LBB4_2093:                             ;   in Loop: Header=BB4_1840 Depth=4
	s_delay_alu instid0(VALU_DEP_1) | instskip(NEXT) | instid1(VALU_DEP_1)
	v_and_b32_e32 v13, 0x7f800000, v149
	v_cmp_ne_u32_e32 vcc_lo, 0x7f800000, v13
	v_mov_b32_e32 v13, 0x80
	s_and_saveexec_b32 s38, vcc_lo
	s_cbranch_execz .LBB4_2101
; %bb.2094:                             ;   in Loop: Header=BB4_1840 Depth=4
	v_mov_b32_e32 v13, 0
	s_mov_b32 s39, exec_lo
	v_cmpx_ne_u32_e32 0, v149
	s_cbranch_execz .LBB4_2100
; %bb.2095:                             ;   in Loop: Header=BB4_1840 Depth=4
	v_bfe_u32 v13, v149, 23, 8
	s_delay_alu instid0(VALU_DEP_1) | instskip(SKIP_1) | instid1(VALU_DEP_2)
	v_sub_nc_u32_e32 v151, 0x78, v13
	v_cmp_gt_u32_e32 vcc_lo, 0x79, v13
	v_dual_cndmask_b32 v151, 0, v151 :: v_dual_and_b32 v150, 0x7fffff, v149
	s_delay_alu instid0(VALU_DEP_1) | instskip(SKIP_2) | instid1(VALU_DEP_4)
	v_or_b32_e32 v160, 0x800000, v150
	v_cmp_eq_u32_e32 vcc_lo, 0, v13
	v_add_nc_u32_e32 v13, 0xffffff89, v13
	v_cndmask_b32_e64 v151, v151, 0x77, vcc_lo
	s_delay_alu instid0(VALU_DEP_4) | instskip(NEXT) | instid1(VALU_DEP_3)
	v_cndmask_b32_e32 v150, v160, v150, vcc_lo
	v_cndmask_b32_e64 v13, v13, 0xffffff8a, vcc_lo
	s_delay_alu instid0(VALU_DEP_3) | instskip(NEXT) | instid1(VALU_DEP_3)
	v_lshl_add_u32 v160, 0x100000, v151, -1
	v_lshrrev_b32_e32 v161, v151, v150
	v_lshlrev_b32_e64 v163, v151, 0x80000
	s_delay_alu instid0(VALU_DEP_4) | instskip(NEXT) | instid1(VALU_DEP_4)
	v_add_nc_u32_e32 v151, v151, v13
	v_and_b32_e32 v150, v160, v150
	s_delay_alu instid0(VALU_DEP_4) | instskip(NEXT) | instid1(VALU_DEP_2)
	v_bfe_u32 v162, v161, 20, 1
	v_cmp_eq_u32_e64 s14, v150, v163
	s_delay_alu instid0(VALU_DEP_2) | instskip(NEXT) | instid1(VALU_DEP_1)
	v_add_nc_u32_e32 v160, -1, v162
	v_cndmask_b32_e64 v150, 0, v160, s14
	v_lshrrev_b32_e32 v160, 23, v161
	s_mov_b32 s14, exec_lo
	s_delay_alu instid0(VALU_DEP_2) | instskip(NEXT) | instid1(VALU_DEP_2)
	v_add_nc_u32_e32 v150, v150, v161
	v_xor_b32_e32 v160, 1, v160
	s_delay_alu instid0(VALU_DEP_2) | instskip(NEXT) | instid1(VALU_DEP_1)
	v_and_b32_e32 v13, 0xfffff, v150
	v_add_nc_u32_e32 v150, v13, v161
                                        ; implicit-def: $vgpr13
	s_delay_alu instid0(VALU_DEP_3)
	v_cmpx_ne_u32_e64 v151, v160
	s_xor_b32 s14, exec_lo, s14
; %bb.2096:                             ;   in Loop: Header=BB4_1840 Depth=4
	s_delay_alu instid0(VALU_DEP_2) | instskip(SKIP_2) | instid1(VALU_DEP_2)
	v_cmp_lt_u32_e32 vcc_lo, 0xffffff, v150
	v_sub_nc_u32_e32 v13, v151, v160
	v_cndmask_b32_e64 v151, 0, 1, vcc_lo
	v_add_co_ci_u32_e32 v13, vcc_lo, 0, v13, vcc_lo
	s_delay_alu instid0(VALU_DEP_2)
	v_lshrrev_b32_e32 v150, v151, v150
; %bb.2097:                             ;   in Loop: Header=BB4_1840 Depth=4
	s_and_not1_saveexec_b32 s14, s14
; %bb.2098:                             ;   in Loop: Header=BB4_1840 Depth=4
	s_delay_alu instid0(VALU_DEP_1)
	v_bfe_u32 v13, v150, 23, 1
; %bb.2099:                             ;   in Loop: Header=BB4_1840 Depth=4
	s_or_b32 exec_lo, exec_lo, s14
	v_lshrrev_b32_e32 v150, 20, v150
	s_delay_alu instid0(VALU_DEP_2) | instskip(SKIP_2) | instid1(VALU_DEP_2)
	v_cmp_gt_i32_e32 vcc_lo, 16, v13
	v_lshrrev_b32_e32 v149, 24, v149
	v_min_i32_e32 v151, 15, v13
	v_dual_cndmask_b32 v150, 7, v150 :: v_dual_and_b32 v149, 0x80, v149
	s_delay_alu instid0(VALU_DEP_2) | instskip(NEXT) | instid1(VALU_DEP_2)
	v_lshlrev_b32_e32 v151, 3, v151
	v_or_b32_e32 v13, v13, v150
	s_delay_alu instid0(VALU_DEP_1) | instskip(SKIP_1) | instid1(VALU_DEP_1)
	v_cmp_ne_u32_e32 vcc_lo, 0, v13
	v_and_b32_e32 v160, 7, v150
	v_or3_b32 v149, v151, v149, v160
	s_delay_alu instid0(VALU_DEP_1)
	v_cndmask_b32_e32 v13, 0, v149, vcc_lo
.LBB4_2100:                             ;   in Loop: Header=BB4_1840 Depth=4
	s_or_b32 exec_lo, exec_lo, s39
.LBB4_2101:                             ;   in Loop: Header=BB4_1840 Depth=4
	s_delay_alu instid0(SALU_CYCLE_1)
	s_or_b32 exec_lo, exec_lo, s38
	v_lshrrev_b16 v150, 8, v14
	v_lshrrev_b16 v149, 8, v10
	s_and_b32 vcc_lo, exec_lo, s37
	s_cbranch_vccz .LBB4_2111
; %bb.2102:                             ;   in Loop: Header=BB4_1840 Depth=4
	s_mov_b32 s14, 0
	s_mov_b32 s39, exec_lo
                                        ; implicit-def: $sgpr38
	v_cmpx_lt_i16_e64 0x7f, v150
	s_xor_b32 s39, exec_lo, s39
	s_cbranch_execnz .LBB4_2446
; %bb.2103:                             ;   in Loop: Header=BB4_1840 Depth=4
	s_or_saveexec_b32 s39, s39
	v_mov_b32_e32 v151, s38
	s_xor_b32 exec_lo, exec_lo, s39
	s_cbranch_execnz .LBB4_2449
.LBB4_2104:                             ;   in Loop: Header=BB4_1840 Depth=4
	s_or_b32 exec_lo, exec_lo, s39
	s_and_saveexec_b32 s38, s14
	s_cbranch_execz .LBB4_2106
.LBB4_2105:                             ;   in Loop: Header=BB4_1840 Depth=4
	v_and_b32_e32 v151, 0xffff, v150
	v_lshlrev_b32_e32 v163, 16, v14
	s_delay_alu instid0(VALU_DEP_2) | instskip(NEXT) | instid1(VALU_DEP_1)
	v_and_b32_e32 v160, 7, v151
	v_clz_i32_u32_e32 v161, v160
	s_delay_alu instid0(VALU_DEP_1) | instskip(NEXT) | instid1(VALU_DEP_1)
	v_min_u32_e32 v161, 32, v161
	v_subrev_nc_u32_e32 v162, 28, v161
	v_sub_nc_u32_e32 v161, 29, v161
	s_delay_alu instid0(VALU_DEP_2) | instskip(SKIP_1) | instid1(VALU_DEP_2)
	v_lshlrev_b32_e32 v162, v162, v151
	v_bfe_u32 v151, v151, 3, 4
	v_and_b32_e32 v162, 7, v162
	s_delay_alu instid0(VALU_DEP_2) | instskip(NEXT) | instid1(VALU_DEP_2)
	v_cmp_eq_u32_e32 vcc_lo, 0, v151
	v_dual_cndmask_b32 v151, v151, v161 :: v_dual_cndmask_b32 v160, v160, v162
	v_and_b32_e32 v161, 0x80000000, v163
	s_delay_alu instid0(VALU_DEP_2) | instskip(NEXT) | instid1(VALU_DEP_3)
	v_lshl_add_u32 v151, v151, 23, 0x3b800000
	v_lshlrev_b32_e32 v160, 20, v160
	s_delay_alu instid0(VALU_DEP_1)
	v_or3_b32 v151, v161, v151, v160
.LBB4_2106:                             ;   in Loop: Header=BB4_1840 Depth=4
	s_or_b32 exec_lo, exec_lo, s38
	s_mov_b32 s14, 0
	s_mov_b32 s39, exec_lo
                                        ; implicit-def: $sgpr38
	v_cmpx_lt_i16_e64 0x7f, v149
	s_xor_b32 s39, exec_lo, s39
	s_cbranch_execnz .LBB4_2450
; %bb.2107:                             ;   in Loop: Header=BB4_1840 Depth=4
	s_or_saveexec_b32 s39, s39
	v_mov_b32_e32 v160, s38
	s_xor_b32 exec_lo, exec_lo, s39
	s_cbranch_execnz .LBB4_2453
.LBB4_2108:                             ;   in Loop: Header=BB4_1840 Depth=4
	s_or_b32 exec_lo, exec_lo, s39
	s_and_saveexec_b32 s38, s14
	s_cbranch_execz .LBB4_2110
.LBB4_2109:                             ;   in Loop: Header=BB4_1840 Depth=4
	v_and_b32_e32 v160, 0xffff, v149
	v_lshlrev_b32_e32 v164, 16, v10
	s_delay_alu instid0(VALU_DEP_2) | instskip(NEXT) | instid1(VALU_DEP_1)
	v_and_b32_e32 v161, 7, v160
	v_clz_i32_u32_e32 v162, v161
	s_delay_alu instid0(VALU_DEP_1) | instskip(NEXT) | instid1(VALU_DEP_1)
	v_min_u32_e32 v162, 32, v162
	v_subrev_nc_u32_e32 v163, 28, v162
	v_sub_nc_u32_e32 v162, 29, v162
	s_delay_alu instid0(VALU_DEP_2) | instskip(SKIP_1) | instid1(VALU_DEP_2)
	v_lshlrev_b32_e32 v163, v163, v160
	v_bfe_u32 v160, v160, 3, 4
	v_and_b32_e32 v163, 7, v163
	s_delay_alu instid0(VALU_DEP_2) | instskip(NEXT) | instid1(VALU_DEP_2)
	v_cmp_eq_u32_e32 vcc_lo, 0, v160
	v_dual_cndmask_b32 v160, v160, v162 :: v_dual_cndmask_b32 v161, v161, v163
	v_and_b32_e32 v162, 0x80000000, v164
	s_delay_alu instid0(VALU_DEP_2) | instskip(NEXT) | instid1(VALU_DEP_3)
	v_lshl_add_u32 v160, v160, 23, 0x3b800000
	v_lshlrev_b32_e32 v161, 20, v161
	s_delay_alu instid0(VALU_DEP_1)
	v_or3_b32 v160, v162, v160, v161
.LBB4_2110:                             ;   in Loop: Header=BB4_1840 Depth=4
	s_or_b32 exec_lo, exec_lo, s38
	s_delay_alu instid0(VALU_DEP_1) | instskip(SKIP_1) | instid1(VALU_DEP_1)
	v_dual_max_f32 v160, v160, v160 :: v_dual_max_f32 v151, v151, v151
	s_mov_b32 s14, 0
	v_max_f32_e32 v151, v151, v160
	s_branch .LBB4_2112
.LBB4_2111:                             ;   in Loop: Header=BB4_1840 Depth=4
	s_mov_b32 s14, -1
                                        ; implicit-def: $vgpr151
.LBB4_2112:                             ;   in Loop: Header=BB4_1840 Depth=4
	s_delay_alu instid0(SALU_CYCLE_1)
	s_and_b32 vcc_lo, exec_lo, s14
	s_cbranch_vccz .LBB4_2122
; %bb.2113:                             ;   in Loop: Header=BB4_1840 Depth=4
	s_mov_b32 s14, 0
	s_mov_b32 s39, exec_lo
                                        ; implicit-def: $sgpr38
	v_cmpx_lt_i16_e64 0x7f, v150
	s_xor_b32 s39, exec_lo, s39
	s_cbranch_execnz .LBB4_2454
; %bb.2114:                             ;   in Loop: Header=BB4_1840 Depth=4
	s_or_saveexec_b32 s39, s39
	v_mov_b32_e32 v151, s38
	s_xor_b32 exec_lo, exec_lo, s39
	s_cbranch_execnz .LBB4_2457
.LBB4_2115:                             ;   in Loop: Header=BB4_1840 Depth=4
	s_or_b32 exec_lo, exec_lo, s39
	s_and_saveexec_b32 s38, s14
	s_cbranch_execz .LBB4_2117
.LBB4_2116:                             ;   in Loop: Header=BB4_1840 Depth=4
	v_and_b32_e32 v150, 0xffff, v150
	v_lshlrev_b32_e32 v162, 16, v14
	s_delay_alu instid0(VALU_DEP_2) | instskip(NEXT) | instid1(VALU_DEP_1)
	v_and_b32_e32 v151, 7, v150
	v_clz_i32_u32_e32 v160, v151
	s_delay_alu instid0(VALU_DEP_1) | instskip(NEXT) | instid1(VALU_DEP_1)
	v_min_u32_e32 v160, 32, v160
	v_subrev_nc_u32_e32 v161, 28, v160
	v_sub_nc_u32_e32 v160, 29, v160
	s_delay_alu instid0(VALU_DEP_2) | instskip(SKIP_1) | instid1(VALU_DEP_2)
	v_lshlrev_b32_e32 v161, v161, v150
	v_bfe_u32 v150, v150, 3, 4
	v_and_b32_e32 v161, 7, v161
	s_delay_alu instid0(VALU_DEP_2) | instskip(NEXT) | instid1(VALU_DEP_2)
	v_cmp_eq_u32_e32 vcc_lo, 0, v150
	v_dual_cndmask_b32 v150, v150, v160 :: v_dual_cndmask_b32 v151, v151, v161
	v_and_b32_e32 v160, 0x80000000, v162
	s_delay_alu instid0(VALU_DEP_2) | instskip(NEXT) | instid1(VALU_DEP_3)
	v_lshl_add_u32 v150, v150, 23, 0x3b800000
	v_lshlrev_b32_e32 v151, 20, v151
	s_delay_alu instid0(VALU_DEP_1)
	v_or3_b32 v151, v160, v150, v151
.LBB4_2117:                             ;   in Loop: Header=BB4_1840 Depth=4
	s_or_b32 exec_lo, exec_lo, s38
	s_mov_b32 s14, 0
	s_mov_b32 s39, exec_lo
                                        ; implicit-def: $sgpr38
	v_cmpx_lt_i16_e64 0x7f, v149
	s_xor_b32 s39, exec_lo, s39
	s_cbranch_execnz .LBB4_2458
; %bb.2118:                             ;   in Loop: Header=BB4_1840 Depth=4
	s_or_saveexec_b32 s39, s39
	v_mov_b32_e32 v150, s38
	s_xor_b32 exec_lo, exec_lo, s39
	s_cbranch_execnz .LBB4_2461
.LBB4_2119:                             ;   in Loop: Header=BB4_1840 Depth=4
	s_or_b32 exec_lo, exec_lo, s39
	s_and_saveexec_b32 s38, s14
	s_cbranch_execz .LBB4_2121
.LBB4_2120:                             ;   in Loop: Header=BB4_1840 Depth=4
	v_and_b32_e32 v149, 0xffff, v149
	v_lshlrev_b32_e32 v162, 16, v10
	s_delay_alu instid0(VALU_DEP_2) | instskip(NEXT) | instid1(VALU_DEP_1)
	v_and_b32_e32 v150, 7, v149
	v_clz_i32_u32_e32 v160, v150
	s_delay_alu instid0(VALU_DEP_1) | instskip(NEXT) | instid1(VALU_DEP_1)
	v_min_u32_e32 v160, 32, v160
	v_subrev_nc_u32_e32 v161, 28, v160
	v_sub_nc_u32_e32 v160, 29, v160
	s_delay_alu instid0(VALU_DEP_2) | instskip(SKIP_1) | instid1(VALU_DEP_2)
	v_lshlrev_b32_e32 v161, v161, v149
	v_bfe_u32 v149, v149, 3, 4
	v_and_b32_e32 v161, 7, v161
	s_delay_alu instid0(VALU_DEP_2) | instskip(NEXT) | instid1(VALU_DEP_2)
	v_cmp_eq_u32_e32 vcc_lo, 0, v149
	v_dual_cndmask_b32 v149, v149, v160 :: v_dual_cndmask_b32 v150, v150, v161
	v_and_b32_e32 v160, 0x80000000, v162
	s_delay_alu instid0(VALU_DEP_2) | instskip(NEXT) | instid1(VALU_DEP_3)
	v_lshl_add_u32 v149, v149, 23, 0x3b800000
	v_lshlrev_b32_e32 v150, 20, v150
	s_delay_alu instid0(VALU_DEP_1)
	v_or3_b32 v150, v160, v149, v150
.LBB4_2121:                             ;   in Loop: Header=BB4_1840 Depth=4
	s_or_b32 exec_lo, exec_lo, s38
	s_delay_alu instid0(VALU_DEP_1) | instskip(NEXT) | instid1(VALU_DEP_1)
	v_dual_max_f32 v149, v150, v150 :: v_dual_max_f32 v150, v151, v151
	v_min_f32_e32 v151, v150, v149
.LBB4_2122:                             ;   in Loop: Header=BB4_1840 Depth=4
	s_delay_alu instid0(VALU_DEP_1) | instskip(NEXT) | instid1(VALU_DEP_1)
	v_and_b32_e32 v149, 0x7f800000, v151
	v_cmp_ne_u32_e32 vcc_lo, 0x7f800000, v149
	v_mov_b32_e32 v149, 0x80
	s_and_saveexec_b32 s38, vcc_lo
	s_cbranch_execz .LBB4_2130
; %bb.2123:                             ;   in Loop: Header=BB4_1840 Depth=4
	v_mov_b32_e32 v149, 0
	s_mov_b32 s39, exec_lo
	v_cmpx_ne_u32_e32 0, v151
	s_cbranch_execz .LBB4_2129
; %bb.2124:                             ;   in Loop: Header=BB4_1840 Depth=4
	v_bfe_u32 v149, v151, 23, 8
	v_and_b32_e32 v150, 0x7fffff, v151
	s_delay_alu instid0(VALU_DEP_2) | instskip(SKIP_1) | instid1(VALU_DEP_3)
	v_sub_nc_u32_e32 v160, 0x78, v149
	v_cmp_gt_u32_e32 vcc_lo, 0x79, v149
	v_or_b32_e32 v161, 0x800000, v150
	s_delay_alu instid0(VALU_DEP_3) | instskip(SKIP_2) | instid1(VALU_DEP_3)
	v_cndmask_b32_e32 v160, 0, v160, vcc_lo
	v_cmp_eq_u32_e32 vcc_lo, 0, v149
	v_add_nc_u32_e32 v149, 0xffffff89, v149
	v_cndmask_b32_e64 v160, v160, 0x77, vcc_lo
	v_cndmask_b32_e32 v150, v161, v150, vcc_lo
	s_delay_alu instid0(VALU_DEP_3) | instskip(NEXT) | instid1(VALU_DEP_3)
	v_cndmask_b32_e64 v149, v149, 0xffffff8a, vcc_lo
	v_lshl_add_u32 v161, 0x100000, v160, -1
	s_delay_alu instid0(VALU_DEP_3) | instskip(SKIP_1) | instid1(VALU_DEP_4)
	v_lshrrev_b32_e32 v162, v160, v150
	v_lshlrev_b32_e64 v164, v160, 0x80000
	v_add_nc_u32_e32 v160, v160, v149
	s_delay_alu instid0(VALU_DEP_4) | instskip(NEXT) | instid1(VALU_DEP_4)
	v_and_b32_e32 v150, v161, v150
	v_bfe_u32 v163, v162, 20, 1
	s_delay_alu instid0(VALU_DEP_2) | instskip(NEXT) | instid1(VALU_DEP_2)
	v_cmp_eq_u32_e64 s14, v150, v164
	v_add_nc_u32_e32 v161, -1, v163
	s_delay_alu instid0(VALU_DEP_1) | instskip(SKIP_2) | instid1(VALU_DEP_2)
	v_cndmask_b32_e64 v150, 0, v161, s14
	v_lshrrev_b32_e32 v161, 23, v162
	s_mov_b32 s14, exec_lo
	v_add_nc_u32_e32 v150, v150, v162
	s_delay_alu instid0(VALU_DEP_2) | instskip(NEXT) | instid1(VALU_DEP_2)
	v_xor_b32_e32 v161, 1, v161
	v_and_b32_e32 v149, 0xfffff, v150
	s_delay_alu instid0(VALU_DEP_1) | instskip(NEXT) | instid1(VALU_DEP_3)
	v_add_nc_u32_e32 v150, v149, v162
                                        ; implicit-def: $vgpr149
	v_cmpx_ne_u32_e64 v160, v161
	s_xor_b32 s14, exec_lo, s14
; %bb.2125:                             ;   in Loop: Header=BB4_1840 Depth=4
	s_delay_alu instid0(VALU_DEP_2) | instskip(SKIP_2) | instid1(VALU_DEP_2)
	v_cmp_lt_u32_e32 vcc_lo, 0xffffff, v150
	v_sub_nc_u32_e32 v149, v160, v161
	v_cndmask_b32_e64 v160, 0, 1, vcc_lo
	v_add_co_ci_u32_e32 v149, vcc_lo, 0, v149, vcc_lo
	s_delay_alu instid0(VALU_DEP_2)
	v_lshrrev_b32_e32 v150, v160, v150
; %bb.2126:                             ;   in Loop: Header=BB4_1840 Depth=4
	s_and_not1_saveexec_b32 s14, s14
; %bb.2127:                             ;   in Loop: Header=BB4_1840 Depth=4
	s_delay_alu instid0(VALU_DEP_1)
	v_bfe_u32 v149, v150, 23, 1
; %bb.2128:                             ;   in Loop: Header=BB4_1840 Depth=4
	s_or_b32 exec_lo, exec_lo, s14
	v_lshrrev_b32_e32 v150, 20, v150
	s_delay_alu instid0(VALU_DEP_2) | instskip(SKIP_2) | instid1(VALU_DEP_2)
	v_cmp_gt_i32_e32 vcc_lo, 16, v149
	v_lshrrev_b32_e32 v151, 24, v151
	v_min_i32_e32 v160, 15, v149
	v_dual_cndmask_b32 v150, 7, v150 :: v_dual_and_b32 v151, 0x80, v151
	s_delay_alu instid0(VALU_DEP_1) | instskip(SKIP_1) | instid1(VALU_DEP_2)
	v_or_b32_e32 v149, v149, v150
	v_and_b32_e32 v161, 7, v150
	v_cmp_ne_u32_e32 vcc_lo, 0, v149
	v_lshlrev_b32_e32 v160, 3, v160
	s_delay_alu instid0(VALU_DEP_1) | instskip(NEXT) | instid1(VALU_DEP_1)
	v_or3_b32 v150, v160, v151, v161
	v_cndmask_b32_e32 v149, 0, v150, vcc_lo
.LBB4_2129:                             ;   in Loop: Header=BB4_1840 Depth=4
	s_or_b32 exec_lo, exec_lo, s39
.LBB4_2130:                             ;   in Loop: Header=BB4_1840 Depth=4
	s_delay_alu instid0(SALU_CYCLE_1)
	s_or_b32 exec_lo, exec_lo, s38
	v_lshrrev_b32_e32 v151, 16, v14
	v_lshrrev_b32_e32 v150, 16, v10
	s_and_b32 vcc_lo, exec_lo, s37
	s_cbranch_vccz .LBB4_2140
; %bb.2131:                             ;   in Loop: Header=BB4_1840 Depth=4
	s_delay_alu instid0(VALU_DEP_2) | instskip(SKIP_2) | instid1(VALU_DEP_1)
	v_and_b32_e32 v161, 0xff, v151
	s_mov_b32 s14, 0
	s_mov_b32 s39, exec_lo
                                        ; implicit-def: $sgpr38
	v_cmpx_lt_i16_e64 0x7f, v161
	s_xor_b32 s39, exec_lo, s39
	s_cbranch_execnz .LBB4_2462
; %bb.2132:                             ;   in Loop: Header=BB4_1840 Depth=4
	s_or_saveexec_b32 s39, s39
	v_mov_b32_e32 v160, s38
	s_xor_b32 exec_lo, exec_lo, s39
	s_cbranch_execnz .LBB4_2465
.LBB4_2133:                             ;   in Loop: Header=BB4_1840 Depth=4
	s_or_b32 exec_lo, exec_lo, s39
	s_and_saveexec_b32 s38, s14
	s_cbranch_execz .LBB4_2135
.LBB4_2134:                             ;   in Loop: Header=BB4_1840 Depth=4
	v_bfe_u32 v160, v14, 16, 3
	v_bfe_u32 v163, v14, 19, 4
	v_lshlrev_b32_e32 v164, 24, v151
	s_delay_alu instid0(VALU_DEP_3) | instskip(NEXT) | instid1(VALU_DEP_3)
	v_clz_i32_u32_e32 v161, v160
	v_cmp_eq_u32_e32 vcc_lo, 0, v163
	s_delay_alu instid0(VALU_DEP_2) | instskip(NEXT) | instid1(VALU_DEP_1)
	v_min_u32_e32 v161, 32, v161
	v_subrev_nc_u32_e32 v162, 28, v161
	v_sub_nc_u32_e32 v161, 29, v161
	s_delay_alu instid0(VALU_DEP_1) | instskip(NEXT) | instid1(VALU_DEP_1)
	v_dual_cndmask_b32 v161, v163, v161 :: v_dual_lshlrev_b32 v162, v162, v151
	v_and_b32_e32 v162, 7, v162
	s_delay_alu instid0(VALU_DEP_2) | instskip(NEXT) | instid1(VALU_DEP_2)
	v_lshl_add_u32 v161, v161, 23, 0x3b800000
	v_cndmask_b32_e32 v160, v160, v162, vcc_lo
	v_and_b32_e32 v162, 0x80000000, v164
	s_delay_alu instid0(VALU_DEP_2) | instskip(NEXT) | instid1(VALU_DEP_1)
	v_lshlrev_b32_e32 v160, 20, v160
	v_or3_b32 v160, v162, v161, v160
.LBB4_2135:                             ;   in Loop: Header=BB4_1840 Depth=4
	s_or_b32 exec_lo, exec_lo, s38
	v_and_b32_e32 v162, 0xff, v150
	s_mov_b32 s14, 0
	s_mov_b32 s39, exec_lo
                                        ; implicit-def: $sgpr38
	s_delay_alu instid0(VALU_DEP_1)
	v_cmpx_lt_i16_e64 0x7f, v162
	s_xor_b32 s39, exec_lo, s39
	s_cbranch_execnz .LBB4_2466
; %bb.2136:                             ;   in Loop: Header=BB4_1840 Depth=4
	s_or_saveexec_b32 s39, s39
	v_mov_b32_e32 v161, s38
	s_xor_b32 exec_lo, exec_lo, s39
	s_cbranch_execnz .LBB4_2469
.LBB4_2137:                             ;   in Loop: Header=BB4_1840 Depth=4
	s_or_b32 exec_lo, exec_lo, s39
	s_and_saveexec_b32 s38, s14
	s_cbranch_execz .LBB4_2139
.LBB4_2138:                             ;   in Loop: Header=BB4_1840 Depth=4
	v_bfe_u32 v161, v10, 16, 3
	v_bfe_u32 v164, v10, 19, 4
	v_lshlrev_b32_e32 v165, 24, v150
	s_delay_alu instid0(VALU_DEP_3) | instskip(NEXT) | instid1(VALU_DEP_3)
	v_clz_i32_u32_e32 v162, v161
	v_cmp_eq_u32_e32 vcc_lo, 0, v164
	s_delay_alu instid0(VALU_DEP_2) | instskip(NEXT) | instid1(VALU_DEP_1)
	v_min_u32_e32 v162, 32, v162
	v_subrev_nc_u32_e32 v163, 28, v162
	v_sub_nc_u32_e32 v162, 29, v162
	s_delay_alu instid0(VALU_DEP_2) | instskip(NEXT) | instid1(VALU_DEP_1)
	v_lshlrev_b32_e32 v163, v163, v150
	v_dual_cndmask_b32 v162, v164, v162 :: v_dual_and_b32 v163, 7, v163
	s_delay_alu instid0(VALU_DEP_1) | instskip(NEXT) | instid1(VALU_DEP_2)
	v_lshl_add_u32 v162, v162, 23, 0x3b800000
	v_cndmask_b32_e32 v161, v161, v163, vcc_lo
	v_and_b32_e32 v163, 0x80000000, v165
	s_delay_alu instid0(VALU_DEP_2) | instskip(NEXT) | instid1(VALU_DEP_1)
	v_lshlrev_b32_e32 v161, 20, v161
	v_or3_b32 v161, v163, v162, v161
.LBB4_2139:                             ;   in Loop: Header=BB4_1840 Depth=4
	s_or_b32 exec_lo, exec_lo, s38
	s_delay_alu instid0(VALU_DEP_1) | instskip(SKIP_1) | instid1(VALU_DEP_1)
	v_dual_max_f32 v161, v161, v161 :: v_dual_max_f32 v160, v160, v160
	s_mov_b32 s14, 0
	v_max_f32_e32 v160, v160, v161
	s_branch .LBB4_2141
.LBB4_2140:                             ;   in Loop: Header=BB4_1840 Depth=4
	s_mov_b32 s14, -1
                                        ; implicit-def: $vgpr160
.LBB4_2141:                             ;   in Loop: Header=BB4_1840 Depth=4
	s_delay_alu instid0(SALU_CYCLE_1)
	s_and_b32 vcc_lo, exec_lo, s14
	s_cbranch_vccz .LBB4_2151
; %bb.2142:                             ;   in Loop: Header=BB4_1840 Depth=4
	v_and_b32_e32 v161, 0xff, v151
	s_mov_b32 s14, 0
	s_mov_b32 s39, exec_lo
                                        ; implicit-def: $sgpr38
	s_delay_alu instid0(VALU_DEP_1)
	v_cmpx_lt_i16_e64 0x7f, v161
	s_xor_b32 s39, exec_lo, s39
	s_cbranch_execnz .LBB4_2470
; %bb.2143:                             ;   in Loop: Header=BB4_1840 Depth=4
	s_or_saveexec_b32 s39, s39
	v_mov_b32_e32 v160, s38
	s_xor_b32 exec_lo, exec_lo, s39
	s_cbranch_execnz .LBB4_2473
.LBB4_2144:                             ;   in Loop: Header=BB4_1840 Depth=4
	s_or_b32 exec_lo, exec_lo, s39
	s_and_saveexec_b32 s38, s14
	s_cbranch_execz .LBB4_2146
.LBB4_2145:                             ;   in Loop: Header=BB4_1840 Depth=4
	v_bfe_u32 v160, v14, 16, 3
	v_bfe_u32 v163, v14, 19, 4
	s_delay_alu instid0(VALU_DEP_2) | instskip(NEXT) | instid1(VALU_DEP_2)
	v_clz_i32_u32_e32 v161, v160
	v_cmp_eq_u32_e32 vcc_lo, 0, v163
	s_delay_alu instid0(VALU_DEP_2) | instskip(NEXT) | instid1(VALU_DEP_1)
	v_min_u32_e32 v161, 32, v161
	v_subrev_nc_u32_e32 v162, 28, v161
	v_sub_nc_u32_e32 v161, 29, v161
	s_delay_alu instid0(VALU_DEP_1) | instskip(NEXT) | instid1(VALU_DEP_1)
	v_dual_cndmask_b32 v161, v163, v161 :: v_dual_lshlrev_b32 v162, v162, v151
	v_and_b32_e32 v162, 7, v162
	v_lshlrev_b32_e32 v151, 24, v151
	s_delay_alu instid0(VALU_DEP_3) | instskip(NEXT) | instid1(VALU_DEP_2)
	v_lshl_add_u32 v161, v161, 23, 0x3b800000
	v_dual_cndmask_b32 v160, v160, v162 :: v_dual_and_b32 v151, 0x80000000, v151
	s_delay_alu instid0(VALU_DEP_1) | instskip(NEXT) | instid1(VALU_DEP_1)
	v_lshlrev_b32_e32 v160, 20, v160
	v_or3_b32 v160, v151, v161, v160
.LBB4_2146:                             ;   in Loop: Header=BB4_1840 Depth=4
	s_or_b32 exec_lo, exec_lo, s38
	v_and_b32_e32 v161, 0xff, v150
	s_mov_b32 s14, 0
	s_mov_b32 s39, exec_lo
                                        ; implicit-def: $sgpr38
	s_delay_alu instid0(VALU_DEP_1)
	v_cmpx_lt_i16_e64 0x7f, v161
	s_xor_b32 s39, exec_lo, s39
	s_cbranch_execnz .LBB4_2474
; %bb.2147:                             ;   in Loop: Header=BB4_1840 Depth=4
	s_or_saveexec_b32 s39, s39
	v_mov_b32_e32 v151, s38
	s_xor_b32 exec_lo, exec_lo, s39
	s_cbranch_execnz .LBB4_2477
.LBB4_2148:                             ;   in Loop: Header=BB4_1840 Depth=4
	s_or_b32 exec_lo, exec_lo, s39
	s_and_saveexec_b32 s38, s14
	s_cbranch_execz .LBB4_2150
.LBB4_2149:                             ;   in Loop: Header=BB4_1840 Depth=4
	v_bfe_u32 v151, v10, 16, 3
	v_bfe_u32 v163, v10, 19, 4
	s_delay_alu instid0(VALU_DEP_2) | instskip(NEXT) | instid1(VALU_DEP_2)
	v_clz_i32_u32_e32 v161, v151
	v_cmp_eq_u32_e32 vcc_lo, 0, v163
	s_delay_alu instid0(VALU_DEP_2) | instskip(NEXT) | instid1(VALU_DEP_1)
	v_min_u32_e32 v161, 32, v161
	v_subrev_nc_u32_e32 v162, 28, v161
	v_sub_nc_u32_e32 v161, 29, v161
	s_delay_alu instid0(VALU_DEP_1) | instskip(SKIP_1) | instid1(VALU_DEP_2)
	v_dual_cndmask_b32 v161, v163, v161 :: v_dual_lshlrev_b32 v162, v162, v150
	v_lshlrev_b32_e32 v150, 24, v150
	v_and_b32_e32 v162, 7, v162
	s_delay_alu instid0(VALU_DEP_3) | instskip(NEXT) | instid1(VALU_DEP_3)
	v_lshl_add_u32 v161, v161, 23, 0x3b800000
	v_and_b32_e32 v150, 0x80000000, v150
	s_delay_alu instid0(VALU_DEP_3) | instskip(NEXT) | instid1(VALU_DEP_1)
	v_cndmask_b32_e32 v151, v151, v162, vcc_lo
	v_lshlrev_b32_e32 v151, 20, v151
	s_delay_alu instid0(VALU_DEP_1)
	v_or3_b32 v151, v150, v161, v151
.LBB4_2150:                             ;   in Loop: Header=BB4_1840 Depth=4
	s_or_b32 exec_lo, exec_lo, s38
	s_delay_alu instid0(VALU_DEP_1) | instskip(NEXT) | instid1(VALU_DEP_1)
	v_dual_max_f32 v150, v151, v151 :: v_dual_max_f32 v151, v160, v160
	v_min_f32_e32 v160, v151, v150
.LBB4_2151:                             ;   in Loop: Header=BB4_1840 Depth=4
	s_delay_alu instid0(VALU_DEP_1) | instskip(NEXT) | instid1(VALU_DEP_1)
	v_and_b32_e32 v150, 0x7f800000, v160
	v_cmp_ne_u32_e32 vcc_lo, 0x7f800000, v150
	v_mov_b32_e32 v150, 0x80
	s_and_saveexec_b32 s38, vcc_lo
	s_cbranch_execz .LBB4_2159
; %bb.2152:                             ;   in Loop: Header=BB4_1840 Depth=4
	v_mov_b32_e32 v150, 0
	s_mov_b32 s39, exec_lo
	v_cmpx_ne_u32_e32 0, v160
	s_cbranch_execz .LBB4_2158
; %bb.2153:                             ;   in Loop: Header=BB4_1840 Depth=4
	v_bfe_u32 v150, v160, 23, 8
	v_and_b32_e32 v151, 0x7fffff, v160
	s_delay_alu instid0(VALU_DEP_2) | instskip(SKIP_1) | instid1(VALU_DEP_3)
	v_sub_nc_u32_e32 v161, 0x78, v150
	v_cmp_gt_u32_e32 vcc_lo, 0x79, v150
	v_or_b32_e32 v162, 0x800000, v151
	s_delay_alu instid0(VALU_DEP_3) | instskip(SKIP_2) | instid1(VALU_DEP_3)
	v_cndmask_b32_e32 v161, 0, v161, vcc_lo
	v_cmp_eq_u32_e32 vcc_lo, 0, v150
	v_add_nc_u32_e32 v150, 0xffffff89, v150
	v_cndmask_b32_e64 v161, v161, 0x77, vcc_lo
	v_cndmask_b32_e32 v151, v162, v151, vcc_lo
	s_delay_alu instid0(VALU_DEP_3) | instskip(NEXT) | instid1(VALU_DEP_3)
	v_cndmask_b32_e64 v150, v150, 0xffffff8a, vcc_lo
	v_lshl_add_u32 v162, 0x100000, v161, -1
	s_delay_alu instid0(VALU_DEP_3) | instskip(SKIP_1) | instid1(VALU_DEP_4)
	v_lshrrev_b32_e32 v163, v161, v151
	v_lshlrev_b32_e64 v165, v161, 0x80000
	v_add_nc_u32_e32 v161, v161, v150
	s_delay_alu instid0(VALU_DEP_4) | instskip(NEXT) | instid1(VALU_DEP_4)
	v_and_b32_e32 v151, v162, v151
	v_bfe_u32 v164, v163, 20, 1
	s_delay_alu instid0(VALU_DEP_2) | instskip(NEXT) | instid1(VALU_DEP_2)
	v_cmp_eq_u32_e64 s14, v151, v165
	v_add_nc_u32_e32 v162, -1, v164
	s_delay_alu instid0(VALU_DEP_1) | instskip(SKIP_2) | instid1(VALU_DEP_2)
	v_cndmask_b32_e64 v151, 0, v162, s14
	v_lshrrev_b32_e32 v162, 23, v163
	s_mov_b32 s14, exec_lo
	v_add_nc_u32_e32 v151, v151, v163
	s_delay_alu instid0(VALU_DEP_2) | instskip(NEXT) | instid1(VALU_DEP_2)
	v_xor_b32_e32 v162, 1, v162
	v_and_b32_e32 v150, 0xfffff, v151
	s_delay_alu instid0(VALU_DEP_1) | instskip(NEXT) | instid1(VALU_DEP_3)
	v_add_nc_u32_e32 v151, v150, v163
                                        ; implicit-def: $vgpr150
	v_cmpx_ne_u32_e64 v161, v162
	s_xor_b32 s14, exec_lo, s14
; %bb.2154:                             ;   in Loop: Header=BB4_1840 Depth=4
	s_delay_alu instid0(VALU_DEP_2) | instskip(SKIP_2) | instid1(VALU_DEP_2)
	v_cmp_lt_u32_e32 vcc_lo, 0xffffff, v151
	v_sub_nc_u32_e32 v150, v161, v162
	v_cndmask_b32_e64 v161, 0, 1, vcc_lo
	v_add_co_ci_u32_e32 v150, vcc_lo, 0, v150, vcc_lo
	s_delay_alu instid0(VALU_DEP_2)
	v_lshrrev_b32_e32 v151, v161, v151
; %bb.2155:                             ;   in Loop: Header=BB4_1840 Depth=4
	s_and_not1_saveexec_b32 s14, s14
; %bb.2156:                             ;   in Loop: Header=BB4_1840 Depth=4
	s_delay_alu instid0(VALU_DEP_1)
	v_bfe_u32 v150, v151, 23, 1
; %bb.2157:                             ;   in Loop: Header=BB4_1840 Depth=4
	s_or_b32 exec_lo, exec_lo, s14
	v_lshrrev_b32_e32 v151, 20, v151
	s_delay_alu instid0(VALU_DEP_2) | instskip(SKIP_2) | instid1(VALU_DEP_2)
	v_cmp_gt_i32_e32 vcc_lo, 16, v150
	v_lshrrev_b32_e32 v160, 24, v160
	v_min_i32_e32 v161, 15, v150
	v_dual_cndmask_b32 v151, 7, v151 :: v_dual_and_b32 v160, 0x80, v160
	s_delay_alu instid0(VALU_DEP_1) | instskip(SKIP_1) | instid1(VALU_DEP_2)
	v_or_b32_e32 v150, v150, v151
	v_and_b32_e32 v162, 7, v151
	v_cmp_ne_u32_e32 vcc_lo, 0, v150
	v_lshlrev_b32_e32 v161, 3, v161
	s_delay_alu instid0(VALU_DEP_1) | instskip(NEXT) | instid1(VALU_DEP_1)
	v_or3_b32 v151, v161, v160, v162
	v_cndmask_b32_e32 v150, 0, v151, vcc_lo
.LBB4_2158:                             ;   in Loop: Header=BB4_1840 Depth=4
	s_or_b32 exec_lo, exec_lo, s39
.LBB4_2159:                             ;   in Loop: Header=BB4_1840 Depth=4
	s_delay_alu instid0(SALU_CYCLE_1)
	s_or_b32 exec_lo, exec_lo, s38
	v_lshrrev_b32_e32 v160, 24, v14
	v_lshrrev_b32_e32 v151, 24, v10
	s_and_b32 vcc_lo, exec_lo, s37
	s_cbranch_vccz .LBB4_2169
; %bb.2160:                             ;   in Loop: Header=BB4_1840 Depth=4
	s_mov_b32 s14, 0
	s_mov_b32 s39, exec_lo
                                        ; implicit-def: $sgpr38
	v_cmpx_lt_i16_e64 0x7f, v160
	s_xor_b32 s39, exec_lo, s39
	s_cbranch_execnz .LBB4_2478
; %bb.2161:                             ;   in Loop: Header=BB4_1840 Depth=4
	s_or_saveexec_b32 s39, s39
	v_mov_b32_e32 v161, s38
	s_xor_b32 exec_lo, exec_lo, s39
	s_cbranch_execnz .LBB4_2481
.LBB4_2162:                             ;   in Loop: Header=BB4_1840 Depth=4
	s_or_b32 exec_lo, exec_lo, s39
	s_and_saveexec_b32 s38, s14
	s_cbranch_execz .LBB4_2164
.LBB4_2163:                             ;   in Loop: Header=BB4_1840 Depth=4
	v_bfe_u32 v161, v14, 24, 3
	v_bfe_u32 v164, v14, 27, 4
	s_delay_alu instid0(VALU_DEP_2) | instskip(NEXT) | instid1(VALU_DEP_2)
	v_clz_i32_u32_e32 v162, v161
	v_cmp_eq_u32_e32 vcc_lo, 0, v164
	s_delay_alu instid0(VALU_DEP_2) | instskip(NEXT) | instid1(VALU_DEP_1)
	v_min_u32_e32 v162, 32, v162
	v_subrev_nc_u32_e32 v163, 28, v162
	v_sub_nc_u32_e32 v162, 29, v162
	s_delay_alu instid0(VALU_DEP_1) | instskip(NEXT) | instid1(VALU_DEP_1)
	v_dual_cndmask_b32 v162, v164, v162 :: v_dual_lshlrev_b32 v163, v163, v160
	v_and_b32_e32 v163, 7, v163
	s_delay_alu instid0(VALU_DEP_2) | instskip(NEXT) | instid1(VALU_DEP_2)
	v_lshl_add_u32 v162, v162, 23, 0x3b800000
	v_cndmask_b32_e32 v161, v161, v163, vcc_lo
	v_and_b32_e32 v163, 0x80000000, v14
	s_delay_alu instid0(VALU_DEP_2) | instskip(NEXT) | instid1(VALU_DEP_1)
	v_lshlrev_b32_e32 v161, 20, v161
	v_or3_b32 v161, v163, v162, v161
.LBB4_2164:                             ;   in Loop: Header=BB4_1840 Depth=4
	s_or_b32 exec_lo, exec_lo, s38
	s_mov_b32 s14, 0
	s_mov_b32 s39, exec_lo
                                        ; implicit-def: $sgpr38
	v_cmpx_lt_i16_e64 0x7f, v151
	s_xor_b32 s39, exec_lo, s39
	s_cbranch_execnz .LBB4_2482
; %bb.2165:                             ;   in Loop: Header=BB4_1840 Depth=4
	s_or_saveexec_b32 s39, s39
	v_mov_b32_e32 v162, s38
	s_xor_b32 exec_lo, exec_lo, s39
	s_cbranch_execnz .LBB4_2485
.LBB4_2166:                             ;   in Loop: Header=BB4_1840 Depth=4
	s_or_b32 exec_lo, exec_lo, s39
	s_and_saveexec_b32 s38, s14
	s_cbranch_execz .LBB4_2168
.LBB4_2167:                             ;   in Loop: Header=BB4_1840 Depth=4
	v_bfe_u32 v162, v10, 24, 3
	v_bfe_u32 v165, v10, 27, 4
	s_delay_alu instid0(VALU_DEP_2) | instskip(NEXT) | instid1(VALU_DEP_2)
	v_clz_i32_u32_e32 v163, v162
	v_cmp_eq_u32_e32 vcc_lo, 0, v165
	s_delay_alu instid0(VALU_DEP_2) | instskip(NEXT) | instid1(VALU_DEP_1)
	v_min_u32_e32 v163, 32, v163
	v_subrev_nc_u32_e32 v164, 28, v163
	v_sub_nc_u32_e32 v163, 29, v163
	s_delay_alu instid0(VALU_DEP_2) | instskip(NEXT) | instid1(VALU_DEP_1)
	v_lshlrev_b32_e32 v164, v164, v151
	v_dual_cndmask_b32 v163, v165, v163 :: v_dual_and_b32 v164, 7, v164
	s_delay_alu instid0(VALU_DEP_1) | instskip(NEXT) | instid1(VALU_DEP_2)
	v_lshl_add_u32 v163, v163, 23, 0x3b800000
	v_cndmask_b32_e32 v162, v162, v164, vcc_lo
	v_and_b32_e32 v164, 0x80000000, v10
	s_delay_alu instid0(VALU_DEP_2) | instskip(NEXT) | instid1(VALU_DEP_1)
	v_lshlrev_b32_e32 v162, 20, v162
	v_or3_b32 v162, v164, v163, v162
.LBB4_2168:                             ;   in Loop: Header=BB4_1840 Depth=4
	s_or_b32 exec_lo, exec_lo, s38
	s_delay_alu instid0(VALU_DEP_1) | instskip(SKIP_1) | instid1(VALU_DEP_1)
	v_dual_max_f32 v162, v162, v162 :: v_dual_max_f32 v161, v161, v161
	s_mov_b32 s14, 0
	v_max_f32_e32 v161, v161, v162
	s_branch .LBB4_2170
.LBB4_2169:                             ;   in Loop: Header=BB4_1840 Depth=4
	s_mov_b32 s14, -1
                                        ; implicit-def: $vgpr161
.LBB4_2170:                             ;   in Loop: Header=BB4_1840 Depth=4
	s_delay_alu instid0(SALU_CYCLE_1)
	s_and_b32 vcc_lo, exec_lo, s14
	s_cbranch_vccz .LBB4_2180
; %bb.2171:                             ;   in Loop: Header=BB4_1840 Depth=4
	s_mov_b32 s14, 0
	s_mov_b32 s39, exec_lo
                                        ; implicit-def: $sgpr38
	v_cmpx_lt_i16_e64 0x7f, v160
	s_xor_b32 s39, exec_lo, s39
	s_cbranch_execnz .LBB4_2486
; %bb.2172:                             ;   in Loop: Header=BB4_1840 Depth=4
	s_or_saveexec_b32 s39, s39
	v_mov_b32_e32 v161, s38
	s_xor_b32 exec_lo, exec_lo, s39
	s_cbranch_execnz .LBB4_2489
.LBB4_2173:                             ;   in Loop: Header=BB4_1840 Depth=4
	s_or_b32 exec_lo, exec_lo, s39
	s_and_saveexec_b32 s38, s14
	s_cbranch_execz .LBB4_2175
.LBB4_2174:                             ;   in Loop: Header=BB4_1840 Depth=4
	v_bfe_u32 v161, v14, 24, 3
	s_delay_alu instid0(VALU_DEP_1) | instskip(NEXT) | instid1(VALU_DEP_1)
	v_clz_i32_u32_e32 v162, v161
	v_min_u32_e32 v162, 32, v162
	s_delay_alu instid0(VALU_DEP_1) | instskip(SKIP_1) | instid1(VALU_DEP_2)
	v_subrev_nc_u32_e32 v163, 28, v162
	v_sub_nc_u32_e32 v162, 29, v162
	v_lshlrev_b32_e32 v160, v163, v160
	v_bfe_u32 v163, v14, 27, 4
	v_and_b32_e32 v14, 0x80000000, v14
	s_delay_alu instid0(VALU_DEP_3) | instskip(NEXT) | instid1(VALU_DEP_3)
	v_and_b32_e32 v160, 7, v160
	v_cmp_eq_u32_e32 vcc_lo, 0, v163
	v_cndmask_b32_e32 v162, v163, v162, vcc_lo
	s_delay_alu instid0(VALU_DEP_3) | instskip(NEXT) | instid1(VALU_DEP_2)
	v_cndmask_b32_e32 v160, v161, v160, vcc_lo
	v_lshl_add_u32 v161, v162, 23, 0x3b800000
	s_delay_alu instid0(VALU_DEP_2) | instskip(NEXT) | instid1(VALU_DEP_1)
	v_lshlrev_b32_e32 v160, 20, v160
	v_or3_b32 v161, v14, v161, v160
.LBB4_2175:                             ;   in Loop: Header=BB4_1840 Depth=4
	s_or_b32 exec_lo, exec_lo, s38
	s_mov_b32 s14, 0
	s_mov_b32 s39, exec_lo
                                        ; implicit-def: $sgpr38
	v_cmpx_lt_i16_e64 0x7f, v151
	s_xor_b32 s39, exec_lo, s39
	s_cbranch_execnz .LBB4_2490
; %bb.2176:                             ;   in Loop: Header=BB4_1840 Depth=4
	s_or_saveexec_b32 s39, s39
	v_mov_b32_e32 v14, s38
	s_xor_b32 exec_lo, exec_lo, s39
	s_cbranch_execnz .LBB4_2493
.LBB4_2177:                             ;   in Loop: Header=BB4_1840 Depth=4
	s_or_b32 exec_lo, exec_lo, s39
	s_and_saveexec_b32 s38, s14
	s_cbranch_execz .LBB4_2179
.LBB4_2178:                             ;   in Loop: Header=BB4_1840 Depth=4
	v_bfe_u32 v14, v10, 24, 3
	s_delay_alu instid0(VALU_DEP_1) | instskip(NEXT) | instid1(VALU_DEP_1)
	v_clz_i32_u32_e32 v160, v14
	v_min_u32_e32 v160, 32, v160
	s_delay_alu instid0(VALU_DEP_1) | instskip(SKIP_1) | instid1(VALU_DEP_2)
	v_subrev_nc_u32_e32 v162, 28, v160
	v_sub_nc_u32_e32 v160, 29, v160
	v_lshlrev_b32_e32 v151, v162, v151
	v_bfe_u32 v162, v10, 27, 4
	v_and_b32_e32 v10, 0x80000000, v10
	s_delay_alu instid0(VALU_DEP_2) | instskip(NEXT) | instid1(VALU_DEP_4)
	v_cmp_eq_u32_e32 vcc_lo, 0, v162
	v_dual_cndmask_b32 v160, v162, v160 :: v_dual_and_b32 v151, 7, v151
	s_delay_alu instid0(VALU_DEP_1) | instskip(NEXT) | instid1(VALU_DEP_2)
	v_cndmask_b32_e32 v14, v14, v151, vcc_lo
	v_lshl_add_u32 v151, v160, 23, 0x3b800000
	s_delay_alu instid0(VALU_DEP_2) | instskip(NEXT) | instid1(VALU_DEP_1)
	v_lshlrev_b32_e32 v14, 20, v14
	v_or3_b32 v14, v10, v151, v14
.LBB4_2179:                             ;   in Loop: Header=BB4_1840 Depth=4
	s_or_b32 exec_lo, exec_lo, s38
	s_delay_alu instid0(VALU_DEP_1) | instskip(SKIP_1) | instid1(VALU_DEP_1)
	v_max_f32_e32 v10, v14, v14
	v_max_f32_e32 v14, v161, v161
	v_min_f32_e32 v161, v14, v10
.LBB4_2180:                             ;   in Loop: Header=BB4_1840 Depth=4
	s_delay_alu instid0(VALU_DEP_1) | instskip(NEXT) | instid1(VALU_DEP_1)
	v_and_b32_e32 v10, 0x7f800000, v161
	v_cmp_ne_u32_e32 vcc_lo, 0x7f800000, v10
	v_mov_b32_e32 v10, 0x80
	s_and_saveexec_b32 s38, vcc_lo
	s_cbranch_execz .LBB4_2188
; %bb.2181:                             ;   in Loop: Header=BB4_1840 Depth=4
	v_mov_b32_e32 v10, 0
	s_mov_b32 s39, exec_lo
	v_cmpx_ne_u32_e32 0, v161
	s_cbranch_execz .LBB4_2187
; %bb.2182:                             ;   in Loop: Header=BB4_1840 Depth=4
	v_bfe_u32 v10, v161, 23, 8
	s_delay_alu instid0(VALU_DEP_1) | instskip(SKIP_1) | instid1(VALU_DEP_2)
	v_sub_nc_u32_e32 v151, 0x78, v10
	v_cmp_gt_u32_e32 vcc_lo, 0x79, v10
	v_dual_cndmask_b32 v151, 0, v151 :: v_dual_and_b32 v14, 0x7fffff, v161
	s_delay_alu instid0(VALU_DEP_1) | instskip(SKIP_2) | instid1(VALU_DEP_4)
	v_or_b32_e32 v160, 0x800000, v14
	v_cmp_eq_u32_e32 vcc_lo, 0, v10
	v_add_nc_u32_e32 v10, 0xffffff89, v10
	v_cndmask_b32_e64 v151, v151, 0x77, vcc_lo
	s_delay_alu instid0(VALU_DEP_4) | instskip(NEXT) | instid1(VALU_DEP_3)
	v_cndmask_b32_e32 v14, v160, v14, vcc_lo
	v_cndmask_b32_e64 v10, v10, 0xffffff8a, vcc_lo
	s_delay_alu instid0(VALU_DEP_3) | instskip(NEXT) | instid1(VALU_DEP_3)
	v_lshl_add_u32 v160, 0x100000, v151, -1
	v_lshrrev_b32_e32 v162, v151, v14
	v_lshlrev_b32_e64 v164, v151, 0x80000
	s_delay_alu instid0(VALU_DEP_4) | instskip(NEXT) | instid1(VALU_DEP_4)
	v_add_nc_u32_e32 v151, v151, v10
	v_and_b32_e32 v14, v160, v14
	s_delay_alu instid0(VALU_DEP_4) | instskip(NEXT) | instid1(VALU_DEP_2)
	v_bfe_u32 v163, v162, 20, 1
	v_cmp_eq_u32_e64 s14, v14, v164
	s_delay_alu instid0(VALU_DEP_2) | instskip(NEXT) | instid1(VALU_DEP_1)
	v_add_nc_u32_e32 v160, -1, v163
	v_cndmask_b32_e64 v14, 0, v160, s14
	v_lshrrev_b32_e32 v160, 23, v162
	s_mov_b32 s14, exec_lo
	s_delay_alu instid0(VALU_DEP_2) | instskip(NEXT) | instid1(VALU_DEP_2)
	v_add_nc_u32_e32 v14, v14, v162
	v_xor_b32_e32 v160, 1, v160
	s_delay_alu instid0(VALU_DEP_2) | instskip(NEXT) | instid1(VALU_DEP_1)
	v_and_b32_e32 v10, 0xfffff, v14
	v_add_nc_u32_e32 v14, v10, v162
                                        ; implicit-def: $vgpr10
	s_delay_alu instid0(VALU_DEP_3)
	v_cmpx_ne_u32_e64 v151, v160
	s_xor_b32 s14, exec_lo, s14
; %bb.2183:                             ;   in Loop: Header=BB4_1840 Depth=4
	s_delay_alu instid0(VALU_DEP_2) | instskip(SKIP_2) | instid1(VALU_DEP_2)
	v_cmp_lt_u32_e32 vcc_lo, 0xffffff, v14
	v_sub_nc_u32_e32 v10, v151, v160
	v_cndmask_b32_e64 v151, 0, 1, vcc_lo
	v_add_co_ci_u32_e32 v10, vcc_lo, 0, v10, vcc_lo
	s_delay_alu instid0(VALU_DEP_2)
	v_lshrrev_b32_e32 v14, v151, v14
; %bb.2184:                             ;   in Loop: Header=BB4_1840 Depth=4
	s_and_not1_saveexec_b32 s14, s14
; %bb.2185:                             ;   in Loop: Header=BB4_1840 Depth=4
	s_delay_alu instid0(VALU_DEP_1)
	v_bfe_u32 v10, v14, 23, 1
; %bb.2186:                             ;   in Loop: Header=BB4_1840 Depth=4
	s_or_b32 exec_lo, exec_lo, s14
	v_lshrrev_b32_e32 v14, 20, v14
	s_delay_alu instid0(VALU_DEP_2) | instskip(SKIP_2) | instid1(VALU_DEP_2)
	v_cmp_gt_i32_e32 vcc_lo, 16, v10
	v_lshrrev_b32_e32 v151, 24, v161
	v_min_i32_e32 v160, 15, v10
	v_dual_cndmask_b32 v14, 7, v14 :: v_dual_and_b32 v151, 0x80, v151
	s_delay_alu instid0(VALU_DEP_2) | instskip(NEXT) | instid1(VALU_DEP_2)
	v_lshlrev_b32_e32 v160, 3, v160
	v_and_b32_e32 v161, 7, v14
	v_or_b32_e32 v10, v10, v14
	s_delay_alu instid0(VALU_DEP_2) | instskip(NEXT) | instid1(VALU_DEP_2)
	v_or3_b32 v14, v160, v151, v161
	v_cmp_ne_u32_e32 vcc_lo, 0, v10
	s_delay_alu instid0(VALU_DEP_2)
	v_cndmask_b32_e32 v10, 0, v14, vcc_lo
.LBB4_2187:                             ;   in Loop: Header=BB4_1840 Depth=4
	s_or_b32 exec_lo, exec_lo, s39
.LBB4_2188:                             ;   in Loop: Header=BB4_1840 Depth=4
	s_delay_alu instid0(SALU_CYCLE_1) | instskip(NEXT) | instid1(SALU_CYCLE_1)
	s_or_b32 exec_lo, exec_lo, s38
	s_and_b32 vcc_lo, exec_lo, s37
	s_cbranch_vccz .LBB4_2198
; %bb.2189:                             ;   in Loop: Header=BB4_1840 Depth=4
	v_and_b32_e32 v151, 0xff, v15
	s_mov_b32 s14, 0
	s_mov_b32 s39, exec_lo
                                        ; implicit-def: $sgpr38
	s_delay_alu instid0(VALU_DEP_1)
	v_cmpx_lt_i16_e64 0x7f, v151
	s_xor_b32 s39, exec_lo, s39
	s_cbranch_execnz .LBB4_2494
; %bb.2190:                             ;   in Loop: Header=BB4_1840 Depth=4
	s_or_saveexec_b32 s39, s39
	v_mov_b32_e32 v14, s38
	s_xor_b32 exec_lo, exec_lo, s39
	s_cbranch_execnz .LBB4_2497
.LBB4_2191:                             ;   in Loop: Header=BB4_1840 Depth=4
	s_or_b32 exec_lo, exec_lo, s39
	s_and_saveexec_b32 s38, s14
	s_cbranch_execz .LBB4_2193
.LBB4_2192:                             ;   in Loop: Header=BB4_1840 Depth=4
	v_and_b32_e32 v14, 7, v15
	v_bfe_u32 v161, v15, 3, 4
	v_lshlrev_b32_e32 v162, 24, v15
	s_delay_alu instid0(VALU_DEP_3) | instskip(NEXT) | instid1(VALU_DEP_3)
	v_clz_i32_u32_e32 v151, v14
	v_cmp_eq_u32_e32 vcc_lo, 0, v161
	s_delay_alu instid0(VALU_DEP_2) | instskip(NEXT) | instid1(VALU_DEP_1)
	v_min_u32_e32 v151, 32, v151
	v_subrev_nc_u32_e32 v160, 28, v151
	v_sub_nc_u32_e32 v151, 29, v151
	s_delay_alu instid0(VALU_DEP_2) | instskip(NEXT) | instid1(VALU_DEP_1)
	v_lshlrev_b32_e32 v160, v160, v15
	v_dual_cndmask_b32 v151, v161, v151 :: v_dual_and_b32 v160, 7, v160
	s_delay_alu instid0(VALU_DEP_1) | instskip(NEXT) | instid1(VALU_DEP_2)
	v_lshl_add_u32 v151, v151, 23, 0x3b800000
	v_cndmask_b32_e32 v14, v14, v160, vcc_lo
	v_and_b32_e32 v160, 0x80000000, v162
	s_delay_alu instid0(VALU_DEP_2) | instskip(NEXT) | instid1(VALU_DEP_1)
	v_lshlrev_b32_e32 v14, 20, v14
	v_or3_b32 v14, v160, v151, v14
.LBB4_2193:                             ;   in Loop: Header=BB4_1840 Depth=4
	s_or_b32 exec_lo, exec_lo, s38
	v_and_b32_e32 v160, 0xff, v11
	s_mov_b32 s14, 0
	s_mov_b32 s39, exec_lo
                                        ; implicit-def: $sgpr38
	s_delay_alu instid0(VALU_DEP_1)
	v_cmpx_lt_i16_e64 0x7f, v160
	s_xor_b32 s39, exec_lo, s39
	s_cbranch_execnz .LBB4_2498
; %bb.2194:                             ;   in Loop: Header=BB4_1840 Depth=4
	s_or_saveexec_b32 s39, s39
	v_mov_b32_e32 v151, s38
	s_xor_b32 exec_lo, exec_lo, s39
	s_cbranch_execnz .LBB4_2501
.LBB4_2195:                             ;   in Loop: Header=BB4_1840 Depth=4
	s_or_b32 exec_lo, exec_lo, s39
	s_and_saveexec_b32 s38, s14
	s_cbranch_execz .LBB4_2197
.LBB4_2196:                             ;   in Loop: Header=BB4_1840 Depth=4
	v_bfe_u32 v162, v11, 3, 4
	v_lshlrev_b32_e32 v163, 24, v11
	s_delay_alu instid0(VALU_DEP_2) | instskip(SKIP_1) | instid1(VALU_DEP_1)
	v_cmp_eq_u32_e32 vcc_lo, 0, v162
	v_and_b32_e32 v151, 7, v11
	v_clz_i32_u32_e32 v160, v151
	s_delay_alu instid0(VALU_DEP_1) | instskip(NEXT) | instid1(VALU_DEP_1)
	v_min_u32_e32 v160, 32, v160
	v_subrev_nc_u32_e32 v161, 28, v160
	v_sub_nc_u32_e32 v160, 29, v160
	s_delay_alu instid0(VALU_DEP_1) | instskip(NEXT) | instid1(VALU_DEP_1)
	v_dual_cndmask_b32 v160, v162, v160 :: v_dual_lshlrev_b32 v161, v161, v11
	v_and_b32_e32 v161, 7, v161
	s_delay_alu instid0(VALU_DEP_2) | instskip(NEXT) | instid1(VALU_DEP_2)
	v_lshl_add_u32 v160, v160, 23, 0x3b800000
	v_cndmask_b32_e32 v151, v151, v161, vcc_lo
	v_and_b32_e32 v161, 0x80000000, v163
	s_delay_alu instid0(VALU_DEP_2) | instskip(NEXT) | instid1(VALU_DEP_1)
	v_lshlrev_b32_e32 v151, 20, v151
	v_or3_b32 v151, v161, v160, v151
.LBB4_2197:                             ;   in Loop: Header=BB4_1840 Depth=4
	s_or_b32 exec_lo, exec_lo, s38
	s_delay_alu instid0(VALU_DEP_1) | instskip(SKIP_1) | instid1(VALU_DEP_1)
	v_dual_max_f32 v151, v151, v151 :: v_dual_max_f32 v14, v14, v14
	s_mov_b32 s14, 0
	v_max_f32_e32 v151, v14, v151
	s_branch .LBB4_2199
.LBB4_2198:                             ;   in Loop: Header=BB4_1840 Depth=4
	s_mov_b32 s14, -1
                                        ; implicit-def: $vgpr151
.LBB4_2199:                             ;   in Loop: Header=BB4_1840 Depth=4
	s_delay_alu instid0(SALU_CYCLE_1)
	s_and_b32 vcc_lo, exec_lo, s14
	s_cbranch_vccz .LBB4_2209
; %bb.2200:                             ;   in Loop: Header=BB4_1840 Depth=4
	v_and_b32_e32 v151, 0xff, v15
	s_mov_b32 s14, 0
	s_mov_b32 s39, exec_lo
                                        ; implicit-def: $sgpr38
	s_delay_alu instid0(VALU_DEP_1)
	v_cmpx_lt_i16_e64 0x7f, v151
	s_xor_b32 s39, exec_lo, s39
	s_cbranch_execnz .LBB4_2502
; %bb.2201:                             ;   in Loop: Header=BB4_1840 Depth=4
	s_or_saveexec_b32 s39, s39
	v_mov_b32_e32 v14, s38
	s_xor_b32 exec_lo, exec_lo, s39
	s_cbranch_execnz .LBB4_2505
.LBB4_2202:                             ;   in Loop: Header=BB4_1840 Depth=4
	s_or_b32 exec_lo, exec_lo, s39
	s_and_saveexec_b32 s38, s14
	s_cbranch_execz .LBB4_2204
.LBB4_2203:                             ;   in Loop: Header=BB4_1840 Depth=4
	v_and_b32_e32 v14, 7, v15
	v_bfe_u32 v161, v15, 3, 4
	v_lshlrev_b32_e32 v162, 24, v15
	s_delay_alu instid0(VALU_DEP_3) | instskip(NEXT) | instid1(VALU_DEP_3)
	v_clz_i32_u32_e32 v151, v14
	v_cmp_eq_u32_e32 vcc_lo, 0, v161
	s_delay_alu instid0(VALU_DEP_2) | instskip(NEXT) | instid1(VALU_DEP_1)
	v_min_u32_e32 v151, 32, v151
	v_subrev_nc_u32_e32 v160, 28, v151
	v_sub_nc_u32_e32 v151, 29, v151
	s_delay_alu instid0(VALU_DEP_2) | instskip(NEXT) | instid1(VALU_DEP_1)
	v_lshlrev_b32_e32 v160, v160, v15
	v_dual_cndmask_b32 v151, v161, v151 :: v_dual_and_b32 v160, 7, v160
	s_delay_alu instid0(VALU_DEP_1) | instskip(NEXT) | instid1(VALU_DEP_2)
	v_lshl_add_u32 v151, v151, 23, 0x3b800000
	v_cndmask_b32_e32 v14, v14, v160, vcc_lo
	v_and_b32_e32 v160, 0x80000000, v162
	s_delay_alu instid0(VALU_DEP_2) | instskip(NEXT) | instid1(VALU_DEP_1)
	v_lshlrev_b32_e32 v14, 20, v14
	v_or3_b32 v14, v160, v151, v14
.LBB4_2204:                             ;   in Loop: Header=BB4_1840 Depth=4
	s_or_b32 exec_lo, exec_lo, s38
	v_and_b32_e32 v160, 0xff, v11
	s_mov_b32 s14, 0
	s_mov_b32 s39, exec_lo
                                        ; implicit-def: $sgpr38
	s_delay_alu instid0(VALU_DEP_1)
	v_cmpx_lt_i16_e64 0x7f, v160
	s_xor_b32 s39, exec_lo, s39
	s_cbranch_execnz .LBB4_2506
; %bb.2205:                             ;   in Loop: Header=BB4_1840 Depth=4
	s_or_saveexec_b32 s39, s39
	v_mov_b32_e32 v151, s38
	s_xor_b32 exec_lo, exec_lo, s39
	s_cbranch_execnz .LBB4_2509
.LBB4_2206:                             ;   in Loop: Header=BB4_1840 Depth=4
	s_or_b32 exec_lo, exec_lo, s39
	s_and_saveexec_b32 s38, s14
	s_cbranch_execz .LBB4_2208
.LBB4_2207:                             ;   in Loop: Header=BB4_1840 Depth=4
	v_bfe_u32 v162, v11, 3, 4
	v_lshlrev_b32_e32 v163, 24, v11
	s_delay_alu instid0(VALU_DEP_2) | instskip(SKIP_1) | instid1(VALU_DEP_1)
	v_cmp_eq_u32_e32 vcc_lo, 0, v162
	v_and_b32_e32 v151, 7, v11
	v_clz_i32_u32_e32 v160, v151
	s_delay_alu instid0(VALU_DEP_1) | instskip(NEXT) | instid1(VALU_DEP_1)
	v_min_u32_e32 v160, 32, v160
	v_subrev_nc_u32_e32 v161, 28, v160
	v_sub_nc_u32_e32 v160, 29, v160
	s_delay_alu instid0(VALU_DEP_1) | instskip(NEXT) | instid1(VALU_DEP_1)
	v_dual_cndmask_b32 v160, v162, v160 :: v_dual_lshlrev_b32 v161, v161, v11
	v_and_b32_e32 v161, 7, v161
	s_delay_alu instid0(VALU_DEP_2) | instskip(NEXT) | instid1(VALU_DEP_2)
	v_lshl_add_u32 v160, v160, 23, 0x3b800000
	v_cndmask_b32_e32 v151, v151, v161, vcc_lo
	v_and_b32_e32 v161, 0x80000000, v163
	s_delay_alu instid0(VALU_DEP_2) | instskip(NEXT) | instid1(VALU_DEP_1)
	v_lshlrev_b32_e32 v151, 20, v151
	v_or3_b32 v151, v161, v160, v151
.LBB4_2208:                             ;   in Loop: Header=BB4_1840 Depth=4
	s_or_b32 exec_lo, exec_lo, s38
	s_delay_alu instid0(VALU_DEP_1) | instskip(NEXT) | instid1(VALU_DEP_1)
	v_dual_max_f32 v151, v151, v151 :: v_dual_max_f32 v14, v14, v14
	v_min_f32_e32 v151, v14, v151
.LBB4_2209:                             ;   in Loop: Header=BB4_1840 Depth=4
	s_delay_alu instid0(VALU_DEP_1) | instskip(NEXT) | instid1(VALU_DEP_1)
	v_and_b32_e32 v14, 0x7f800000, v151
	v_cmp_ne_u32_e32 vcc_lo, 0x7f800000, v14
	v_mov_b32_e32 v14, 0x80
	s_and_saveexec_b32 s38, vcc_lo
	s_cbranch_execz .LBB4_2217
; %bb.2210:                             ;   in Loop: Header=BB4_1840 Depth=4
	v_mov_b32_e32 v14, 0
	s_mov_b32 s39, exec_lo
	v_cmpx_ne_u32_e32 0, v151
	s_cbranch_execz .LBB4_2216
; %bb.2211:                             ;   in Loop: Header=BB4_1840 Depth=4
	v_bfe_u32 v14, v151, 23, 8
	s_delay_alu instid0(VALU_DEP_1) | instskip(SKIP_1) | instid1(VALU_DEP_2)
	v_sub_nc_u32_e32 v161, 0x78, v14
	v_cmp_gt_u32_e32 vcc_lo, 0x79, v14
	v_dual_cndmask_b32 v161, 0, v161 :: v_dual_and_b32 v160, 0x7fffff, v151
	s_delay_alu instid0(VALU_DEP_1) | instskip(SKIP_2) | instid1(VALU_DEP_4)
	v_or_b32_e32 v162, 0x800000, v160
	v_cmp_eq_u32_e32 vcc_lo, 0, v14
	v_add_nc_u32_e32 v14, 0xffffff89, v14
	v_cndmask_b32_e64 v161, v161, 0x77, vcc_lo
	s_delay_alu instid0(VALU_DEP_2) | instskip(SKIP_1) | instid1(VALU_DEP_3)
	v_cndmask_b32_e64 v14, v14, 0xffffff8a, vcc_lo
	v_cndmask_b32_e32 v160, v162, v160, vcc_lo
	v_lshl_add_u32 v162, 0x100000, v161, -1
	v_lshlrev_b32_e64 v165, v161, 0x80000
	s_delay_alu instid0(VALU_DEP_3) | instskip(SKIP_1) | instid1(VALU_DEP_4)
	v_lshrrev_b32_e32 v163, v161, v160
	v_add_nc_u32_e32 v161, v161, v14
	v_and_b32_e32 v160, v162, v160
	s_delay_alu instid0(VALU_DEP_3) | instskip(NEXT) | instid1(VALU_DEP_2)
	v_bfe_u32 v164, v163, 20, 1
	v_cmp_eq_u32_e64 s14, v160, v165
	s_delay_alu instid0(VALU_DEP_2) | instskip(NEXT) | instid1(VALU_DEP_1)
	v_add_nc_u32_e32 v162, -1, v164
	v_cndmask_b32_e64 v160, 0, v162, s14
	v_lshrrev_b32_e32 v162, 23, v163
	s_mov_b32 s14, exec_lo
	s_delay_alu instid0(VALU_DEP_2) | instskip(NEXT) | instid1(VALU_DEP_2)
	v_add_nc_u32_e32 v160, v160, v163
	v_xor_b32_e32 v162, 1, v162
	s_delay_alu instid0(VALU_DEP_2) | instskip(NEXT) | instid1(VALU_DEP_1)
	v_and_b32_e32 v14, 0xfffff, v160
	v_add_nc_u32_e32 v160, v14, v163
                                        ; implicit-def: $vgpr14
	s_delay_alu instid0(VALU_DEP_3)
	v_cmpx_ne_u32_e64 v161, v162
	s_xor_b32 s14, exec_lo, s14
; %bb.2212:                             ;   in Loop: Header=BB4_1840 Depth=4
	s_delay_alu instid0(VALU_DEP_2) | instskip(SKIP_2) | instid1(VALU_DEP_2)
	v_cmp_lt_u32_e32 vcc_lo, 0xffffff, v160
	v_sub_nc_u32_e32 v14, v161, v162
	v_cndmask_b32_e64 v161, 0, 1, vcc_lo
	v_add_co_ci_u32_e32 v14, vcc_lo, 0, v14, vcc_lo
	s_delay_alu instid0(VALU_DEP_2)
	v_lshrrev_b32_e32 v160, v161, v160
; %bb.2213:                             ;   in Loop: Header=BB4_1840 Depth=4
	s_and_not1_saveexec_b32 s14, s14
; %bb.2214:                             ;   in Loop: Header=BB4_1840 Depth=4
	s_delay_alu instid0(VALU_DEP_1)
	v_bfe_u32 v14, v160, 23, 1
; %bb.2215:                             ;   in Loop: Header=BB4_1840 Depth=4
	s_or_b32 exec_lo, exec_lo, s14
	v_lshrrev_b32_e32 v160, 20, v160
	s_delay_alu instid0(VALU_DEP_2) | instskip(SKIP_2) | instid1(VALU_DEP_2)
	v_cmp_gt_i32_e32 vcc_lo, 16, v14
	v_lshrrev_b32_e32 v151, 24, v151
	v_min_i32_e32 v161, 15, v14
	v_dual_cndmask_b32 v160, 7, v160 :: v_dual_and_b32 v151, 0x80, v151
	s_delay_alu instid0(VALU_DEP_1) | instskip(SKIP_1) | instid1(VALU_DEP_2)
	v_or_b32_e32 v14, v14, v160
	v_and_b32_e32 v162, 7, v160
	v_cmp_ne_u32_e32 vcc_lo, 0, v14
	v_lshlrev_b32_e32 v161, 3, v161
	s_delay_alu instid0(VALU_DEP_1) | instskip(NEXT) | instid1(VALU_DEP_1)
	v_or3_b32 v151, v161, v151, v162
	v_cndmask_b32_e32 v14, 0, v151, vcc_lo
.LBB4_2216:                             ;   in Loop: Header=BB4_1840 Depth=4
	s_or_b32 exec_lo, exec_lo, s39
.LBB4_2217:                             ;   in Loop: Header=BB4_1840 Depth=4
	s_delay_alu instid0(SALU_CYCLE_1)
	s_or_b32 exec_lo, exec_lo, s38
	v_lshrrev_b16 v160, 8, v15
	v_lshrrev_b16 v151, 8, v11
	s_and_b32 vcc_lo, exec_lo, s37
	s_cbranch_vccz .LBB4_2227
; %bb.2218:                             ;   in Loop: Header=BB4_1840 Depth=4
	s_mov_b32 s14, 0
	s_mov_b32 s39, exec_lo
                                        ; implicit-def: $sgpr38
	v_cmpx_lt_i16_e64 0x7f, v160
	s_xor_b32 s39, exec_lo, s39
	s_cbranch_execnz .LBB4_2510
; %bb.2219:                             ;   in Loop: Header=BB4_1840 Depth=4
	s_or_saveexec_b32 s39, s39
	v_mov_b32_e32 v161, s38
	s_xor_b32 exec_lo, exec_lo, s39
	s_cbranch_execnz .LBB4_2513
.LBB4_2220:                             ;   in Loop: Header=BB4_1840 Depth=4
	s_or_b32 exec_lo, exec_lo, s39
	s_and_saveexec_b32 s38, s14
	s_cbranch_execz .LBB4_2222
.LBB4_2221:                             ;   in Loop: Header=BB4_1840 Depth=4
	v_and_b32_e32 v161, 0xffff, v160
	s_delay_alu instid0(VALU_DEP_1) | instskip(NEXT) | instid1(VALU_DEP_1)
	v_and_b32_e32 v162, 7, v161
	v_clz_i32_u32_e32 v163, v162
	s_delay_alu instid0(VALU_DEP_1) | instskip(NEXT) | instid1(VALU_DEP_1)
	v_min_u32_e32 v163, 32, v163
	v_subrev_nc_u32_e32 v164, 28, v163
	v_sub_nc_u32_e32 v163, 29, v163
	s_delay_alu instid0(VALU_DEP_2) | instskip(SKIP_1) | instid1(VALU_DEP_2)
	v_lshlrev_b32_e32 v164, v164, v161
	v_bfe_u32 v161, v161, 3, 4
	v_and_b32_e32 v164, 7, v164
	s_delay_alu instid0(VALU_DEP_2) | instskip(SKIP_1) | instid1(VALU_DEP_3)
	v_cmp_eq_u32_e32 vcc_lo, 0, v161
	v_cndmask_b32_e32 v161, v161, v163, vcc_lo
	v_dual_cndmask_b32 v162, v162, v164 :: v_dual_lshlrev_b32 v165, 16, v15
	s_delay_alu instid0(VALU_DEP_2) | instskip(NEXT) | instid1(VALU_DEP_2)
	v_lshl_add_u32 v161, v161, 23, 0x3b800000
	v_and_b32_e32 v163, 0x80000000, v165
	s_delay_alu instid0(VALU_DEP_3) | instskip(NEXT) | instid1(VALU_DEP_1)
	v_lshlrev_b32_e32 v162, 20, v162
	v_or3_b32 v161, v163, v161, v162
.LBB4_2222:                             ;   in Loop: Header=BB4_1840 Depth=4
	s_or_b32 exec_lo, exec_lo, s38
	s_mov_b32 s14, 0
	s_mov_b32 s39, exec_lo
                                        ; implicit-def: $sgpr38
	v_cmpx_lt_i16_e64 0x7f, v151
	s_xor_b32 s39, exec_lo, s39
	s_cbranch_execnz .LBB4_2514
; %bb.2223:                             ;   in Loop: Header=BB4_1840 Depth=4
	s_or_saveexec_b32 s39, s39
	v_mov_b32_e32 v162, s38
	s_xor_b32 exec_lo, exec_lo, s39
	s_cbranch_execnz .LBB4_2517
.LBB4_2224:                             ;   in Loop: Header=BB4_1840 Depth=4
	s_or_b32 exec_lo, exec_lo, s39
	s_and_saveexec_b32 s38, s14
	s_cbranch_execz .LBB4_2226
.LBB4_2225:                             ;   in Loop: Header=BB4_1840 Depth=4
	v_and_b32_e32 v162, 0xffff, v151
	v_lshlrev_b32_e32 v166, 16, v11
	s_delay_alu instid0(VALU_DEP_2) | instskip(NEXT) | instid1(VALU_DEP_1)
	v_and_b32_e32 v163, 7, v162
	v_clz_i32_u32_e32 v164, v163
	s_delay_alu instid0(VALU_DEP_1) | instskip(NEXT) | instid1(VALU_DEP_1)
	v_min_u32_e32 v164, 32, v164
	v_subrev_nc_u32_e32 v165, 28, v164
	v_sub_nc_u32_e32 v164, 29, v164
	s_delay_alu instid0(VALU_DEP_2) | instskip(SKIP_1) | instid1(VALU_DEP_2)
	v_lshlrev_b32_e32 v165, v165, v162
	v_bfe_u32 v162, v162, 3, 4
	v_and_b32_e32 v165, 7, v165
	s_delay_alu instid0(VALU_DEP_2) | instskip(NEXT) | instid1(VALU_DEP_2)
	v_cmp_eq_u32_e32 vcc_lo, 0, v162
	v_dual_cndmask_b32 v162, v162, v164 :: v_dual_cndmask_b32 v163, v163, v165
	v_and_b32_e32 v164, 0x80000000, v166
	s_delay_alu instid0(VALU_DEP_2) | instskip(NEXT) | instid1(VALU_DEP_3)
	v_lshl_add_u32 v162, v162, 23, 0x3b800000
	v_lshlrev_b32_e32 v163, 20, v163
	s_delay_alu instid0(VALU_DEP_1)
	v_or3_b32 v162, v164, v162, v163
.LBB4_2226:                             ;   in Loop: Header=BB4_1840 Depth=4
	s_or_b32 exec_lo, exec_lo, s38
	s_delay_alu instid0(VALU_DEP_1) | instskip(SKIP_1) | instid1(VALU_DEP_1)
	v_dual_max_f32 v162, v162, v162 :: v_dual_max_f32 v161, v161, v161
	s_mov_b32 s14, 0
	v_max_f32_e32 v161, v161, v162
	s_branch .LBB4_2228
.LBB4_2227:                             ;   in Loop: Header=BB4_1840 Depth=4
	s_mov_b32 s14, -1
                                        ; implicit-def: $vgpr161
.LBB4_2228:                             ;   in Loop: Header=BB4_1840 Depth=4
	s_delay_alu instid0(SALU_CYCLE_1)
	s_and_b32 vcc_lo, exec_lo, s14
	s_cbranch_vccz .LBB4_2238
; %bb.2229:                             ;   in Loop: Header=BB4_1840 Depth=4
	s_mov_b32 s14, 0
	s_mov_b32 s39, exec_lo
                                        ; implicit-def: $sgpr38
	v_cmpx_lt_i16_e64 0x7f, v160
	s_xor_b32 s39, exec_lo, s39
	s_cbranch_execnz .LBB4_2518
; %bb.2230:                             ;   in Loop: Header=BB4_1840 Depth=4
	s_or_saveexec_b32 s39, s39
	v_mov_b32_e32 v161, s38
	s_xor_b32 exec_lo, exec_lo, s39
	s_cbranch_execnz .LBB4_2521
.LBB4_2231:                             ;   in Loop: Header=BB4_1840 Depth=4
	s_or_b32 exec_lo, exec_lo, s39
	s_and_saveexec_b32 s38, s14
	s_cbranch_execz .LBB4_2233
.LBB4_2232:                             ;   in Loop: Header=BB4_1840 Depth=4
	v_and_b32_e32 v160, 0xffff, v160
	v_lshlrev_b32_e32 v164, 16, v15
	s_delay_alu instid0(VALU_DEP_2) | instskip(NEXT) | instid1(VALU_DEP_1)
	v_and_b32_e32 v161, 7, v160
	v_clz_i32_u32_e32 v162, v161
	s_delay_alu instid0(VALU_DEP_1) | instskip(NEXT) | instid1(VALU_DEP_1)
	v_min_u32_e32 v162, 32, v162
	v_subrev_nc_u32_e32 v163, 28, v162
	v_sub_nc_u32_e32 v162, 29, v162
	s_delay_alu instid0(VALU_DEP_2) | instskip(SKIP_1) | instid1(VALU_DEP_2)
	v_lshlrev_b32_e32 v163, v163, v160
	v_bfe_u32 v160, v160, 3, 4
	v_and_b32_e32 v163, 7, v163
	s_delay_alu instid0(VALU_DEP_2) | instskip(NEXT) | instid1(VALU_DEP_2)
	v_cmp_eq_u32_e32 vcc_lo, 0, v160
	v_dual_cndmask_b32 v160, v160, v162 :: v_dual_cndmask_b32 v161, v161, v163
	v_and_b32_e32 v162, 0x80000000, v164
	s_delay_alu instid0(VALU_DEP_2) | instskip(NEXT) | instid1(VALU_DEP_3)
	v_lshl_add_u32 v160, v160, 23, 0x3b800000
	v_lshlrev_b32_e32 v161, 20, v161
	s_delay_alu instid0(VALU_DEP_1)
	v_or3_b32 v161, v162, v160, v161
.LBB4_2233:                             ;   in Loop: Header=BB4_1840 Depth=4
	s_or_b32 exec_lo, exec_lo, s38
	s_mov_b32 s14, 0
	s_mov_b32 s39, exec_lo
                                        ; implicit-def: $sgpr38
	v_cmpx_lt_i16_e64 0x7f, v151
	s_xor_b32 s39, exec_lo, s39
	s_cbranch_execnz .LBB4_2522
; %bb.2234:                             ;   in Loop: Header=BB4_1840 Depth=4
	s_or_saveexec_b32 s39, s39
	v_mov_b32_e32 v160, s38
	s_xor_b32 exec_lo, exec_lo, s39
	s_cbranch_execnz .LBB4_2525
.LBB4_2235:                             ;   in Loop: Header=BB4_1840 Depth=4
	s_or_b32 exec_lo, exec_lo, s39
	s_and_saveexec_b32 s38, s14
	s_cbranch_execz .LBB4_2237
.LBB4_2236:                             ;   in Loop: Header=BB4_1840 Depth=4
	v_and_b32_e32 v151, 0xffff, v151
	v_lshlrev_b32_e32 v164, 16, v11
	s_delay_alu instid0(VALU_DEP_2) | instskip(NEXT) | instid1(VALU_DEP_1)
	v_and_b32_e32 v160, 7, v151
	v_clz_i32_u32_e32 v162, v160
	s_delay_alu instid0(VALU_DEP_1) | instskip(NEXT) | instid1(VALU_DEP_1)
	v_min_u32_e32 v162, 32, v162
	v_subrev_nc_u32_e32 v163, 28, v162
	v_sub_nc_u32_e32 v162, 29, v162
	s_delay_alu instid0(VALU_DEP_2) | instskip(SKIP_1) | instid1(VALU_DEP_2)
	v_lshlrev_b32_e32 v163, v163, v151
	v_bfe_u32 v151, v151, 3, 4
	v_and_b32_e32 v163, 7, v163
	s_delay_alu instid0(VALU_DEP_2) | instskip(NEXT) | instid1(VALU_DEP_2)
	v_cmp_eq_u32_e32 vcc_lo, 0, v151
	v_dual_cndmask_b32 v151, v151, v162 :: v_dual_cndmask_b32 v160, v160, v163
	v_and_b32_e32 v162, 0x80000000, v164
	s_delay_alu instid0(VALU_DEP_2) | instskip(NEXT) | instid1(VALU_DEP_3)
	v_lshl_add_u32 v151, v151, 23, 0x3b800000
	v_lshlrev_b32_e32 v160, 20, v160
	s_delay_alu instid0(VALU_DEP_1)
	v_or3_b32 v160, v162, v151, v160
.LBB4_2237:                             ;   in Loop: Header=BB4_1840 Depth=4
	s_or_b32 exec_lo, exec_lo, s38
	s_delay_alu instid0(VALU_DEP_1) | instskip(NEXT) | instid1(VALU_DEP_1)
	v_dual_max_f32 v151, v160, v160 :: v_dual_max_f32 v160, v161, v161
	v_min_f32_e32 v161, v160, v151
.LBB4_2238:                             ;   in Loop: Header=BB4_1840 Depth=4
	s_delay_alu instid0(VALU_DEP_1) | instskip(NEXT) | instid1(VALU_DEP_1)
	v_and_b32_e32 v151, 0x7f800000, v161
	v_cmp_ne_u32_e32 vcc_lo, 0x7f800000, v151
	v_mov_b32_e32 v151, 0x80
	s_and_saveexec_b32 s38, vcc_lo
	s_cbranch_execz .LBB4_2246
; %bb.2239:                             ;   in Loop: Header=BB4_1840 Depth=4
	v_mov_b32_e32 v151, 0
	s_mov_b32 s39, exec_lo
	v_cmpx_ne_u32_e32 0, v161
	s_cbranch_execz .LBB4_2245
; %bb.2240:                             ;   in Loop: Header=BB4_1840 Depth=4
	v_bfe_u32 v151, v161, 23, 8
	v_and_b32_e32 v160, 0x7fffff, v161
	s_delay_alu instid0(VALU_DEP_2) | instskip(SKIP_1) | instid1(VALU_DEP_3)
	v_sub_nc_u32_e32 v162, 0x78, v151
	v_cmp_gt_u32_e32 vcc_lo, 0x79, v151
	v_or_b32_e32 v163, 0x800000, v160
	s_delay_alu instid0(VALU_DEP_3) | instskip(SKIP_2) | instid1(VALU_DEP_3)
	v_cndmask_b32_e32 v162, 0, v162, vcc_lo
	v_cmp_eq_u32_e32 vcc_lo, 0, v151
	v_add_nc_u32_e32 v151, 0xffffff89, v151
	v_cndmask_b32_e64 v162, v162, 0x77, vcc_lo
	v_cndmask_b32_e32 v160, v163, v160, vcc_lo
	s_delay_alu instid0(VALU_DEP_3) | instskip(NEXT) | instid1(VALU_DEP_3)
	v_cndmask_b32_e64 v151, v151, 0xffffff8a, vcc_lo
	v_lshl_add_u32 v163, 0x100000, v162, -1
	s_delay_alu instid0(VALU_DEP_3) | instskip(SKIP_1) | instid1(VALU_DEP_4)
	v_lshrrev_b32_e32 v164, v162, v160
	v_lshlrev_b32_e64 v166, v162, 0x80000
	v_add_nc_u32_e32 v162, v162, v151
	s_delay_alu instid0(VALU_DEP_4) | instskip(NEXT) | instid1(VALU_DEP_4)
	v_and_b32_e32 v160, v163, v160
	v_bfe_u32 v165, v164, 20, 1
	s_delay_alu instid0(VALU_DEP_2) | instskip(NEXT) | instid1(VALU_DEP_2)
	v_cmp_eq_u32_e64 s14, v160, v166
	v_add_nc_u32_e32 v163, -1, v165
	s_delay_alu instid0(VALU_DEP_1) | instskip(SKIP_2) | instid1(VALU_DEP_2)
	v_cndmask_b32_e64 v160, 0, v163, s14
	v_lshrrev_b32_e32 v163, 23, v164
	s_mov_b32 s14, exec_lo
	v_add_nc_u32_e32 v160, v160, v164
	s_delay_alu instid0(VALU_DEP_2) | instskip(NEXT) | instid1(VALU_DEP_2)
	v_xor_b32_e32 v163, 1, v163
	v_and_b32_e32 v151, 0xfffff, v160
	s_delay_alu instid0(VALU_DEP_1) | instskip(NEXT) | instid1(VALU_DEP_3)
	v_add_nc_u32_e32 v160, v151, v164
                                        ; implicit-def: $vgpr151
	v_cmpx_ne_u32_e64 v162, v163
	s_xor_b32 s14, exec_lo, s14
; %bb.2241:                             ;   in Loop: Header=BB4_1840 Depth=4
	s_delay_alu instid0(VALU_DEP_2) | instskip(SKIP_2) | instid1(VALU_DEP_2)
	v_cmp_lt_u32_e32 vcc_lo, 0xffffff, v160
	v_sub_nc_u32_e32 v151, v162, v163
	v_cndmask_b32_e64 v162, 0, 1, vcc_lo
	v_add_co_ci_u32_e32 v151, vcc_lo, 0, v151, vcc_lo
	s_delay_alu instid0(VALU_DEP_2)
	v_lshrrev_b32_e32 v160, v162, v160
; %bb.2242:                             ;   in Loop: Header=BB4_1840 Depth=4
	s_and_not1_saveexec_b32 s14, s14
; %bb.2243:                             ;   in Loop: Header=BB4_1840 Depth=4
	s_delay_alu instid0(VALU_DEP_1)
	v_bfe_u32 v151, v160, 23, 1
; %bb.2244:                             ;   in Loop: Header=BB4_1840 Depth=4
	s_or_b32 exec_lo, exec_lo, s14
	v_lshrrev_b32_e32 v160, 20, v160
	s_delay_alu instid0(VALU_DEP_2) | instskip(SKIP_2) | instid1(VALU_DEP_2)
	v_cmp_gt_i32_e32 vcc_lo, 16, v151
	v_lshrrev_b32_e32 v161, 24, v161
	v_min_i32_e32 v162, 15, v151
	v_dual_cndmask_b32 v160, 7, v160 :: v_dual_and_b32 v161, 0x80, v161
	s_delay_alu instid0(VALU_DEP_1) | instskip(SKIP_1) | instid1(VALU_DEP_2)
	v_or_b32_e32 v151, v151, v160
	v_and_b32_e32 v163, 7, v160
	v_cmp_ne_u32_e32 vcc_lo, 0, v151
	v_lshlrev_b32_e32 v162, 3, v162
	s_delay_alu instid0(VALU_DEP_1) | instskip(NEXT) | instid1(VALU_DEP_1)
	v_or3_b32 v160, v162, v161, v163
	v_cndmask_b32_e32 v151, 0, v160, vcc_lo
.LBB4_2245:                             ;   in Loop: Header=BB4_1840 Depth=4
	s_or_b32 exec_lo, exec_lo, s39
.LBB4_2246:                             ;   in Loop: Header=BB4_1840 Depth=4
	s_delay_alu instid0(SALU_CYCLE_1)
	s_or_b32 exec_lo, exec_lo, s38
	v_lshrrev_b32_e32 v161, 16, v15
	v_lshrrev_b32_e32 v160, 16, v11
	s_and_b32 vcc_lo, exec_lo, s37
	s_cbranch_vccz .LBB4_2256
; %bb.2247:                             ;   in Loop: Header=BB4_1840 Depth=4
	s_delay_alu instid0(VALU_DEP_2) | instskip(SKIP_2) | instid1(VALU_DEP_1)
	v_and_b32_e32 v163, 0xff, v161
	s_mov_b32 s14, 0
	s_mov_b32 s39, exec_lo
                                        ; implicit-def: $sgpr38
	v_cmpx_lt_i16_e64 0x7f, v163
	s_xor_b32 s39, exec_lo, s39
	s_cbranch_execnz .LBB4_2526
; %bb.2248:                             ;   in Loop: Header=BB4_1840 Depth=4
	s_or_saveexec_b32 s39, s39
	v_mov_b32_e32 v162, s38
	s_xor_b32 exec_lo, exec_lo, s39
	s_cbranch_execnz .LBB4_2529
.LBB4_2249:                             ;   in Loop: Header=BB4_1840 Depth=4
	s_or_b32 exec_lo, exec_lo, s39
	s_and_saveexec_b32 s38, s14
	s_cbranch_execz .LBB4_2251
.LBB4_2250:                             ;   in Loop: Header=BB4_1840 Depth=4
	v_bfe_u32 v162, v15, 16, 3
	v_bfe_u32 v165, v15, 19, 4
	v_lshlrev_b32_e32 v166, 24, v161
	s_delay_alu instid0(VALU_DEP_3) | instskip(NEXT) | instid1(VALU_DEP_3)
	v_clz_i32_u32_e32 v163, v162
	v_cmp_eq_u32_e32 vcc_lo, 0, v165
	s_delay_alu instid0(VALU_DEP_2) | instskip(NEXT) | instid1(VALU_DEP_1)
	v_min_u32_e32 v163, 32, v163
	v_subrev_nc_u32_e32 v164, 28, v163
	v_sub_nc_u32_e32 v163, 29, v163
	s_delay_alu instid0(VALU_DEP_1) | instskip(NEXT) | instid1(VALU_DEP_1)
	v_dual_cndmask_b32 v163, v165, v163 :: v_dual_lshlrev_b32 v164, v164, v161
	v_and_b32_e32 v164, 7, v164
	s_delay_alu instid0(VALU_DEP_2) | instskip(NEXT) | instid1(VALU_DEP_2)
	v_lshl_add_u32 v163, v163, 23, 0x3b800000
	v_cndmask_b32_e32 v162, v162, v164, vcc_lo
	v_and_b32_e32 v164, 0x80000000, v166
	s_delay_alu instid0(VALU_DEP_2) | instskip(NEXT) | instid1(VALU_DEP_1)
	v_lshlrev_b32_e32 v162, 20, v162
	v_or3_b32 v162, v164, v163, v162
.LBB4_2251:                             ;   in Loop: Header=BB4_1840 Depth=4
	s_or_b32 exec_lo, exec_lo, s38
	v_and_b32_e32 v164, 0xff, v160
	s_mov_b32 s14, 0
	s_mov_b32 s39, exec_lo
                                        ; implicit-def: $sgpr38
	s_delay_alu instid0(VALU_DEP_1)
	v_cmpx_lt_i16_e64 0x7f, v164
	s_xor_b32 s39, exec_lo, s39
	s_cbranch_execnz .LBB4_2530
; %bb.2252:                             ;   in Loop: Header=BB4_1840 Depth=4
	s_or_saveexec_b32 s39, s39
	v_mov_b32_e32 v163, s38
	s_xor_b32 exec_lo, exec_lo, s39
	s_cbranch_execnz .LBB4_2533
.LBB4_2253:                             ;   in Loop: Header=BB4_1840 Depth=4
	s_or_b32 exec_lo, exec_lo, s39
	s_and_saveexec_b32 s38, s14
	s_cbranch_execz .LBB4_2255
.LBB4_2254:                             ;   in Loop: Header=BB4_1840 Depth=4
	v_bfe_u32 v163, v11, 16, 3
	v_bfe_u32 v166, v11, 19, 4
	v_lshlrev_b32_e32 v167, 24, v160
	s_delay_alu instid0(VALU_DEP_3) | instskip(NEXT) | instid1(VALU_DEP_3)
	v_clz_i32_u32_e32 v164, v163
	v_cmp_eq_u32_e32 vcc_lo, 0, v166
	s_delay_alu instid0(VALU_DEP_2) | instskip(NEXT) | instid1(VALU_DEP_1)
	v_min_u32_e32 v164, 32, v164
	v_subrev_nc_u32_e32 v165, 28, v164
	v_sub_nc_u32_e32 v164, 29, v164
	s_delay_alu instid0(VALU_DEP_2) | instskip(NEXT) | instid1(VALU_DEP_1)
	v_lshlrev_b32_e32 v165, v165, v160
	v_dual_cndmask_b32 v164, v166, v164 :: v_dual_and_b32 v165, 7, v165
	s_delay_alu instid0(VALU_DEP_1) | instskip(NEXT) | instid1(VALU_DEP_2)
	v_lshl_add_u32 v164, v164, 23, 0x3b800000
	v_cndmask_b32_e32 v163, v163, v165, vcc_lo
	v_and_b32_e32 v165, 0x80000000, v167
	s_delay_alu instid0(VALU_DEP_2) | instskip(NEXT) | instid1(VALU_DEP_1)
	v_lshlrev_b32_e32 v163, 20, v163
	v_or3_b32 v163, v165, v164, v163
.LBB4_2255:                             ;   in Loop: Header=BB4_1840 Depth=4
	s_or_b32 exec_lo, exec_lo, s38
	s_delay_alu instid0(VALU_DEP_1) | instskip(SKIP_1) | instid1(VALU_DEP_1)
	v_dual_max_f32 v163, v163, v163 :: v_dual_max_f32 v162, v162, v162
	s_mov_b32 s14, 0
	v_max_f32_e32 v162, v162, v163
	s_branch .LBB4_2257
.LBB4_2256:                             ;   in Loop: Header=BB4_1840 Depth=4
	s_mov_b32 s14, -1
                                        ; implicit-def: $vgpr162
.LBB4_2257:                             ;   in Loop: Header=BB4_1840 Depth=4
	s_delay_alu instid0(SALU_CYCLE_1)
	s_and_b32 vcc_lo, exec_lo, s14
	s_cbranch_vccz .LBB4_2267
; %bb.2258:                             ;   in Loop: Header=BB4_1840 Depth=4
	v_and_b32_e32 v163, 0xff, v161
	s_mov_b32 s14, 0
	s_mov_b32 s39, exec_lo
                                        ; implicit-def: $sgpr38
	s_delay_alu instid0(VALU_DEP_1)
	v_cmpx_lt_i16_e64 0x7f, v163
	s_xor_b32 s39, exec_lo, s39
	s_cbranch_execnz .LBB4_2534
; %bb.2259:                             ;   in Loop: Header=BB4_1840 Depth=4
	s_or_saveexec_b32 s39, s39
	v_mov_b32_e32 v162, s38
	s_xor_b32 exec_lo, exec_lo, s39
	s_cbranch_execnz .LBB4_2537
.LBB4_2260:                             ;   in Loop: Header=BB4_1840 Depth=4
	s_or_b32 exec_lo, exec_lo, s39
	s_and_saveexec_b32 s38, s14
	s_cbranch_execz .LBB4_2262
.LBB4_2261:                             ;   in Loop: Header=BB4_1840 Depth=4
	v_bfe_u32 v162, v15, 16, 3
	v_bfe_u32 v165, v15, 19, 4
	s_delay_alu instid0(VALU_DEP_2) | instskip(NEXT) | instid1(VALU_DEP_2)
	v_clz_i32_u32_e32 v163, v162
	v_cmp_eq_u32_e32 vcc_lo, 0, v165
	s_delay_alu instid0(VALU_DEP_2) | instskip(NEXT) | instid1(VALU_DEP_1)
	v_min_u32_e32 v163, 32, v163
	v_subrev_nc_u32_e32 v164, 28, v163
	v_sub_nc_u32_e32 v163, 29, v163
	s_delay_alu instid0(VALU_DEP_1) | instskip(NEXT) | instid1(VALU_DEP_1)
	v_dual_cndmask_b32 v163, v165, v163 :: v_dual_lshlrev_b32 v164, v164, v161
	v_and_b32_e32 v164, 7, v164
	v_lshlrev_b32_e32 v161, 24, v161
	s_delay_alu instid0(VALU_DEP_3) | instskip(NEXT) | instid1(VALU_DEP_2)
	v_lshl_add_u32 v163, v163, 23, 0x3b800000
	v_dual_cndmask_b32 v162, v162, v164 :: v_dual_and_b32 v161, 0x80000000, v161
	s_delay_alu instid0(VALU_DEP_1) | instskip(NEXT) | instid1(VALU_DEP_1)
	v_lshlrev_b32_e32 v162, 20, v162
	v_or3_b32 v162, v161, v163, v162
.LBB4_2262:                             ;   in Loop: Header=BB4_1840 Depth=4
	s_or_b32 exec_lo, exec_lo, s38
	v_and_b32_e32 v163, 0xff, v160
	s_mov_b32 s14, 0
	s_mov_b32 s39, exec_lo
                                        ; implicit-def: $sgpr38
	s_delay_alu instid0(VALU_DEP_1)
	v_cmpx_lt_i16_e64 0x7f, v163
	s_xor_b32 s39, exec_lo, s39
	s_cbranch_execnz .LBB4_2538
; %bb.2263:                             ;   in Loop: Header=BB4_1840 Depth=4
	s_or_saveexec_b32 s39, s39
	v_mov_b32_e32 v161, s38
	s_xor_b32 exec_lo, exec_lo, s39
	s_cbranch_execnz .LBB4_2541
.LBB4_2264:                             ;   in Loop: Header=BB4_1840 Depth=4
	s_or_b32 exec_lo, exec_lo, s39
	s_and_saveexec_b32 s38, s14
	s_cbranch_execz .LBB4_2266
.LBB4_2265:                             ;   in Loop: Header=BB4_1840 Depth=4
	v_bfe_u32 v161, v11, 16, 3
	v_bfe_u32 v165, v11, 19, 4
	s_delay_alu instid0(VALU_DEP_2) | instskip(NEXT) | instid1(VALU_DEP_2)
	v_clz_i32_u32_e32 v163, v161
	v_cmp_eq_u32_e32 vcc_lo, 0, v165
	s_delay_alu instid0(VALU_DEP_2) | instskip(NEXT) | instid1(VALU_DEP_1)
	v_min_u32_e32 v163, 32, v163
	v_subrev_nc_u32_e32 v164, 28, v163
	v_sub_nc_u32_e32 v163, 29, v163
	s_delay_alu instid0(VALU_DEP_1) | instskip(SKIP_1) | instid1(VALU_DEP_2)
	v_dual_cndmask_b32 v163, v165, v163 :: v_dual_lshlrev_b32 v164, v164, v160
	v_lshlrev_b32_e32 v160, 24, v160
	v_and_b32_e32 v164, 7, v164
	s_delay_alu instid0(VALU_DEP_3) | instskip(NEXT) | instid1(VALU_DEP_3)
	v_lshl_add_u32 v163, v163, 23, 0x3b800000
	v_and_b32_e32 v160, 0x80000000, v160
	s_delay_alu instid0(VALU_DEP_3) | instskip(NEXT) | instid1(VALU_DEP_1)
	v_cndmask_b32_e32 v161, v161, v164, vcc_lo
	v_lshlrev_b32_e32 v161, 20, v161
	s_delay_alu instid0(VALU_DEP_1)
	v_or3_b32 v161, v160, v163, v161
.LBB4_2266:                             ;   in Loop: Header=BB4_1840 Depth=4
	s_or_b32 exec_lo, exec_lo, s38
	s_delay_alu instid0(VALU_DEP_1) | instskip(NEXT) | instid1(VALU_DEP_1)
	v_dual_max_f32 v160, v161, v161 :: v_dual_max_f32 v161, v162, v162
	v_min_f32_e32 v162, v161, v160
.LBB4_2267:                             ;   in Loop: Header=BB4_1840 Depth=4
	s_delay_alu instid0(VALU_DEP_1) | instskip(NEXT) | instid1(VALU_DEP_1)
	v_and_b32_e32 v160, 0x7f800000, v162
	v_cmp_ne_u32_e32 vcc_lo, 0x7f800000, v160
	v_mov_b32_e32 v160, 0x80
	s_and_saveexec_b32 s38, vcc_lo
	s_cbranch_execz .LBB4_2275
; %bb.2268:                             ;   in Loop: Header=BB4_1840 Depth=4
	v_mov_b32_e32 v160, 0
	s_mov_b32 s39, exec_lo
	v_cmpx_ne_u32_e32 0, v162
	s_cbranch_execz .LBB4_2274
; %bb.2269:                             ;   in Loop: Header=BB4_1840 Depth=4
	v_bfe_u32 v160, v162, 23, 8
	v_and_b32_e32 v161, 0x7fffff, v162
	s_delay_alu instid0(VALU_DEP_2) | instskip(SKIP_1) | instid1(VALU_DEP_3)
	v_sub_nc_u32_e32 v163, 0x78, v160
	v_cmp_gt_u32_e32 vcc_lo, 0x79, v160
	v_or_b32_e32 v164, 0x800000, v161
	s_delay_alu instid0(VALU_DEP_3) | instskip(SKIP_2) | instid1(VALU_DEP_3)
	v_cndmask_b32_e32 v163, 0, v163, vcc_lo
	v_cmp_eq_u32_e32 vcc_lo, 0, v160
	v_add_nc_u32_e32 v160, 0xffffff89, v160
	v_cndmask_b32_e64 v163, v163, 0x77, vcc_lo
	v_cndmask_b32_e32 v161, v164, v161, vcc_lo
	s_delay_alu instid0(VALU_DEP_3) | instskip(NEXT) | instid1(VALU_DEP_3)
	v_cndmask_b32_e64 v160, v160, 0xffffff8a, vcc_lo
	v_lshl_add_u32 v164, 0x100000, v163, -1
	s_delay_alu instid0(VALU_DEP_3) | instskip(SKIP_1) | instid1(VALU_DEP_4)
	v_lshrrev_b32_e32 v165, v163, v161
	v_lshlrev_b32_e64 v167, v163, 0x80000
	v_add_nc_u32_e32 v163, v163, v160
	s_delay_alu instid0(VALU_DEP_4) | instskip(NEXT) | instid1(VALU_DEP_4)
	v_and_b32_e32 v161, v164, v161
	v_bfe_u32 v166, v165, 20, 1
	s_delay_alu instid0(VALU_DEP_2) | instskip(NEXT) | instid1(VALU_DEP_2)
	v_cmp_eq_u32_e64 s14, v161, v167
	v_add_nc_u32_e32 v164, -1, v166
	s_delay_alu instid0(VALU_DEP_1) | instskip(SKIP_2) | instid1(VALU_DEP_2)
	v_cndmask_b32_e64 v161, 0, v164, s14
	v_lshrrev_b32_e32 v164, 23, v165
	s_mov_b32 s14, exec_lo
	v_add_nc_u32_e32 v161, v161, v165
	s_delay_alu instid0(VALU_DEP_2) | instskip(NEXT) | instid1(VALU_DEP_2)
	v_xor_b32_e32 v164, 1, v164
	v_and_b32_e32 v160, 0xfffff, v161
	s_delay_alu instid0(VALU_DEP_1) | instskip(NEXT) | instid1(VALU_DEP_3)
	v_add_nc_u32_e32 v161, v160, v165
                                        ; implicit-def: $vgpr160
	v_cmpx_ne_u32_e64 v163, v164
	s_xor_b32 s14, exec_lo, s14
; %bb.2270:                             ;   in Loop: Header=BB4_1840 Depth=4
	s_delay_alu instid0(VALU_DEP_2) | instskip(SKIP_2) | instid1(VALU_DEP_2)
	v_cmp_lt_u32_e32 vcc_lo, 0xffffff, v161
	v_sub_nc_u32_e32 v160, v163, v164
	v_cndmask_b32_e64 v163, 0, 1, vcc_lo
	v_add_co_ci_u32_e32 v160, vcc_lo, 0, v160, vcc_lo
	s_delay_alu instid0(VALU_DEP_2)
	v_lshrrev_b32_e32 v161, v163, v161
; %bb.2271:                             ;   in Loop: Header=BB4_1840 Depth=4
	s_and_not1_saveexec_b32 s14, s14
; %bb.2272:                             ;   in Loop: Header=BB4_1840 Depth=4
	s_delay_alu instid0(VALU_DEP_1)
	v_bfe_u32 v160, v161, 23, 1
; %bb.2273:                             ;   in Loop: Header=BB4_1840 Depth=4
	s_or_b32 exec_lo, exec_lo, s14
	v_lshrrev_b32_e32 v161, 20, v161
	s_delay_alu instid0(VALU_DEP_2) | instskip(SKIP_2) | instid1(VALU_DEP_2)
	v_cmp_gt_i32_e32 vcc_lo, 16, v160
	v_lshrrev_b32_e32 v162, 24, v162
	v_min_i32_e32 v163, 15, v160
	v_dual_cndmask_b32 v161, 7, v161 :: v_dual_and_b32 v162, 0x80, v162
	s_delay_alu instid0(VALU_DEP_1) | instskip(SKIP_1) | instid1(VALU_DEP_2)
	v_or_b32_e32 v160, v160, v161
	v_and_b32_e32 v164, 7, v161
	v_cmp_ne_u32_e32 vcc_lo, 0, v160
	v_lshlrev_b32_e32 v163, 3, v163
	s_delay_alu instid0(VALU_DEP_1) | instskip(NEXT) | instid1(VALU_DEP_1)
	v_and_b32_e32 v163, 0xf8, v163
	v_or3_b32 v161, v163, v162, v164
	s_delay_alu instid0(VALU_DEP_1)
	v_cndmask_b32_e32 v160, 0, v161, vcc_lo
.LBB4_2274:                             ;   in Loop: Header=BB4_1840 Depth=4
	s_or_b32 exec_lo, exec_lo, s39
.LBB4_2275:                             ;   in Loop: Header=BB4_1840 Depth=4
	s_delay_alu instid0(SALU_CYCLE_1)
	s_or_b32 exec_lo, exec_lo, s38
	v_lshrrev_b32_e32 v162, 24, v15
	v_lshrrev_b32_e32 v161, 24, v11
	s_and_b32 vcc_lo, exec_lo, s37
	s_cbranch_vccz .LBB4_2285
; %bb.2276:                             ;   in Loop: Header=BB4_1840 Depth=4
	s_mov_b32 s14, 0
	s_mov_b32 s39, exec_lo
                                        ; implicit-def: $sgpr38
	v_cmpx_lt_i16_e64 0x7f, v162
	s_xor_b32 s39, exec_lo, s39
	s_cbranch_execnz .LBB4_2542
; %bb.2277:                             ;   in Loop: Header=BB4_1840 Depth=4
	s_or_saveexec_b32 s39, s39
	v_mov_b32_e32 v163, s38
	s_xor_b32 exec_lo, exec_lo, s39
	s_cbranch_execnz .LBB4_2545
.LBB4_2278:                             ;   in Loop: Header=BB4_1840 Depth=4
	s_or_b32 exec_lo, exec_lo, s39
	s_and_saveexec_b32 s38, s14
	s_cbranch_execz .LBB4_2280
.LBB4_2279:                             ;   in Loop: Header=BB4_1840 Depth=4
	v_bfe_u32 v163, v15, 24, 3
	v_bfe_u32 v166, v15, 27, 4
	s_delay_alu instid0(VALU_DEP_2) | instskip(NEXT) | instid1(VALU_DEP_2)
	v_clz_i32_u32_e32 v164, v163
	v_cmp_eq_u32_e32 vcc_lo, 0, v166
	s_delay_alu instid0(VALU_DEP_2) | instskip(NEXT) | instid1(VALU_DEP_1)
	v_min_u32_e32 v164, 32, v164
	v_subrev_nc_u32_e32 v165, 28, v164
	v_sub_nc_u32_e32 v164, 29, v164
	s_delay_alu instid0(VALU_DEP_1) | instskip(NEXT) | instid1(VALU_DEP_1)
	v_dual_cndmask_b32 v164, v166, v164 :: v_dual_lshlrev_b32 v165, v165, v162
	v_and_b32_e32 v165, 7, v165
	s_delay_alu instid0(VALU_DEP_2) | instskip(NEXT) | instid1(VALU_DEP_2)
	v_lshl_add_u32 v164, v164, 23, 0x3b800000
	v_cndmask_b32_e32 v163, v163, v165, vcc_lo
	v_and_b32_e32 v165, 0x80000000, v15
	s_delay_alu instid0(VALU_DEP_2) | instskip(NEXT) | instid1(VALU_DEP_1)
	v_lshlrev_b32_e32 v163, 20, v163
	v_or3_b32 v163, v165, v164, v163
.LBB4_2280:                             ;   in Loop: Header=BB4_1840 Depth=4
	s_or_b32 exec_lo, exec_lo, s38
	s_mov_b32 s14, 0
	s_mov_b32 s39, exec_lo
                                        ; implicit-def: $sgpr38
	v_cmpx_lt_i16_e64 0x7f, v161
	s_xor_b32 s39, exec_lo, s39
	s_cbranch_execnz .LBB4_2546
; %bb.2281:                             ;   in Loop: Header=BB4_1840 Depth=4
	s_or_saveexec_b32 s39, s39
	v_mov_b32_e32 v164, s38
	s_xor_b32 exec_lo, exec_lo, s39
	s_cbranch_execnz .LBB4_2549
.LBB4_2282:                             ;   in Loop: Header=BB4_1840 Depth=4
	s_or_b32 exec_lo, exec_lo, s39
	s_and_saveexec_b32 s38, s14
	s_cbranch_execz .LBB4_2284
.LBB4_2283:                             ;   in Loop: Header=BB4_1840 Depth=4
	v_bfe_u32 v164, v11, 24, 3
	v_bfe_u32 v167, v11, 27, 4
	s_delay_alu instid0(VALU_DEP_2) | instskip(NEXT) | instid1(VALU_DEP_2)
	v_clz_i32_u32_e32 v165, v164
	v_cmp_eq_u32_e32 vcc_lo, 0, v167
	s_delay_alu instid0(VALU_DEP_2) | instskip(NEXT) | instid1(VALU_DEP_1)
	v_min_u32_e32 v165, 32, v165
	v_subrev_nc_u32_e32 v166, 28, v165
	v_sub_nc_u32_e32 v165, 29, v165
	s_delay_alu instid0(VALU_DEP_2) | instskip(NEXT) | instid1(VALU_DEP_1)
	v_lshlrev_b32_e32 v166, v166, v161
	v_dual_cndmask_b32 v165, v167, v165 :: v_dual_and_b32 v166, 7, v166
	s_delay_alu instid0(VALU_DEP_1) | instskip(NEXT) | instid1(VALU_DEP_2)
	v_lshl_add_u32 v165, v165, 23, 0x3b800000
	v_cndmask_b32_e32 v164, v164, v166, vcc_lo
	v_and_b32_e32 v166, 0x80000000, v11
	s_delay_alu instid0(VALU_DEP_2) | instskip(NEXT) | instid1(VALU_DEP_1)
	v_lshlrev_b32_e32 v164, 20, v164
	v_or3_b32 v164, v166, v165, v164
.LBB4_2284:                             ;   in Loop: Header=BB4_1840 Depth=4
	s_or_b32 exec_lo, exec_lo, s38
	s_delay_alu instid0(VALU_DEP_1) | instskip(SKIP_1) | instid1(VALU_DEP_1)
	v_dual_max_f32 v164, v164, v164 :: v_dual_max_f32 v163, v163, v163
	s_mov_b32 s14, 0
	v_max_f32_e32 v163, v163, v164
	s_branch .LBB4_2286
.LBB4_2285:                             ;   in Loop: Header=BB4_1840 Depth=4
	s_mov_b32 s14, -1
                                        ; implicit-def: $vgpr163
.LBB4_2286:                             ;   in Loop: Header=BB4_1840 Depth=4
	s_delay_alu instid0(SALU_CYCLE_1)
	s_and_b32 vcc_lo, exec_lo, s14
	s_cbranch_vccz .LBB4_2296
; %bb.2287:                             ;   in Loop: Header=BB4_1840 Depth=4
	s_mov_b32 s14, 0
	s_mov_b32 s39, exec_lo
                                        ; implicit-def: $sgpr38
	v_cmpx_lt_i16_e64 0x7f, v162
	s_xor_b32 s39, exec_lo, s39
	s_cbranch_execnz .LBB4_2550
; %bb.2288:                             ;   in Loop: Header=BB4_1840 Depth=4
	s_or_saveexec_b32 s39, s39
	v_mov_b32_e32 v163, s38
	s_xor_b32 exec_lo, exec_lo, s39
	s_cbranch_execnz .LBB4_2553
.LBB4_2289:                             ;   in Loop: Header=BB4_1840 Depth=4
	s_or_b32 exec_lo, exec_lo, s39
	s_and_saveexec_b32 s38, s14
	s_cbranch_execz .LBB4_2291
.LBB4_2290:                             ;   in Loop: Header=BB4_1840 Depth=4
	v_bfe_u32 v163, v15, 24, 3
	s_delay_alu instid0(VALU_DEP_1) | instskip(NEXT) | instid1(VALU_DEP_1)
	v_clz_i32_u32_e32 v164, v163
	v_min_u32_e32 v164, 32, v164
	s_delay_alu instid0(VALU_DEP_1) | instskip(SKIP_1) | instid1(VALU_DEP_2)
	v_subrev_nc_u32_e32 v165, 28, v164
	v_sub_nc_u32_e32 v164, 29, v164
	v_lshlrev_b32_e32 v162, v165, v162
	v_bfe_u32 v165, v15, 27, 4
	v_and_b32_e32 v15, 0x80000000, v15
	s_delay_alu instid0(VALU_DEP_3) | instskip(NEXT) | instid1(VALU_DEP_3)
	v_and_b32_e32 v162, 7, v162
	v_cmp_eq_u32_e32 vcc_lo, 0, v165
	v_cndmask_b32_e32 v164, v165, v164, vcc_lo
	s_delay_alu instid0(VALU_DEP_3) | instskip(NEXT) | instid1(VALU_DEP_2)
	v_cndmask_b32_e32 v162, v163, v162, vcc_lo
	v_lshl_add_u32 v163, v164, 23, 0x3b800000
	s_delay_alu instid0(VALU_DEP_2) | instskip(NEXT) | instid1(VALU_DEP_1)
	v_lshlrev_b32_e32 v162, 20, v162
	v_or3_b32 v163, v15, v163, v162
.LBB4_2291:                             ;   in Loop: Header=BB4_1840 Depth=4
	s_or_b32 exec_lo, exec_lo, s38
	s_mov_b32 s14, 0
	s_mov_b32 s39, exec_lo
                                        ; implicit-def: $sgpr38
	v_cmpx_lt_i16_e64 0x7f, v161
	s_xor_b32 s39, exec_lo, s39
	s_cbranch_execnz .LBB4_2554
; %bb.2292:                             ;   in Loop: Header=BB4_1840 Depth=4
	s_or_saveexec_b32 s39, s39
	v_mov_b32_e32 v15, s38
	s_xor_b32 exec_lo, exec_lo, s39
	s_cbranch_execnz .LBB4_2557
.LBB4_2293:                             ;   in Loop: Header=BB4_1840 Depth=4
	s_or_b32 exec_lo, exec_lo, s39
	s_and_saveexec_b32 s38, s14
	s_cbranch_execz .LBB4_2295
.LBB4_2294:                             ;   in Loop: Header=BB4_1840 Depth=4
	v_bfe_u32 v15, v11, 24, 3
	s_delay_alu instid0(VALU_DEP_1) | instskip(NEXT) | instid1(VALU_DEP_1)
	v_clz_i32_u32_e32 v162, v15
	v_min_u32_e32 v162, 32, v162
	s_delay_alu instid0(VALU_DEP_1) | instskip(SKIP_1) | instid1(VALU_DEP_2)
	v_subrev_nc_u32_e32 v164, 28, v162
	v_sub_nc_u32_e32 v162, 29, v162
	v_lshlrev_b32_e32 v161, v164, v161
	v_bfe_u32 v164, v11, 27, 4
	v_and_b32_e32 v11, 0x80000000, v11
	s_delay_alu instid0(VALU_DEP_2) | instskip(NEXT) | instid1(VALU_DEP_4)
	v_cmp_eq_u32_e32 vcc_lo, 0, v164
	v_dual_cndmask_b32 v162, v164, v162 :: v_dual_and_b32 v161, 7, v161
	s_delay_alu instid0(VALU_DEP_1) | instskip(NEXT) | instid1(VALU_DEP_2)
	v_cndmask_b32_e32 v15, v15, v161, vcc_lo
	v_lshl_add_u32 v161, v162, 23, 0x3b800000
	s_delay_alu instid0(VALU_DEP_2) | instskip(NEXT) | instid1(VALU_DEP_1)
	v_lshlrev_b32_e32 v15, 20, v15
	v_or3_b32 v15, v11, v161, v15
.LBB4_2295:                             ;   in Loop: Header=BB4_1840 Depth=4
	s_or_b32 exec_lo, exec_lo, s38
	s_delay_alu instid0(VALU_DEP_1) | instskip(SKIP_1) | instid1(VALU_DEP_1)
	v_max_f32_e32 v11, v15, v15
	v_max_f32_e32 v15, v163, v163
	v_min_f32_e32 v163, v15, v11
.LBB4_2296:                             ;   in Loop: Header=BB4_1840 Depth=4
	s_delay_alu instid0(VALU_DEP_1) | instskip(NEXT) | instid1(VALU_DEP_1)
	v_and_b32_e32 v11, 0x7f800000, v163
	v_cmp_ne_u32_e32 vcc_lo, 0x7f800000, v11
	v_mov_b32_e32 v11, 0x8000
	s_and_saveexec_b32 s38, vcc_lo
	s_cbranch_execz .LBB4_1839
; %bb.2297:                             ;   in Loop: Header=BB4_1840 Depth=4
	v_mov_b32_e32 v11, 0
	s_mov_b32 s39, exec_lo
	v_cmpx_ne_u32_e32 0, v163
	s_cbranch_execz .LBB4_1838
; %bb.2298:                             ;   in Loop: Header=BB4_1840 Depth=4
	v_bfe_u32 v11, v163, 23, 8
	v_and_b32_e32 v15, 0x7fffff, v163
	s_delay_alu instid0(VALU_DEP_2) | instskip(SKIP_1) | instid1(VALU_DEP_3)
	v_sub_nc_u32_e32 v161, 0x78, v11
	v_cmp_gt_u32_e32 vcc_lo, 0x79, v11
	v_or_b32_e32 v162, 0x800000, v15
	s_delay_alu instid0(VALU_DEP_3) | instskip(SKIP_2) | instid1(VALU_DEP_3)
	v_cndmask_b32_e32 v161, 0, v161, vcc_lo
	v_cmp_eq_u32_e32 vcc_lo, 0, v11
	v_add_nc_u32_e32 v11, 0xffffff89, v11
	v_cndmask_b32_e64 v161, v161, 0x77, vcc_lo
	v_cndmask_b32_e32 v15, v162, v15, vcc_lo
	s_delay_alu instid0(VALU_DEP_3) | instskip(NEXT) | instid1(VALU_DEP_3)
	v_cndmask_b32_e64 v11, v11, 0xffffff8a, vcc_lo
	v_lshl_add_u32 v162, 0x100000, v161, -1
	s_delay_alu instid0(VALU_DEP_3) | instskip(SKIP_1) | instid1(VALU_DEP_4)
	v_lshrrev_b32_e32 v164, v161, v15
	v_lshlrev_b32_e64 v166, v161, 0x80000
	v_add_nc_u32_e32 v161, v161, v11
	s_delay_alu instid0(VALU_DEP_4) | instskip(NEXT) | instid1(VALU_DEP_4)
	v_and_b32_e32 v15, v162, v15
	v_bfe_u32 v165, v164, 20, 1
	s_delay_alu instid0(VALU_DEP_2) | instskip(NEXT) | instid1(VALU_DEP_2)
	v_cmp_eq_u32_e64 s14, v15, v166
	v_add_nc_u32_e32 v162, -1, v165
	s_delay_alu instid0(VALU_DEP_1) | instskip(SKIP_2) | instid1(VALU_DEP_2)
	v_cndmask_b32_e64 v15, 0, v162, s14
	v_lshrrev_b32_e32 v162, 23, v164
	s_mov_b32 s14, exec_lo
	v_add_nc_u32_e32 v15, v15, v164
	s_delay_alu instid0(VALU_DEP_2) | instskip(NEXT) | instid1(VALU_DEP_2)
	v_xor_b32_e32 v162, 1, v162
	v_and_b32_e32 v11, 0xfffff, v15
	s_delay_alu instid0(VALU_DEP_1) | instskip(NEXT) | instid1(VALU_DEP_3)
	v_add_nc_u32_e32 v15, v11, v164
                                        ; implicit-def: $vgpr11
	v_cmpx_ne_u32_e64 v161, v162
	s_xor_b32 s14, exec_lo, s14
; %bb.2299:                             ;   in Loop: Header=BB4_1840 Depth=4
	s_delay_alu instid0(VALU_DEP_2) | instskip(SKIP_2) | instid1(VALU_DEP_2)
	v_cmp_lt_u32_e32 vcc_lo, 0xffffff, v15
	v_sub_nc_u32_e32 v11, v161, v162
	v_cndmask_b32_e64 v161, 0, 1, vcc_lo
	v_add_co_ci_u32_e32 v11, vcc_lo, 0, v11, vcc_lo
	s_delay_alu instid0(VALU_DEP_2)
	v_lshrrev_b32_e32 v15, v161, v15
; %bb.2300:                             ;   in Loop: Header=BB4_1840 Depth=4
	s_and_not1_saveexec_b32 s14, s14
	s_cbranch_execz .LBB4_1837
; %bb.2301:                             ;   in Loop: Header=BB4_1840 Depth=4
	s_delay_alu instid0(VALU_DEP_1)
	v_bfe_u32 v11, v15, 23, 1
	s_branch .LBB4_1837
.LBB4_2302:                             ;   in Loop: Header=BB4_1840 Depth=4
	s_mov_b32 s14, -1
	s_mov_b32 s40, exec_lo
                                        ; implicit-def: $sgpr38
	v_cmpx_eq_u16_e32 0x80, v84
; %bb.2303:                             ;   in Loop: Header=BB4_1840 Depth=4
	s_mov_b32 s38, 0x7f800001
	s_xor_b32 s14, exec_lo, -1
; %bb.2304:                             ;   in Loop: Header=BB4_1840 Depth=4
	s_or_b32 exec_lo, exec_lo, s40
	s_delay_alu instid0(SALU_CYCLE_1)
	s_and_b32 s14, s14, exec_lo
                                        ; implicit-def: $vgpr84
	s_or_saveexec_b32 s39, s39
	v_mov_b32_e32 v83, s38
	s_xor_b32 exec_lo, exec_lo, s39
	s_cbranch_execz .LBB4_1843
.LBB4_2305:                             ;   in Loop: Header=BB4_1840 Depth=4
	v_cmp_ne_u16_e32 vcc_lo, 0, v84
	v_mov_b32_e32 v83, 0
	s_and_not1_b32 s14, s14, exec_lo
	s_and_b32 vcc_lo, vcc_lo, exec_lo
	s_delay_alu instid0(SALU_CYCLE_1)
	s_or_b32 s14, s14, vcc_lo
	s_or_b32 exec_lo, exec_lo, s39
	s_and_saveexec_b32 s38, s14
	s_cbranch_execnz .LBB4_1844
	s_branch .LBB4_1845
.LBB4_2306:                             ;   in Loop: Header=BB4_1840 Depth=4
	s_mov_b32 s14, -1
	s_mov_b32 s40, exec_lo
                                        ; implicit-def: $sgpr38
	v_cmpx_eq_u16_e32 0x80, v85
; %bb.2307:                             ;   in Loop: Header=BB4_1840 Depth=4
	s_mov_b32 s38, 0x7f800001
	s_xor_b32 s14, exec_lo, -1
; %bb.2308:                             ;   in Loop: Header=BB4_1840 Depth=4
	s_or_b32 exec_lo, exec_lo, s40
	s_delay_alu instid0(SALU_CYCLE_1)
	s_and_b32 s14, s14, exec_lo
                                        ; implicit-def: $vgpr85
	s_or_saveexec_b32 s39, s39
	v_mov_b32_e32 v84, s38
	s_xor_b32 exec_lo, exec_lo, s39
	s_cbranch_execz .LBB4_1847
.LBB4_2309:                             ;   in Loop: Header=BB4_1840 Depth=4
	v_cmp_ne_u16_e32 vcc_lo, 0, v85
	v_mov_b32_e32 v84, 0
	s_and_not1_b32 s14, s14, exec_lo
	s_and_b32 vcc_lo, vcc_lo, exec_lo
	s_delay_alu instid0(SALU_CYCLE_1)
	s_or_b32 s14, s14, vcc_lo
	s_or_b32 exec_lo, exec_lo, s39
	s_and_saveexec_b32 s38, s14
	s_cbranch_execnz .LBB4_1848
	s_branch .LBB4_1849
.LBB4_2310:                             ;   in Loop: Header=BB4_1840 Depth=4
	s_mov_b32 s14, -1
	s_mov_b32 s40, exec_lo
                                        ; implicit-def: $sgpr38
	v_cmpx_eq_u16_e32 0x80, v84
; %bb.2311:                             ;   in Loop: Header=BB4_1840 Depth=4
	s_mov_b32 s38, 0x7f800001
	s_xor_b32 s14, exec_lo, -1
; %bb.2312:                             ;   in Loop: Header=BB4_1840 Depth=4
	s_or_b32 exec_lo, exec_lo, s40
	s_delay_alu instid0(SALU_CYCLE_1)
	s_and_b32 s14, s14, exec_lo
                                        ; implicit-def: $vgpr84
	s_or_saveexec_b32 s39, s39
	v_mov_b32_e32 v83, s38
	s_xor_b32 exec_lo, exec_lo, s39
	s_cbranch_execz .LBB4_1854
.LBB4_2313:                             ;   in Loop: Header=BB4_1840 Depth=4
	v_cmp_ne_u16_e32 vcc_lo, 0, v84
	v_mov_b32_e32 v83, 0
	s_and_not1_b32 s14, s14, exec_lo
	s_and_b32 vcc_lo, vcc_lo, exec_lo
	s_delay_alu instid0(SALU_CYCLE_1)
	s_or_b32 s14, s14, vcc_lo
	s_or_b32 exec_lo, exec_lo, s39
	s_and_saveexec_b32 s38, s14
	s_cbranch_execnz .LBB4_1855
	s_branch .LBB4_1856
.LBB4_2314:                             ;   in Loop: Header=BB4_1840 Depth=4
	s_mov_b32 s14, -1
	s_mov_b32 s40, exec_lo
                                        ; implicit-def: $sgpr38
	v_cmpx_eq_u16_e32 0x80, v85
; %bb.2315:                             ;   in Loop: Header=BB4_1840 Depth=4
	s_mov_b32 s38, 0x7f800001
	s_xor_b32 s14, exec_lo, -1
; %bb.2316:                             ;   in Loop: Header=BB4_1840 Depth=4
	s_or_b32 exec_lo, exec_lo, s40
	s_delay_alu instid0(SALU_CYCLE_1)
	s_and_b32 s14, s14, exec_lo
                                        ; implicit-def: $vgpr85
	s_or_saveexec_b32 s39, s39
	v_mov_b32_e32 v84, s38
	s_xor_b32 exec_lo, exec_lo, s39
	s_cbranch_execz .LBB4_1858
.LBB4_2317:                             ;   in Loop: Header=BB4_1840 Depth=4
	v_cmp_ne_u16_e32 vcc_lo, 0, v85
	v_mov_b32_e32 v84, 0
	s_and_not1_b32 s14, s14, exec_lo
	s_and_b32 vcc_lo, vcc_lo, exec_lo
	s_delay_alu instid0(SALU_CYCLE_1)
	s_or_b32 s14, s14, vcc_lo
	s_or_b32 exec_lo, exec_lo, s39
	s_and_saveexec_b32 s38, s14
	s_cbranch_execnz .LBB4_1859
	s_branch .LBB4_1860
.LBB4_2318:                             ;   in Loop: Header=BB4_1840 Depth=4
	s_mov_b32 s14, -1
	s_mov_b32 s40, exec_lo
                                        ; implicit-def: $sgpr38
	v_cmpx_eq_u16_e32 0x80, v85
; %bb.2319:                             ;   in Loop: Header=BB4_1840 Depth=4
	s_mov_b32 s38, 0x7f800001
	s_xor_b32 s14, exec_lo, -1
; %bb.2320:                             ;   in Loop: Header=BB4_1840 Depth=4
	s_or_b32 exec_lo, exec_lo, s40
	s_delay_alu instid0(SALU_CYCLE_1)
	s_and_b32 s14, s14, exec_lo
	s_or_saveexec_b32 s39, s39
	v_mov_b32_e32 v147, s38
	s_xor_b32 exec_lo, exec_lo, s39
	s_cbranch_execz .LBB4_1872
.LBB4_2321:                             ;   in Loop: Header=BB4_1840 Depth=4
	v_cmp_ne_u16_e32 vcc_lo, 0, v85
	v_mov_b32_e32 v147, 0
	s_and_not1_b32 s14, s14, exec_lo
	s_and_b32 vcc_lo, vcc_lo, exec_lo
	s_delay_alu instid0(SALU_CYCLE_1)
	s_or_b32 s14, s14, vcc_lo
	s_or_b32 exec_lo, exec_lo, s39
	s_and_saveexec_b32 s38, s14
	s_cbranch_execnz .LBB4_1873
	s_branch .LBB4_1874
.LBB4_2322:                             ;   in Loop: Header=BB4_1840 Depth=4
	s_mov_b32 s14, -1
	s_mov_b32 s40, exec_lo
                                        ; implicit-def: $sgpr38
	v_cmpx_eq_u16_e32 0x80, v84
; %bb.2323:                             ;   in Loop: Header=BB4_1840 Depth=4
	s_mov_b32 s38, 0x7f800001
	s_xor_b32 s14, exec_lo, -1
; %bb.2324:                             ;   in Loop: Header=BB4_1840 Depth=4
	s_or_b32 exec_lo, exec_lo, s40
	s_delay_alu instid0(SALU_CYCLE_1)
	s_and_b32 s14, s14, exec_lo
	s_or_saveexec_b32 s39, s39
	v_mov_b32_e32 v148, s38
	s_xor_b32 exec_lo, exec_lo, s39
	s_cbranch_execz .LBB4_1876
.LBB4_2325:                             ;   in Loop: Header=BB4_1840 Depth=4
	v_cmp_ne_u16_e32 vcc_lo, 0, v84
	v_mov_b32_e32 v148, 0
	s_and_not1_b32 s14, s14, exec_lo
	s_and_b32 vcc_lo, vcc_lo, exec_lo
	s_delay_alu instid0(SALU_CYCLE_1)
	s_or_b32 s14, s14, vcc_lo
	s_or_b32 exec_lo, exec_lo, s39
	s_and_saveexec_b32 s38, s14
	s_cbranch_execnz .LBB4_1877
	s_branch .LBB4_1878
.LBB4_2326:                             ;   in Loop: Header=BB4_1840 Depth=4
	s_mov_b32 s14, -1
	s_mov_b32 s40, exec_lo
                                        ; implicit-def: $sgpr38
	v_cmpx_eq_u16_e32 0x80, v85
; %bb.2327:                             ;   in Loop: Header=BB4_1840 Depth=4
	s_mov_b32 s38, 0x7f800001
	s_xor_b32 s14, exec_lo, -1
; %bb.2328:                             ;   in Loop: Header=BB4_1840 Depth=4
	s_or_b32 exec_lo, exec_lo, s40
	s_delay_alu instid0(SALU_CYCLE_1)
	s_and_b32 s14, s14, exec_lo
	s_or_saveexec_b32 s39, s39
	v_mov_b32_e32 v147, s38
	s_xor_b32 exec_lo, exec_lo, s39
	s_cbranch_execz .LBB4_1883
.LBB4_2329:                             ;   in Loop: Header=BB4_1840 Depth=4
	v_cmp_ne_u16_e32 vcc_lo, 0, v85
	v_mov_b32_e32 v147, 0
	s_and_not1_b32 s14, s14, exec_lo
	s_and_b32 vcc_lo, vcc_lo, exec_lo
	s_delay_alu instid0(SALU_CYCLE_1)
	s_or_b32 s14, s14, vcc_lo
	s_or_b32 exec_lo, exec_lo, s39
	s_and_saveexec_b32 s38, s14
	s_cbranch_execnz .LBB4_1884
	s_branch .LBB4_1885
.LBB4_2330:                             ;   in Loop: Header=BB4_1840 Depth=4
	s_mov_b32 s14, -1
	s_mov_b32 s40, exec_lo
                                        ; implicit-def: $sgpr38
	v_cmpx_eq_u16_e32 0x80, v84
; %bb.2331:                             ;   in Loop: Header=BB4_1840 Depth=4
	s_mov_b32 s38, 0x7f800001
	s_xor_b32 s14, exec_lo, -1
; %bb.2332:                             ;   in Loop: Header=BB4_1840 Depth=4
	s_or_b32 exec_lo, exec_lo, s40
	s_delay_alu instid0(SALU_CYCLE_1)
	s_and_b32 s14, s14, exec_lo
	s_or_saveexec_b32 s39, s39
	v_mov_b32_e32 v85, s38
	s_xor_b32 exec_lo, exec_lo, s39
	s_cbranch_execz .LBB4_1887
.LBB4_2333:                             ;   in Loop: Header=BB4_1840 Depth=4
	v_cmp_ne_u16_e32 vcc_lo, 0, v84
	v_mov_b32_e32 v85, 0
	s_and_not1_b32 s14, s14, exec_lo
	s_and_b32 vcc_lo, vcc_lo, exec_lo
	s_delay_alu instid0(SALU_CYCLE_1)
	s_or_b32 s14, s14, vcc_lo
	s_or_b32 exec_lo, exec_lo, s39
	s_and_saveexec_b32 s38, s14
	s_cbranch_execnz .LBB4_1888
	s_branch .LBB4_1889
.LBB4_2334:                             ;   in Loop: Header=BB4_1840 Depth=4
	s_mov_b32 s14, -1
	s_mov_b32 s40, exec_lo
                                        ; implicit-def: $sgpr38
	v_cmpx_eq_u16_e64 0x80, v149
; %bb.2335:                             ;   in Loop: Header=BB4_1840 Depth=4
	s_mov_b32 s38, 0x7f800001
	s_xor_b32 s14, exec_lo, -1
; %bb.2336:                             ;   in Loop: Header=BB4_1840 Depth=4
	s_or_b32 exec_lo, exec_lo, s40
	s_delay_alu instid0(SALU_CYCLE_1)
	s_and_b32 s14, s14, exec_lo
                                        ; implicit-def: $vgpr149
	s_or_saveexec_b32 s39, s39
	v_mov_b32_e32 v148, s38
	s_xor_b32 exec_lo, exec_lo, s39
	s_cbranch_execz .LBB4_1901
.LBB4_2337:                             ;   in Loop: Header=BB4_1840 Depth=4
	v_cmp_ne_u16_e64 vcc_lo, 0, v149
	v_mov_b32_e32 v148, 0
	s_and_not1_b32 s14, s14, exec_lo
	s_delay_alu instid0(VALU_DEP_2) | instskip(NEXT) | instid1(SALU_CYCLE_1)
	s_and_b32 vcc_lo, vcc_lo, exec_lo
	s_or_b32 s14, s14, vcc_lo
	s_or_b32 exec_lo, exec_lo, s39
	s_and_saveexec_b32 s38, s14
	s_cbranch_execnz .LBB4_1902
	s_branch .LBB4_1903
.LBB4_2338:                             ;   in Loop: Header=BB4_1840 Depth=4
	s_mov_b32 s14, -1
	s_mov_b32 s40, exec_lo
                                        ; implicit-def: $sgpr38
	v_cmpx_eq_u16_e64 0x80, v150
; %bb.2339:                             ;   in Loop: Header=BB4_1840 Depth=4
	s_mov_b32 s38, 0x7f800001
	s_xor_b32 s14, exec_lo, -1
; %bb.2340:                             ;   in Loop: Header=BB4_1840 Depth=4
	s_or_b32 exec_lo, exec_lo, s40
	s_delay_alu instid0(SALU_CYCLE_1)
	s_and_b32 s14, s14, exec_lo
                                        ; implicit-def: $vgpr150
	s_or_saveexec_b32 s39, s39
	v_mov_b32_e32 v149, s38
	s_xor_b32 exec_lo, exec_lo, s39
	s_cbranch_execz .LBB4_1905
.LBB4_2341:                             ;   in Loop: Header=BB4_1840 Depth=4
	v_cmp_ne_u16_e64 vcc_lo, 0, v150
	v_mov_b32_e32 v149, 0
	s_and_not1_b32 s14, s14, exec_lo
	s_delay_alu instid0(VALU_DEP_2) | instskip(NEXT) | instid1(SALU_CYCLE_1)
	s_and_b32 vcc_lo, vcc_lo, exec_lo
	s_or_b32 s14, s14, vcc_lo
	s_or_b32 exec_lo, exec_lo, s39
	s_and_saveexec_b32 s38, s14
	s_cbranch_execnz .LBB4_1906
	s_branch .LBB4_1907
.LBB4_2342:                             ;   in Loop: Header=BB4_1840 Depth=4
	s_mov_b32 s14, -1
	s_mov_b32 s40, exec_lo
                                        ; implicit-def: $sgpr38
	v_cmpx_eq_u16_e64 0x80, v149
; %bb.2343:                             ;   in Loop: Header=BB4_1840 Depth=4
	s_mov_b32 s38, 0x7f800001
	s_xor_b32 s14, exec_lo, -1
; %bb.2344:                             ;   in Loop: Header=BB4_1840 Depth=4
	s_or_b32 exec_lo, exec_lo, s40
	s_delay_alu instid0(SALU_CYCLE_1)
	s_and_b32 s14, s14, exec_lo
                                        ; implicit-def: $vgpr149
	s_or_saveexec_b32 s39, s39
	v_mov_b32_e32 v148, s38
	s_xor_b32 exec_lo, exec_lo, s39
	s_cbranch_execz .LBB4_1912
.LBB4_2345:                             ;   in Loop: Header=BB4_1840 Depth=4
	v_cmp_ne_u16_e64 vcc_lo, 0, v149
	v_mov_b32_e32 v148, 0
	s_and_not1_b32 s14, s14, exec_lo
	s_delay_alu instid0(VALU_DEP_2) | instskip(NEXT) | instid1(SALU_CYCLE_1)
	s_and_b32 vcc_lo, vcc_lo, exec_lo
	s_or_b32 s14, s14, vcc_lo
	s_or_b32 exec_lo, exec_lo, s39
	s_and_saveexec_b32 s38, s14
	s_cbranch_execnz .LBB4_1913
	s_branch .LBB4_1914
.LBB4_2346:                             ;   in Loop: Header=BB4_1840 Depth=4
	s_mov_b32 s14, -1
	s_mov_b32 s40, exec_lo
                                        ; implicit-def: $sgpr38
	v_cmpx_eq_u16_e64 0x80, v149
; %bb.2347:                             ;   in Loop: Header=BB4_1840 Depth=4
	s_mov_b32 s38, 0x7f800001
	s_xor_b32 s14, exec_lo, -1
; %bb.2348:                             ;   in Loop: Header=BB4_1840 Depth=4
	s_or_b32 exec_lo, exec_lo, s40
	s_delay_alu instid0(SALU_CYCLE_1)
	s_and_b32 s14, s14, exec_lo
                                        ; implicit-def: $vgpr149
	s_or_saveexec_b32 s39, s39
	v_mov_b32_e32 v147, s38
	s_xor_b32 exec_lo, exec_lo, s39
	s_cbranch_execz .LBB4_1916
.LBB4_2349:                             ;   in Loop: Header=BB4_1840 Depth=4
	v_cmp_ne_u16_e64 vcc_lo, 0, v149
	v_mov_b32_e32 v147, 0
	s_and_not1_b32 s14, s14, exec_lo
	s_delay_alu instid0(VALU_DEP_2) | instskip(NEXT) | instid1(SALU_CYCLE_1)
	s_and_b32 vcc_lo, vcc_lo, exec_lo
	s_or_b32 s14, s14, vcc_lo
	s_or_b32 exec_lo, exec_lo, s39
	s_and_saveexec_b32 s38, s14
	s_cbranch_execnz .LBB4_1917
	s_branch .LBB4_1918
.LBB4_2350:                             ;   in Loop: Header=BB4_1840 Depth=4
	s_mov_b32 s14, -1
	s_mov_b32 s40, exec_lo
                                        ; implicit-def: $sgpr38
	v_cmpx_eq_u16_e64 0x80, v148
; %bb.2351:                             ;   in Loop: Header=BB4_1840 Depth=4
	s_mov_b32 s38, 0x7f800001
	s_xor_b32 s14, exec_lo, -1
; %bb.2352:                             ;   in Loop: Header=BB4_1840 Depth=4
	s_or_b32 exec_lo, exec_lo, s40
	s_delay_alu instid0(SALU_CYCLE_1)
	s_and_b32 s14, s14, exec_lo
	s_or_saveexec_b32 s39, s39
	v_mov_b32_e32 v149, s38
	s_xor_b32 exec_lo, exec_lo, s39
	s_cbranch_execz .LBB4_1930
.LBB4_2353:                             ;   in Loop: Header=BB4_1840 Depth=4
	v_cmp_ne_u16_e64 vcc_lo, 0, v148
	v_mov_b32_e32 v149, 0
	s_and_not1_b32 s14, s14, exec_lo
	s_delay_alu instid0(VALU_DEP_2) | instskip(NEXT) | instid1(SALU_CYCLE_1)
	s_and_b32 vcc_lo, vcc_lo, exec_lo
	s_or_b32 s14, s14, vcc_lo
	s_or_b32 exec_lo, exec_lo, s39
	s_and_saveexec_b32 s38, s14
	s_cbranch_execnz .LBB4_1931
	s_branch .LBB4_1932
.LBB4_2354:                             ;   in Loop: Header=BB4_1840 Depth=4
	s_mov_b32 s14, -1
	s_mov_b32 s40, exec_lo
                                        ; implicit-def: $sgpr38
	v_cmpx_eq_u16_e64 0x80, v147
; %bb.2355:                             ;   in Loop: Header=BB4_1840 Depth=4
	s_mov_b32 s38, 0x7f800001
	s_xor_b32 s14, exec_lo, -1
; %bb.2356:                             ;   in Loop: Header=BB4_1840 Depth=4
	s_or_b32 exec_lo, exec_lo, s40
	s_delay_alu instid0(SALU_CYCLE_1)
	s_and_b32 s14, s14, exec_lo
	s_or_saveexec_b32 s39, s39
	v_mov_b32_e32 v150, s38
	s_xor_b32 exec_lo, exec_lo, s39
	s_cbranch_execz .LBB4_1934
.LBB4_2357:                             ;   in Loop: Header=BB4_1840 Depth=4
	v_cmp_ne_u16_e64 vcc_lo, 0, v147
	v_mov_b32_e32 v150, 0
	s_and_not1_b32 s14, s14, exec_lo
	s_delay_alu instid0(VALU_DEP_2) | instskip(NEXT) | instid1(SALU_CYCLE_1)
	s_and_b32 vcc_lo, vcc_lo, exec_lo
	s_or_b32 s14, s14, vcc_lo
	s_or_b32 exec_lo, exec_lo, s39
	s_and_saveexec_b32 s38, s14
	s_cbranch_execnz .LBB4_1935
	s_branch .LBB4_1936
.LBB4_2358:                             ;   in Loop: Header=BB4_1840 Depth=4
	s_mov_b32 s14, -1
	s_mov_b32 s40, exec_lo
                                        ; implicit-def: $sgpr38
	v_cmpx_eq_u16_e64 0x80, v148
; %bb.2359:                             ;   in Loop: Header=BB4_1840 Depth=4
	s_mov_b32 s38, 0x7f800001
	s_xor_b32 s14, exec_lo, -1
; %bb.2360:                             ;   in Loop: Header=BB4_1840 Depth=4
	s_or_b32 exec_lo, exec_lo, s40
	s_delay_alu instid0(SALU_CYCLE_1)
	s_and_b32 s14, s14, exec_lo
	s_or_saveexec_b32 s39, s39
	v_mov_b32_e32 v149, s38
	s_xor_b32 exec_lo, exec_lo, s39
	s_cbranch_execz .LBB4_1941
.LBB4_2361:                             ;   in Loop: Header=BB4_1840 Depth=4
	v_cmp_ne_u16_e64 vcc_lo, 0, v148
	v_mov_b32_e32 v149, 0
	s_and_not1_b32 s14, s14, exec_lo
	s_delay_alu instid0(VALU_DEP_2) | instskip(NEXT) | instid1(SALU_CYCLE_1)
	s_and_b32 vcc_lo, vcc_lo, exec_lo
	s_or_b32 s14, s14, vcc_lo
	s_or_b32 exec_lo, exec_lo, s39
	s_and_saveexec_b32 s38, s14
	s_cbranch_execnz .LBB4_1942
	s_branch .LBB4_1943
.LBB4_2362:                             ;   in Loop: Header=BB4_1840 Depth=4
	s_mov_b32 s14, -1
	s_mov_b32 s40, exec_lo
                                        ; implicit-def: $sgpr38
	v_cmpx_eq_u16_e64 0x80, v147
; %bb.2363:                             ;   in Loop: Header=BB4_1840 Depth=4
	s_mov_b32 s38, 0x7f800001
	s_xor_b32 s14, exec_lo, -1
; %bb.2364:                             ;   in Loop: Header=BB4_1840 Depth=4
	s_or_b32 exec_lo, exec_lo, s40
	s_delay_alu instid0(SALU_CYCLE_1)
	s_and_b32 s14, s14, exec_lo
	s_or_saveexec_b32 s39, s39
	v_mov_b32_e32 v12, s38
	s_xor_b32 exec_lo, exec_lo, s39
	s_cbranch_execz .LBB4_1945
.LBB4_2365:                             ;   in Loop: Header=BB4_1840 Depth=4
	v_cmp_ne_u16_e64 vcc_lo, 0, v147
	v_mov_b32_e32 v12, 0
	s_and_not1_b32 s14, s14, exec_lo
	s_delay_alu instid0(VALU_DEP_2) | instskip(NEXT) | instid1(SALU_CYCLE_1)
	s_and_b32 vcc_lo, vcc_lo, exec_lo
	s_or_b32 s14, s14, vcc_lo
	s_or_b32 exec_lo, exec_lo, s39
	s_and_saveexec_b32 s38, s14
	s_cbranch_execnz .LBB4_1946
	s_branch .LBB4_1947
.LBB4_2366:                             ;   in Loop: Header=BB4_1840 Depth=4
	s_mov_b32 s14, -1
	s_mov_b32 s40, exec_lo
                                        ; implicit-def: $sgpr38
	v_cmpx_eq_u16_e64 0x80, v147
; %bb.2367:                             ;   in Loop: Header=BB4_1840 Depth=4
	s_mov_b32 s38, 0x7f800001
	s_xor_b32 s14, exec_lo, -1
; %bb.2368:                             ;   in Loop: Header=BB4_1840 Depth=4
	s_or_b32 exec_lo, exec_lo, s40
	s_delay_alu instid0(SALU_CYCLE_1)
	s_and_b32 s14, s14, exec_lo
                                        ; implicit-def: $vgpr147
	s_or_saveexec_b32 s39, s39
	v_mov_b32_e32 v12, s38
	s_xor_b32 exec_lo, exec_lo, s39
	s_cbranch_execz .LBB4_1959
.LBB4_2369:                             ;   in Loop: Header=BB4_1840 Depth=4
	v_cmp_ne_u16_e64 vcc_lo, 0, v147
	v_mov_b32_e32 v12, 0
	s_and_not1_b32 s14, s14, exec_lo
	s_delay_alu instid0(VALU_DEP_2) | instskip(NEXT) | instid1(SALU_CYCLE_1)
	s_and_b32 vcc_lo, vcc_lo, exec_lo
	s_or_b32 s14, s14, vcc_lo
	s_or_b32 exec_lo, exec_lo, s39
	s_and_saveexec_b32 s38, s14
	s_cbranch_execnz .LBB4_1960
	s_branch .LBB4_1961
.LBB4_2370:                             ;   in Loop: Header=BB4_1840 Depth=4
	s_mov_b32 s14, -1
	s_mov_b32 s40, exec_lo
                                        ; implicit-def: $sgpr38
	v_cmpx_eq_u16_e64 0x80, v148
; %bb.2371:                             ;   in Loop: Header=BB4_1840 Depth=4
	s_mov_b32 s38, 0x7f800001
	s_xor_b32 s14, exec_lo, -1
; %bb.2372:                             ;   in Loop: Header=BB4_1840 Depth=4
	s_or_b32 exec_lo, exec_lo, s40
	s_delay_alu instid0(SALU_CYCLE_1)
	s_and_b32 s14, s14, exec_lo
                                        ; implicit-def: $vgpr148
	s_or_saveexec_b32 s39, s39
	v_mov_b32_e32 v147, s38
	s_xor_b32 exec_lo, exec_lo, s39
	s_cbranch_execz .LBB4_1963
.LBB4_2373:                             ;   in Loop: Header=BB4_1840 Depth=4
	v_cmp_ne_u16_e64 vcc_lo, 0, v148
	v_mov_b32_e32 v147, 0
	s_and_not1_b32 s14, s14, exec_lo
	s_delay_alu instid0(VALU_DEP_2) | instskip(NEXT) | instid1(SALU_CYCLE_1)
	s_and_b32 vcc_lo, vcc_lo, exec_lo
	s_or_b32 s14, s14, vcc_lo
	s_or_b32 exec_lo, exec_lo, s39
	s_and_saveexec_b32 s38, s14
	s_cbranch_execnz .LBB4_1964
	s_branch .LBB4_1965
.LBB4_2374:                             ;   in Loop: Header=BB4_1840 Depth=4
	s_mov_b32 s14, -1
	s_mov_b32 s40, exec_lo
                                        ; implicit-def: $sgpr38
	v_cmpx_eq_u16_e64 0x80, v147
; %bb.2375:                             ;   in Loop: Header=BB4_1840 Depth=4
	s_mov_b32 s38, 0x7f800001
	s_xor_b32 s14, exec_lo, -1
; %bb.2376:                             ;   in Loop: Header=BB4_1840 Depth=4
	s_or_b32 exec_lo, exec_lo, s40
	s_delay_alu instid0(SALU_CYCLE_1)
	s_and_b32 s14, s14, exec_lo
                                        ; implicit-def: $vgpr147
	s_or_saveexec_b32 s39, s39
	v_mov_b32_e32 v12, s38
	s_xor_b32 exec_lo, exec_lo, s39
	s_cbranch_execz .LBB4_1970
.LBB4_2377:                             ;   in Loop: Header=BB4_1840 Depth=4
	v_cmp_ne_u16_e64 vcc_lo, 0, v147
	v_mov_b32_e32 v12, 0
	s_and_not1_b32 s14, s14, exec_lo
	s_delay_alu instid0(VALU_DEP_2) | instskip(NEXT) | instid1(SALU_CYCLE_1)
	s_and_b32 vcc_lo, vcc_lo, exec_lo
	s_or_b32 s14, s14, vcc_lo
	s_or_b32 exec_lo, exec_lo, s39
	s_and_saveexec_b32 s38, s14
	s_cbranch_execnz .LBB4_1971
	s_branch .LBB4_1972
.LBB4_2378:                             ;   in Loop: Header=BB4_1840 Depth=4
	s_mov_b32 s14, -1
	s_mov_b32 s40, exec_lo
                                        ; implicit-def: $sgpr38
	v_cmpx_eq_u16_e64 0x80, v148
; %bb.2379:                             ;   in Loop: Header=BB4_1840 Depth=4
	s_mov_b32 s38, 0x7f800001
	s_xor_b32 s14, exec_lo, -1
; %bb.2380:                             ;   in Loop: Header=BB4_1840 Depth=4
	s_or_b32 exec_lo, exec_lo, s40
	s_delay_alu instid0(SALU_CYCLE_1)
	s_and_b32 s14, s14, exec_lo
                                        ; implicit-def: $vgpr148
	s_or_saveexec_b32 s39, s39
	v_mov_b32_e32 v147, s38
	s_xor_b32 exec_lo, exec_lo, s39
	s_cbranch_execz .LBB4_1974
.LBB4_2381:                             ;   in Loop: Header=BB4_1840 Depth=4
	v_cmp_ne_u16_e64 vcc_lo, 0, v148
	v_mov_b32_e32 v147, 0
	s_and_not1_b32 s14, s14, exec_lo
	s_delay_alu instid0(VALU_DEP_2) | instskip(NEXT) | instid1(SALU_CYCLE_1)
	s_and_b32 vcc_lo, vcc_lo, exec_lo
	s_or_b32 s14, s14, vcc_lo
	s_or_b32 exec_lo, exec_lo, s39
	s_and_saveexec_b32 s38, s14
	s_cbranch_execnz .LBB4_1975
	s_branch .LBB4_1976
.LBB4_2382:                             ;   in Loop: Header=BB4_1840 Depth=4
	s_mov_b32 s14, -1
	s_mov_b32 s40, exec_lo
                                        ; implicit-def: $sgpr38
	v_cmpx_eq_u16_e64 0x80, v148
; %bb.2383:                             ;   in Loop: Header=BB4_1840 Depth=4
	s_mov_b32 s38, 0x7f800001
	s_xor_b32 s14, exec_lo, -1
; %bb.2384:                             ;   in Loop: Header=BB4_1840 Depth=4
	s_or_b32 exec_lo, exec_lo, s40
	s_delay_alu instid0(SALU_CYCLE_1)
	s_and_b32 s14, s14, exec_lo
	s_or_saveexec_b32 s39, s39
	v_mov_b32_e32 v149, s38
	s_xor_b32 exec_lo, exec_lo, s39
	s_cbranch_execz .LBB4_1988
.LBB4_2385:                             ;   in Loop: Header=BB4_1840 Depth=4
	v_cmp_ne_u16_e64 vcc_lo, 0, v148
	v_mov_b32_e32 v149, 0
	s_and_not1_b32 s14, s14, exec_lo
	s_delay_alu instid0(VALU_DEP_2) | instskip(NEXT) | instid1(SALU_CYCLE_1)
	s_and_b32 vcc_lo, vcc_lo, exec_lo
	s_or_b32 s14, s14, vcc_lo
	s_or_b32 exec_lo, exec_lo, s39
	s_and_saveexec_b32 s38, s14
	s_cbranch_execnz .LBB4_1989
	s_branch .LBB4_1990
.LBB4_2386:                             ;   in Loop: Header=BB4_1840 Depth=4
	s_mov_b32 s14, -1
	s_mov_b32 s40, exec_lo
                                        ; implicit-def: $sgpr38
	v_cmpx_eq_u16_e64 0x80, v147
; %bb.2387:                             ;   in Loop: Header=BB4_1840 Depth=4
	s_mov_b32 s38, 0x7f800001
	s_xor_b32 s14, exec_lo, -1
; %bb.2388:                             ;   in Loop: Header=BB4_1840 Depth=4
	s_or_b32 exec_lo, exec_lo, s40
	s_delay_alu instid0(SALU_CYCLE_1)
	s_and_b32 s14, s14, exec_lo
	s_or_saveexec_b32 s39, s39
	v_mov_b32_e32 v150, s38
	s_xor_b32 exec_lo, exec_lo, s39
	s_cbranch_execz .LBB4_1992
.LBB4_2389:                             ;   in Loop: Header=BB4_1840 Depth=4
	v_cmp_ne_u16_e64 vcc_lo, 0, v147
	v_mov_b32_e32 v150, 0
	s_and_not1_b32 s14, s14, exec_lo
	s_delay_alu instid0(VALU_DEP_2) | instskip(NEXT) | instid1(SALU_CYCLE_1)
	s_and_b32 vcc_lo, vcc_lo, exec_lo
	s_or_b32 s14, s14, vcc_lo
	s_or_b32 exec_lo, exec_lo, s39
	s_and_saveexec_b32 s38, s14
	s_cbranch_execnz .LBB4_1993
	s_branch .LBB4_1994
.LBB4_2390:                             ;   in Loop: Header=BB4_1840 Depth=4
	s_mov_b32 s14, -1
	s_mov_b32 s40, exec_lo
                                        ; implicit-def: $sgpr38
	v_cmpx_eq_u16_e64 0x80, v148
; %bb.2391:                             ;   in Loop: Header=BB4_1840 Depth=4
	s_mov_b32 s38, 0x7f800001
	s_xor_b32 s14, exec_lo, -1
; %bb.2392:                             ;   in Loop: Header=BB4_1840 Depth=4
	s_or_b32 exec_lo, exec_lo, s40
	s_delay_alu instid0(SALU_CYCLE_1)
	s_and_b32 s14, s14, exec_lo
	s_or_saveexec_b32 s39, s39
	v_mov_b32_e32 v149, s38
	s_xor_b32 exec_lo, exec_lo, s39
	s_cbranch_execz .LBB4_1999
.LBB4_2393:                             ;   in Loop: Header=BB4_1840 Depth=4
	v_cmp_ne_u16_e64 vcc_lo, 0, v148
	v_mov_b32_e32 v149, 0
	s_and_not1_b32 s14, s14, exec_lo
	s_delay_alu instid0(VALU_DEP_2) | instskip(NEXT) | instid1(SALU_CYCLE_1)
	s_and_b32 vcc_lo, vcc_lo, exec_lo
	s_or_b32 s14, s14, vcc_lo
	s_or_b32 exec_lo, exec_lo, s39
	s_and_saveexec_b32 s38, s14
	s_cbranch_execnz .LBB4_2000
	s_branch .LBB4_2001
.LBB4_2394:                             ;   in Loop: Header=BB4_1840 Depth=4
	s_mov_b32 s14, -1
	s_mov_b32 s40, exec_lo
                                        ; implicit-def: $sgpr38
	v_cmpx_eq_u16_e64 0x80, v147
; %bb.2395:                             ;   in Loop: Header=BB4_1840 Depth=4
	s_mov_b32 s38, 0x7f800001
	s_xor_b32 s14, exec_lo, -1
; %bb.2396:                             ;   in Loop: Header=BB4_1840 Depth=4
	s_or_b32 exec_lo, exec_lo, s40
	s_delay_alu instid0(SALU_CYCLE_1)
	s_and_b32 s14, s14, exec_lo
	s_or_saveexec_b32 s39, s39
	v_mov_b32_e32 v148, s38
	s_xor_b32 exec_lo, exec_lo, s39
	s_cbranch_execz .LBB4_2003
.LBB4_2397:                             ;   in Loop: Header=BB4_1840 Depth=4
	v_cmp_ne_u16_e64 vcc_lo, 0, v147
	v_mov_b32_e32 v148, 0
	s_and_not1_b32 s14, s14, exec_lo
	s_delay_alu instid0(VALU_DEP_2) | instskip(NEXT) | instid1(SALU_CYCLE_1)
	s_and_b32 vcc_lo, vcc_lo, exec_lo
	s_or_b32 s14, s14, vcc_lo
	s_or_b32 exec_lo, exec_lo, s39
	s_and_saveexec_b32 s38, s14
	s_cbranch_execnz .LBB4_2004
	s_branch .LBB4_2005
.LBB4_2398:                             ;   in Loop: Header=BB4_1840 Depth=4
	s_mov_b32 s14, -1
	s_mov_b32 s40, exec_lo
                                        ; implicit-def: $sgpr38
	v_cmpx_eq_u16_e64 0x80, v151
; %bb.2399:                             ;   in Loop: Header=BB4_1840 Depth=4
	s_mov_b32 s38, 0x7f800001
	s_xor_b32 s14, exec_lo, -1
; %bb.2400:                             ;   in Loop: Header=BB4_1840 Depth=4
	s_or_b32 exec_lo, exec_lo, s40
	s_delay_alu instid0(SALU_CYCLE_1)
	s_and_b32 s14, s14, exec_lo
                                        ; implicit-def: $vgpr151
	s_or_saveexec_b32 s39, s39
	v_mov_b32_e32 v150, s38
	s_xor_b32 exec_lo, exec_lo, s39
	s_cbranch_execz .LBB4_2017
.LBB4_2401:                             ;   in Loop: Header=BB4_1840 Depth=4
	v_cmp_ne_u16_e64 vcc_lo, 0, v151
	v_mov_b32_e32 v150, 0
	s_and_not1_b32 s14, s14, exec_lo
	s_delay_alu instid0(VALU_DEP_2) | instskip(NEXT) | instid1(SALU_CYCLE_1)
	s_and_b32 vcc_lo, vcc_lo, exec_lo
	s_or_b32 s14, s14, vcc_lo
	s_or_b32 exec_lo, exec_lo, s39
	s_and_saveexec_b32 s38, s14
	s_cbranch_execnz .LBB4_2018
	s_branch .LBB4_2019
.LBB4_2402:                             ;   in Loop: Header=BB4_1840 Depth=4
	s_mov_b32 s14, -1
	s_mov_b32 s40, exec_lo
                                        ; implicit-def: $sgpr38
	v_cmpx_eq_u16_e64 0x80, v160
; %bb.2403:                             ;   in Loop: Header=BB4_1840 Depth=4
	s_mov_b32 s38, 0x7f800001
	s_xor_b32 s14, exec_lo, -1
; %bb.2404:                             ;   in Loop: Header=BB4_1840 Depth=4
	s_or_b32 exec_lo, exec_lo, s40
	s_delay_alu instid0(SALU_CYCLE_1)
	s_and_b32 s14, s14, exec_lo
                                        ; implicit-def: $vgpr160
	s_or_saveexec_b32 s39, s39
	v_mov_b32_e32 v151, s38
	s_xor_b32 exec_lo, exec_lo, s39
	s_cbranch_execz .LBB4_2021
.LBB4_2405:                             ;   in Loop: Header=BB4_1840 Depth=4
	v_cmp_ne_u16_e64 vcc_lo, 0, v160
	v_mov_b32_e32 v151, 0
	s_and_not1_b32 s14, s14, exec_lo
	s_delay_alu instid0(VALU_DEP_2) | instskip(NEXT) | instid1(SALU_CYCLE_1)
	s_and_b32 vcc_lo, vcc_lo, exec_lo
	s_or_b32 s14, s14, vcc_lo
	s_or_b32 exec_lo, exec_lo, s39
	s_and_saveexec_b32 s38, s14
	s_cbranch_execnz .LBB4_2022
	s_branch .LBB4_2023
.LBB4_2406:                             ;   in Loop: Header=BB4_1840 Depth=4
	s_mov_b32 s14, -1
	s_mov_b32 s40, exec_lo
                                        ; implicit-def: $sgpr38
	v_cmpx_eq_u16_e64 0x80, v151
; %bb.2407:                             ;   in Loop: Header=BB4_1840 Depth=4
	s_mov_b32 s38, 0x7f800001
	s_xor_b32 s14, exec_lo, -1
; %bb.2408:                             ;   in Loop: Header=BB4_1840 Depth=4
	s_or_b32 exec_lo, exec_lo, s40
	s_delay_alu instid0(SALU_CYCLE_1)
	s_and_b32 s14, s14, exec_lo
                                        ; implicit-def: $vgpr151
	s_or_saveexec_b32 s39, s39
	v_mov_b32_e32 v150, s38
	s_xor_b32 exec_lo, exec_lo, s39
	s_cbranch_execz .LBB4_2028
.LBB4_2409:                             ;   in Loop: Header=BB4_1840 Depth=4
	v_cmp_ne_u16_e64 vcc_lo, 0, v151
	v_mov_b32_e32 v150, 0
	s_and_not1_b32 s14, s14, exec_lo
	s_delay_alu instid0(VALU_DEP_2) | instskip(NEXT) | instid1(SALU_CYCLE_1)
	s_and_b32 vcc_lo, vcc_lo, exec_lo
	s_or_b32 s14, s14, vcc_lo
	s_or_b32 exec_lo, exec_lo, s39
	s_and_saveexec_b32 s38, s14
	s_cbranch_execnz .LBB4_2029
	s_branch .LBB4_2030
.LBB4_2410:                             ;   in Loop: Header=BB4_1840 Depth=4
	s_mov_b32 s14, -1
	s_mov_b32 s40, exec_lo
                                        ; implicit-def: $sgpr38
	v_cmpx_eq_u16_e64 0x80, v151
; %bb.2411:                             ;   in Loop: Header=BB4_1840 Depth=4
	s_mov_b32 s38, 0x7f800001
	s_xor_b32 s14, exec_lo, -1
; %bb.2412:                             ;   in Loop: Header=BB4_1840 Depth=4
	s_or_b32 exec_lo, exec_lo, s40
	s_delay_alu instid0(SALU_CYCLE_1)
	s_and_b32 s14, s14, exec_lo
                                        ; implicit-def: $vgpr151
	s_or_saveexec_b32 s39, s39
	v_mov_b32_e32 v149, s38
	s_xor_b32 exec_lo, exec_lo, s39
	s_cbranch_execz .LBB4_2032
.LBB4_2413:                             ;   in Loop: Header=BB4_1840 Depth=4
	v_cmp_ne_u16_e64 vcc_lo, 0, v151
	v_mov_b32_e32 v149, 0
	s_and_not1_b32 s14, s14, exec_lo
	s_delay_alu instid0(VALU_DEP_2) | instskip(NEXT) | instid1(SALU_CYCLE_1)
	s_and_b32 vcc_lo, vcc_lo, exec_lo
	s_or_b32 s14, s14, vcc_lo
	s_or_b32 exec_lo, exec_lo, s39
	s_and_saveexec_b32 s38, s14
	s_cbranch_execnz .LBB4_2033
	s_branch .LBB4_2034
.LBB4_2414:                             ;   in Loop: Header=BB4_1840 Depth=4
	s_mov_b32 s14, -1
	s_mov_b32 s40, exec_lo
                                        ; implicit-def: $sgpr38
	v_cmpx_eq_u16_e64 0x80, v150
; %bb.2415:                             ;   in Loop: Header=BB4_1840 Depth=4
	s_mov_b32 s38, 0x7f800001
	s_xor_b32 s14, exec_lo, -1
; %bb.2416:                             ;   in Loop: Header=BB4_1840 Depth=4
	s_or_b32 exec_lo, exec_lo, s40
	s_delay_alu instid0(SALU_CYCLE_1)
	s_and_b32 s14, s14, exec_lo
	s_or_saveexec_b32 s39, s39
	v_mov_b32_e32 v151, s38
	s_xor_b32 exec_lo, exec_lo, s39
	s_cbranch_execz .LBB4_2046
.LBB4_2417:                             ;   in Loop: Header=BB4_1840 Depth=4
	v_cmp_ne_u16_e64 vcc_lo, 0, v150
	v_mov_b32_e32 v151, 0
	s_and_not1_b32 s14, s14, exec_lo
	s_delay_alu instid0(VALU_DEP_2) | instskip(NEXT) | instid1(SALU_CYCLE_1)
	s_and_b32 vcc_lo, vcc_lo, exec_lo
	s_or_b32 s14, s14, vcc_lo
	s_or_b32 exec_lo, exec_lo, s39
	s_and_saveexec_b32 s38, s14
	s_cbranch_execnz .LBB4_2047
	s_branch .LBB4_2048
.LBB4_2418:                             ;   in Loop: Header=BB4_1840 Depth=4
	s_mov_b32 s14, -1
	s_mov_b32 s40, exec_lo
                                        ; implicit-def: $sgpr38
	v_cmpx_eq_u16_e64 0x80, v149
; %bb.2419:                             ;   in Loop: Header=BB4_1840 Depth=4
	s_mov_b32 s38, 0x7f800001
	s_xor_b32 s14, exec_lo, -1
; %bb.2420:                             ;   in Loop: Header=BB4_1840 Depth=4
	s_or_b32 exec_lo, exec_lo, s40
	s_delay_alu instid0(SALU_CYCLE_1)
	s_and_b32 s14, s14, exec_lo
	s_or_saveexec_b32 s39, s39
	v_mov_b32_e32 v160, s38
	s_xor_b32 exec_lo, exec_lo, s39
	s_cbranch_execz .LBB4_2050
.LBB4_2421:                             ;   in Loop: Header=BB4_1840 Depth=4
	v_cmp_ne_u16_e64 vcc_lo, 0, v149
	v_mov_b32_e32 v160, 0
	s_and_not1_b32 s14, s14, exec_lo
	s_delay_alu instid0(VALU_DEP_2) | instskip(NEXT) | instid1(SALU_CYCLE_1)
	s_and_b32 vcc_lo, vcc_lo, exec_lo
	s_or_b32 s14, s14, vcc_lo
	s_or_b32 exec_lo, exec_lo, s39
	s_and_saveexec_b32 s38, s14
	s_cbranch_execnz .LBB4_2051
	s_branch .LBB4_2052
.LBB4_2422:                             ;   in Loop: Header=BB4_1840 Depth=4
	s_mov_b32 s14, -1
	s_mov_b32 s40, exec_lo
                                        ; implicit-def: $sgpr38
	v_cmpx_eq_u16_e64 0x80, v150
; %bb.2423:                             ;   in Loop: Header=BB4_1840 Depth=4
	s_mov_b32 s38, 0x7f800001
	s_xor_b32 s14, exec_lo, -1
; %bb.2424:                             ;   in Loop: Header=BB4_1840 Depth=4
	s_or_b32 exec_lo, exec_lo, s40
	s_delay_alu instid0(SALU_CYCLE_1)
	s_and_b32 s14, s14, exec_lo
	s_or_saveexec_b32 s39, s39
	v_mov_b32_e32 v151, s38
	s_xor_b32 exec_lo, exec_lo, s39
	s_cbranch_execz .LBB4_2057
.LBB4_2425:                             ;   in Loop: Header=BB4_1840 Depth=4
	v_cmp_ne_u16_e64 vcc_lo, 0, v150
	v_mov_b32_e32 v151, 0
	s_and_not1_b32 s14, s14, exec_lo
	s_delay_alu instid0(VALU_DEP_2) | instskip(NEXT) | instid1(SALU_CYCLE_1)
	s_and_b32 vcc_lo, vcc_lo, exec_lo
	s_or_b32 s14, s14, vcc_lo
	s_or_b32 exec_lo, exec_lo, s39
	s_and_saveexec_b32 s38, s14
	s_cbranch_execnz .LBB4_2058
	s_branch .LBB4_2059
.LBB4_2426:                             ;   in Loop: Header=BB4_1840 Depth=4
	s_mov_b32 s14, -1
	s_mov_b32 s40, exec_lo
                                        ; implicit-def: $sgpr38
	v_cmpx_eq_u16_e64 0x80, v149
; %bb.2427:                             ;   in Loop: Header=BB4_1840 Depth=4
	s_mov_b32 s38, 0x7f800001
	s_xor_b32 s14, exec_lo, -1
; %bb.2428:                             ;   in Loop: Header=BB4_1840 Depth=4
	s_or_b32 exec_lo, exec_lo, s40
	s_delay_alu instid0(SALU_CYCLE_1)
	s_and_b32 s14, s14, exec_lo
	s_or_saveexec_b32 s39, s39
	v_mov_b32_e32 v13, s38
	s_xor_b32 exec_lo, exec_lo, s39
	s_cbranch_execz .LBB4_2061
.LBB4_2429:                             ;   in Loop: Header=BB4_1840 Depth=4
	v_cmp_ne_u16_e64 vcc_lo, 0, v149
	v_mov_b32_e32 v13, 0
	s_and_not1_b32 s14, s14, exec_lo
	s_delay_alu instid0(VALU_DEP_2) | instskip(NEXT) | instid1(SALU_CYCLE_1)
	s_and_b32 vcc_lo, vcc_lo, exec_lo
	s_or_b32 s14, s14, vcc_lo
	s_or_b32 exec_lo, exec_lo, s39
	s_and_saveexec_b32 s38, s14
	s_cbranch_execnz .LBB4_2062
	s_branch .LBB4_2063
.LBB4_2430:                             ;   in Loop: Header=BB4_1840 Depth=4
	s_mov_b32 s14, -1
	s_mov_b32 s40, exec_lo
                                        ; implicit-def: $sgpr38
	v_cmpx_eq_u16_e64 0x80, v149
; %bb.2431:                             ;   in Loop: Header=BB4_1840 Depth=4
	s_mov_b32 s38, 0x7f800001
	s_xor_b32 s14, exec_lo, -1
; %bb.2432:                             ;   in Loop: Header=BB4_1840 Depth=4
	s_or_b32 exec_lo, exec_lo, s40
	s_delay_alu instid0(SALU_CYCLE_1)
	s_and_b32 s14, s14, exec_lo
                                        ; implicit-def: $vgpr149
	s_or_saveexec_b32 s39, s39
	v_mov_b32_e32 v13, s38
	s_xor_b32 exec_lo, exec_lo, s39
	s_cbranch_execz .LBB4_2075
.LBB4_2433:                             ;   in Loop: Header=BB4_1840 Depth=4
	v_cmp_ne_u16_e64 vcc_lo, 0, v149
	v_mov_b32_e32 v13, 0
	s_and_not1_b32 s14, s14, exec_lo
	s_delay_alu instid0(VALU_DEP_2) | instskip(NEXT) | instid1(SALU_CYCLE_1)
	s_and_b32 vcc_lo, vcc_lo, exec_lo
	s_or_b32 s14, s14, vcc_lo
	s_or_b32 exec_lo, exec_lo, s39
	s_and_saveexec_b32 s38, s14
	s_cbranch_execnz .LBB4_2076
	s_branch .LBB4_2077
.LBB4_2434:                             ;   in Loop: Header=BB4_1840 Depth=4
	s_mov_b32 s14, -1
	s_mov_b32 s40, exec_lo
                                        ; implicit-def: $sgpr38
	v_cmpx_eq_u16_e64 0x80, v150
; %bb.2435:                             ;   in Loop: Header=BB4_1840 Depth=4
	s_mov_b32 s38, 0x7f800001
	s_xor_b32 s14, exec_lo, -1
; %bb.2436:                             ;   in Loop: Header=BB4_1840 Depth=4
	s_or_b32 exec_lo, exec_lo, s40
	s_delay_alu instid0(SALU_CYCLE_1)
	s_and_b32 s14, s14, exec_lo
                                        ; implicit-def: $vgpr150
	s_or_saveexec_b32 s39, s39
	v_mov_b32_e32 v149, s38
	s_xor_b32 exec_lo, exec_lo, s39
	s_cbranch_execz .LBB4_2079
.LBB4_2437:                             ;   in Loop: Header=BB4_1840 Depth=4
	v_cmp_ne_u16_e64 vcc_lo, 0, v150
	v_mov_b32_e32 v149, 0
	s_and_not1_b32 s14, s14, exec_lo
	s_delay_alu instid0(VALU_DEP_2) | instskip(NEXT) | instid1(SALU_CYCLE_1)
	s_and_b32 vcc_lo, vcc_lo, exec_lo
	s_or_b32 s14, s14, vcc_lo
	s_or_b32 exec_lo, exec_lo, s39
	s_and_saveexec_b32 s38, s14
	s_cbranch_execnz .LBB4_2080
	s_branch .LBB4_2081
.LBB4_2438:                             ;   in Loop: Header=BB4_1840 Depth=4
	s_mov_b32 s14, -1
	s_mov_b32 s40, exec_lo
                                        ; implicit-def: $sgpr38
	v_cmpx_eq_u16_e64 0x80, v149
; %bb.2439:                             ;   in Loop: Header=BB4_1840 Depth=4
	s_mov_b32 s38, 0x7f800001
	s_xor_b32 s14, exec_lo, -1
; %bb.2440:                             ;   in Loop: Header=BB4_1840 Depth=4
	s_or_b32 exec_lo, exec_lo, s40
	s_delay_alu instid0(SALU_CYCLE_1)
	s_and_b32 s14, s14, exec_lo
                                        ; implicit-def: $vgpr149
	s_or_saveexec_b32 s39, s39
	v_mov_b32_e32 v13, s38
	s_xor_b32 exec_lo, exec_lo, s39
	s_cbranch_execz .LBB4_2086
.LBB4_2441:                             ;   in Loop: Header=BB4_1840 Depth=4
	v_cmp_ne_u16_e64 vcc_lo, 0, v149
	v_mov_b32_e32 v13, 0
	s_and_not1_b32 s14, s14, exec_lo
	s_delay_alu instid0(VALU_DEP_2) | instskip(NEXT) | instid1(SALU_CYCLE_1)
	s_and_b32 vcc_lo, vcc_lo, exec_lo
	s_or_b32 s14, s14, vcc_lo
	s_or_b32 exec_lo, exec_lo, s39
	s_and_saveexec_b32 s38, s14
	s_cbranch_execnz .LBB4_2087
	s_branch .LBB4_2088
.LBB4_2442:                             ;   in Loop: Header=BB4_1840 Depth=4
	s_mov_b32 s14, -1
	s_mov_b32 s40, exec_lo
                                        ; implicit-def: $sgpr38
	v_cmpx_eq_u16_e64 0x80, v150
; %bb.2443:                             ;   in Loop: Header=BB4_1840 Depth=4
	s_mov_b32 s38, 0x7f800001
	s_xor_b32 s14, exec_lo, -1
; %bb.2444:                             ;   in Loop: Header=BB4_1840 Depth=4
	s_or_b32 exec_lo, exec_lo, s40
	s_delay_alu instid0(SALU_CYCLE_1)
	s_and_b32 s14, s14, exec_lo
                                        ; implicit-def: $vgpr150
	s_or_saveexec_b32 s39, s39
	v_mov_b32_e32 v149, s38
	s_xor_b32 exec_lo, exec_lo, s39
	s_cbranch_execz .LBB4_2090
.LBB4_2445:                             ;   in Loop: Header=BB4_1840 Depth=4
	v_cmp_ne_u16_e64 vcc_lo, 0, v150
	v_mov_b32_e32 v149, 0
	s_and_not1_b32 s14, s14, exec_lo
	s_delay_alu instid0(VALU_DEP_2) | instskip(NEXT) | instid1(SALU_CYCLE_1)
	s_and_b32 vcc_lo, vcc_lo, exec_lo
	s_or_b32 s14, s14, vcc_lo
	s_or_b32 exec_lo, exec_lo, s39
	s_and_saveexec_b32 s38, s14
	s_cbranch_execnz .LBB4_2091
	s_branch .LBB4_2092
.LBB4_2446:                             ;   in Loop: Header=BB4_1840 Depth=4
	s_mov_b32 s14, -1
	s_mov_b32 s40, exec_lo
                                        ; implicit-def: $sgpr38
	v_cmpx_eq_u16_e64 0x80, v150
; %bb.2447:                             ;   in Loop: Header=BB4_1840 Depth=4
	s_mov_b32 s38, 0x7f800001
	s_xor_b32 s14, exec_lo, -1
; %bb.2448:                             ;   in Loop: Header=BB4_1840 Depth=4
	s_or_b32 exec_lo, exec_lo, s40
	s_delay_alu instid0(SALU_CYCLE_1)
	s_and_b32 s14, s14, exec_lo
	s_or_saveexec_b32 s39, s39
	v_mov_b32_e32 v151, s38
	s_xor_b32 exec_lo, exec_lo, s39
	s_cbranch_execz .LBB4_2104
.LBB4_2449:                             ;   in Loop: Header=BB4_1840 Depth=4
	v_cmp_ne_u16_e64 vcc_lo, 0, v150
	v_mov_b32_e32 v151, 0
	s_and_not1_b32 s14, s14, exec_lo
	s_delay_alu instid0(VALU_DEP_2) | instskip(NEXT) | instid1(SALU_CYCLE_1)
	s_and_b32 vcc_lo, vcc_lo, exec_lo
	s_or_b32 s14, s14, vcc_lo
	s_or_b32 exec_lo, exec_lo, s39
	s_and_saveexec_b32 s38, s14
	s_cbranch_execnz .LBB4_2105
	s_branch .LBB4_2106
.LBB4_2450:                             ;   in Loop: Header=BB4_1840 Depth=4
	s_mov_b32 s14, -1
	s_mov_b32 s40, exec_lo
                                        ; implicit-def: $sgpr38
	v_cmpx_eq_u16_e64 0x80, v149
; %bb.2451:                             ;   in Loop: Header=BB4_1840 Depth=4
	s_mov_b32 s38, 0x7f800001
	s_xor_b32 s14, exec_lo, -1
; %bb.2452:                             ;   in Loop: Header=BB4_1840 Depth=4
	s_or_b32 exec_lo, exec_lo, s40
	s_delay_alu instid0(SALU_CYCLE_1)
	s_and_b32 s14, s14, exec_lo
	s_or_saveexec_b32 s39, s39
	v_mov_b32_e32 v160, s38
	s_xor_b32 exec_lo, exec_lo, s39
	s_cbranch_execz .LBB4_2108
.LBB4_2453:                             ;   in Loop: Header=BB4_1840 Depth=4
	v_cmp_ne_u16_e64 vcc_lo, 0, v149
	v_mov_b32_e32 v160, 0
	s_and_not1_b32 s14, s14, exec_lo
	s_delay_alu instid0(VALU_DEP_2) | instskip(NEXT) | instid1(SALU_CYCLE_1)
	s_and_b32 vcc_lo, vcc_lo, exec_lo
	s_or_b32 s14, s14, vcc_lo
	s_or_b32 exec_lo, exec_lo, s39
	s_and_saveexec_b32 s38, s14
	s_cbranch_execnz .LBB4_2109
	s_branch .LBB4_2110
.LBB4_2454:                             ;   in Loop: Header=BB4_1840 Depth=4
	s_mov_b32 s14, -1
	s_mov_b32 s40, exec_lo
                                        ; implicit-def: $sgpr38
	v_cmpx_eq_u16_e64 0x80, v150
; %bb.2455:                             ;   in Loop: Header=BB4_1840 Depth=4
	s_mov_b32 s38, 0x7f800001
	s_xor_b32 s14, exec_lo, -1
; %bb.2456:                             ;   in Loop: Header=BB4_1840 Depth=4
	s_or_b32 exec_lo, exec_lo, s40
	s_delay_alu instid0(SALU_CYCLE_1)
	s_and_b32 s14, s14, exec_lo
	s_or_saveexec_b32 s39, s39
	v_mov_b32_e32 v151, s38
	s_xor_b32 exec_lo, exec_lo, s39
	s_cbranch_execz .LBB4_2115
.LBB4_2457:                             ;   in Loop: Header=BB4_1840 Depth=4
	v_cmp_ne_u16_e64 vcc_lo, 0, v150
	v_mov_b32_e32 v151, 0
	s_and_not1_b32 s14, s14, exec_lo
	s_delay_alu instid0(VALU_DEP_2) | instskip(NEXT) | instid1(SALU_CYCLE_1)
	s_and_b32 vcc_lo, vcc_lo, exec_lo
	s_or_b32 s14, s14, vcc_lo
	s_or_b32 exec_lo, exec_lo, s39
	s_and_saveexec_b32 s38, s14
	s_cbranch_execnz .LBB4_2116
	s_branch .LBB4_2117
.LBB4_2458:                             ;   in Loop: Header=BB4_1840 Depth=4
	s_mov_b32 s14, -1
	s_mov_b32 s40, exec_lo
                                        ; implicit-def: $sgpr38
	v_cmpx_eq_u16_e64 0x80, v149
; %bb.2459:                             ;   in Loop: Header=BB4_1840 Depth=4
	s_mov_b32 s38, 0x7f800001
	s_xor_b32 s14, exec_lo, -1
; %bb.2460:                             ;   in Loop: Header=BB4_1840 Depth=4
	s_or_b32 exec_lo, exec_lo, s40
	s_delay_alu instid0(SALU_CYCLE_1)
	s_and_b32 s14, s14, exec_lo
	s_or_saveexec_b32 s39, s39
	v_mov_b32_e32 v150, s38
	s_xor_b32 exec_lo, exec_lo, s39
	s_cbranch_execz .LBB4_2119
.LBB4_2461:                             ;   in Loop: Header=BB4_1840 Depth=4
	v_cmp_ne_u16_e64 vcc_lo, 0, v149
	v_mov_b32_e32 v150, 0
	s_and_not1_b32 s14, s14, exec_lo
	s_delay_alu instid0(VALU_DEP_2) | instskip(NEXT) | instid1(SALU_CYCLE_1)
	s_and_b32 vcc_lo, vcc_lo, exec_lo
	s_or_b32 s14, s14, vcc_lo
	s_or_b32 exec_lo, exec_lo, s39
	s_and_saveexec_b32 s38, s14
	s_cbranch_execnz .LBB4_2120
	s_branch .LBB4_2121
.LBB4_2462:                             ;   in Loop: Header=BB4_1840 Depth=4
	s_mov_b32 s14, -1
	s_mov_b32 s40, exec_lo
                                        ; implicit-def: $sgpr38
	v_cmpx_eq_u16_e64 0x80, v161
; %bb.2463:                             ;   in Loop: Header=BB4_1840 Depth=4
	s_mov_b32 s38, 0x7f800001
	s_xor_b32 s14, exec_lo, -1
; %bb.2464:                             ;   in Loop: Header=BB4_1840 Depth=4
	s_or_b32 exec_lo, exec_lo, s40
	s_delay_alu instid0(SALU_CYCLE_1)
	s_and_b32 s14, s14, exec_lo
                                        ; implicit-def: $vgpr161
	s_or_saveexec_b32 s39, s39
	v_mov_b32_e32 v160, s38
	s_xor_b32 exec_lo, exec_lo, s39
	s_cbranch_execz .LBB4_2133
.LBB4_2465:                             ;   in Loop: Header=BB4_1840 Depth=4
	v_cmp_ne_u16_e64 vcc_lo, 0, v161
	v_mov_b32_e32 v160, 0
	s_and_not1_b32 s14, s14, exec_lo
	s_delay_alu instid0(VALU_DEP_2) | instskip(NEXT) | instid1(SALU_CYCLE_1)
	s_and_b32 vcc_lo, vcc_lo, exec_lo
	s_or_b32 s14, s14, vcc_lo
	s_or_b32 exec_lo, exec_lo, s39
	s_and_saveexec_b32 s38, s14
	s_cbranch_execnz .LBB4_2134
	s_branch .LBB4_2135
.LBB4_2466:                             ;   in Loop: Header=BB4_1840 Depth=4
	s_mov_b32 s14, -1
	s_mov_b32 s40, exec_lo
                                        ; implicit-def: $sgpr38
	v_cmpx_eq_u16_e64 0x80, v162
; %bb.2467:                             ;   in Loop: Header=BB4_1840 Depth=4
	s_mov_b32 s38, 0x7f800001
	s_xor_b32 s14, exec_lo, -1
; %bb.2468:                             ;   in Loop: Header=BB4_1840 Depth=4
	s_or_b32 exec_lo, exec_lo, s40
	s_delay_alu instid0(SALU_CYCLE_1)
	s_and_b32 s14, s14, exec_lo
                                        ; implicit-def: $vgpr162
	s_or_saveexec_b32 s39, s39
	v_mov_b32_e32 v161, s38
	s_xor_b32 exec_lo, exec_lo, s39
	s_cbranch_execz .LBB4_2137
.LBB4_2469:                             ;   in Loop: Header=BB4_1840 Depth=4
	v_cmp_ne_u16_e64 vcc_lo, 0, v162
	v_mov_b32_e32 v161, 0
	s_and_not1_b32 s14, s14, exec_lo
	s_delay_alu instid0(VALU_DEP_2) | instskip(NEXT) | instid1(SALU_CYCLE_1)
	s_and_b32 vcc_lo, vcc_lo, exec_lo
	s_or_b32 s14, s14, vcc_lo
	s_or_b32 exec_lo, exec_lo, s39
	s_and_saveexec_b32 s38, s14
	s_cbranch_execnz .LBB4_2138
	s_branch .LBB4_2139
.LBB4_2470:                             ;   in Loop: Header=BB4_1840 Depth=4
	s_mov_b32 s14, -1
	s_mov_b32 s40, exec_lo
                                        ; implicit-def: $sgpr38
	v_cmpx_eq_u16_e64 0x80, v161
; %bb.2471:                             ;   in Loop: Header=BB4_1840 Depth=4
	s_mov_b32 s38, 0x7f800001
	s_xor_b32 s14, exec_lo, -1
; %bb.2472:                             ;   in Loop: Header=BB4_1840 Depth=4
	s_or_b32 exec_lo, exec_lo, s40
	s_delay_alu instid0(SALU_CYCLE_1)
	s_and_b32 s14, s14, exec_lo
                                        ; implicit-def: $vgpr161
	s_or_saveexec_b32 s39, s39
	v_mov_b32_e32 v160, s38
	s_xor_b32 exec_lo, exec_lo, s39
	s_cbranch_execz .LBB4_2144
.LBB4_2473:                             ;   in Loop: Header=BB4_1840 Depth=4
	v_cmp_ne_u16_e64 vcc_lo, 0, v161
	v_mov_b32_e32 v160, 0
	s_and_not1_b32 s14, s14, exec_lo
	s_delay_alu instid0(VALU_DEP_2) | instskip(NEXT) | instid1(SALU_CYCLE_1)
	s_and_b32 vcc_lo, vcc_lo, exec_lo
	s_or_b32 s14, s14, vcc_lo
	s_or_b32 exec_lo, exec_lo, s39
	s_and_saveexec_b32 s38, s14
	s_cbranch_execnz .LBB4_2145
	s_branch .LBB4_2146
.LBB4_2474:                             ;   in Loop: Header=BB4_1840 Depth=4
	s_mov_b32 s14, -1
	s_mov_b32 s40, exec_lo
                                        ; implicit-def: $sgpr38
	v_cmpx_eq_u16_e64 0x80, v161
; %bb.2475:                             ;   in Loop: Header=BB4_1840 Depth=4
	s_mov_b32 s38, 0x7f800001
	s_xor_b32 s14, exec_lo, -1
; %bb.2476:                             ;   in Loop: Header=BB4_1840 Depth=4
	s_or_b32 exec_lo, exec_lo, s40
	s_delay_alu instid0(SALU_CYCLE_1)
	s_and_b32 s14, s14, exec_lo
                                        ; implicit-def: $vgpr161
	s_or_saveexec_b32 s39, s39
	v_mov_b32_e32 v151, s38
	s_xor_b32 exec_lo, exec_lo, s39
	s_cbranch_execz .LBB4_2148
.LBB4_2477:                             ;   in Loop: Header=BB4_1840 Depth=4
	v_cmp_ne_u16_e64 vcc_lo, 0, v161
	v_mov_b32_e32 v151, 0
	s_and_not1_b32 s14, s14, exec_lo
	s_delay_alu instid0(VALU_DEP_2) | instskip(NEXT) | instid1(SALU_CYCLE_1)
	s_and_b32 vcc_lo, vcc_lo, exec_lo
	s_or_b32 s14, s14, vcc_lo
	s_or_b32 exec_lo, exec_lo, s39
	s_and_saveexec_b32 s38, s14
	s_cbranch_execnz .LBB4_2149
	s_branch .LBB4_2150
.LBB4_2478:                             ;   in Loop: Header=BB4_1840 Depth=4
	s_mov_b32 s14, -1
	s_mov_b32 s40, exec_lo
                                        ; implicit-def: $sgpr38
	v_cmpx_eq_u16_e64 0x80, v160
; %bb.2479:                             ;   in Loop: Header=BB4_1840 Depth=4
	s_mov_b32 s38, 0x7f800001
	s_xor_b32 s14, exec_lo, -1
; %bb.2480:                             ;   in Loop: Header=BB4_1840 Depth=4
	s_or_b32 exec_lo, exec_lo, s40
	s_delay_alu instid0(SALU_CYCLE_1)
	s_and_b32 s14, s14, exec_lo
	s_or_saveexec_b32 s39, s39
	v_mov_b32_e32 v161, s38
	s_xor_b32 exec_lo, exec_lo, s39
	s_cbranch_execz .LBB4_2162
.LBB4_2481:                             ;   in Loop: Header=BB4_1840 Depth=4
	v_cmp_ne_u16_e64 vcc_lo, 0, v160
	v_mov_b32_e32 v161, 0
	s_and_not1_b32 s14, s14, exec_lo
	s_delay_alu instid0(VALU_DEP_2) | instskip(NEXT) | instid1(SALU_CYCLE_1)
	s_and_b32 vcc_lo, vcc_lo, exec_lo
	s_or_b32 s14, s14, vcc_lo
	s_or_b32 exec_lo, exec_lo, s39
	s_and_saveexec_b32 s38, s14
	s_cbranch_execnz .LBB4_2163
	s_branch .LBB4_2164
.LBB4_2482:                             ;   in Loop: Header=BB4_1840 Depth=4
	s_mov_b32 s14, -1
	s_mov_b32 s40, exec_lo
                                        ; implicit-def: $sgpr38
	v_cmpx_eq_u16_e64 0x80, v151
; %bb.2483:                             ;   in Loop: Header=BB4_1840 Depth=4
	s_mov_b32 s38, 0x7f800001
	s_xor_b32 s14, exec_lo, -1
; %bb.2484:                             ;   in Loop: Header=BB4_1840 Depth=4
	s_or_b32 exec_lo, exec_lo, s40
	s_delay_alu instid0(SALU_CYCLE_1)
	s_and_b32 s14, s14, exec_lo
	s_or_saveexec_b32 s39, s39
	v_mov_b32_e32 v162, s38
	s_xor_b32 exec_lo, exec_lo, s39
	s_cbranch_execz .LBB4_2166
.LBB4_2485:                             ;   in Loop: Header=BB4_1840 Depth=4
	v_cmp_ne_u16_e64 vcc_lo, 0, v151
	v_mov_b32_e32 v162, 0
	s_and_not1_b32 s14, s14, exec_lo
	s_delay_alu instid0(VALU_DEP_2) | instskip(NEXT) | instid1(SALU_CYCLE_1)
	s_and_b32 vcc_lo, vcc_lo, exec_lo
	s_or_b32 s14, s14, vcc_lo
	s_or_b32 exec_lo, exec_lo, s39
	s_and_saveexec_b32 s38, s14
	s_cbranch_execnz .LBB4_2167
	s_branch .LBB4_2168
.LBB4_2486:                             ;   in Loop: Header=BB4_1840 Depth=4
	s_mov_b32 s14, -1
	s_mov_b32 s40, exec_lo
                                        ; implicit-def: $sgpr38
	v_cmpx_eq_u16_e64 0x80, v160
; %bb.2487:                             ;   in Loop: Header=BB4_1840 Depth=4
	s_mov_b32 s38, 0x7f800001
	s_xor_b32 s14, exec_lo, -1
; %bb.2488:                             ;   in Loop: Header=BB4_1840 Depth=4
	s_or_b32 exec_lo, exec_lo, s40
	s_delay_alu instid0(SALU_CYCLE_1)
	s_and_b32 s14, s14, exec_lo
	s_or_saveexec_b32 s39, s39
	v_mov_b32_e32 v161, s38
	s_xor_b32 exec_lo, exec_lo, s39
	s_cbranch_execz .LBB4_2173
.LBB4_2489:                             ;   in Loop: Header=BB4_1840 Depth=4
	v_cmp_ne_u16_e64 vcc_lo, 0, v160
	v_mov_b32_e32 v161, 0
	s_and_not1_b32 s14, s14, exec_lo
	s_delay_alu instid0(VALU_DEP_2) | instskip(NEXT) | instid1(SALU_CYCLE_1)
	s_and_b32 vcc_lo, vcc_lo, exec_lo
	s_or_b32 s14, s14, vcc_lo
	s_or_b32 exec_lo, exec_lo, s39
	s_and_saveexec_b32 s38, s14
	s_cbranch_execnz .LBB4_2174
	s_branch .LBB4_2175
.LBB4_2490:                             ;   in Loop: Header=BB4_1840 Depth=4
	s_mov_b32 s14, -1
	s_mov_b32 s40, exec_lo
                                        ; implicit-def: $sgpr38
	v_cmpx_eq_u16_e64 0x80, v151
; %bb.2491:                             ;   in Loop: Header=BB4_1840 Depth=4
	s_mov_b32 s38, 0x7f800001
	s_xor_b32 s14, exec_lo, -1
; %bb.2492:                             ;   in Loop: Header=BB4_1840 Depth=4
	s_or_b32 exec_lo, exec_lo, s40
	s_delay_alu instid0(SALU_CYCLE_1)
	s_and_b32 s14, s14, exec_lo
	s_or_saveexec_b32 s39, s39
	v_mov_b32_e32 v14, s38
	s_xor_b32 exec_lo, exec_lo, s39
	s_cbranch_execz .LBB4_2177
.LBB4_2493:                             ;   in Loop: Header=BB4_1840 Depth=4
	v_cmp_ne_u16_e64 vcc_lo, 0, v151
	v_mov_b32_e32 v14, 0
	s_and_not1_b32 s14, s14, exec_lo
	s_delay_alu instid0(VALU_DEP_2) | instskip(NEXT) | instid1(SALU_CYCLE_1)
	s_and_b32 vcc_lo, vcc_lo, exec_lo
	s_or_b32 s14, s14, vcc_lo
	s_or_b32 exec_lo, exec_lo, s39
	s_and_saveexec_b32 s38, s14
	s_cbranch_execnz .LBB4_2178
	s_branch .LBB4_2179
.LBB4_2494:                             ;   in Loop: Header=BB4_1840 Depth=4
	s_mov_b32 s14, -1
	s_mov_b32 s40, exec_lo
                                        ; implicit-def: $sgpr38
	v_cmpx_eq_u16_e64 0x80, v151
; %bb.2495:                             ;   in Loop: Header=BB4_1840 Depth=4
	s_mov_b32 s38, 0x7f800001
	s_xor_b32 s14, exec_lo, -1
; %bb.2496:                             ;   in Loop: Header=BB4_1840 Depth=4
	s_or_b32 exec_lo, exec_lo, s40
	s_delay_alu instid0(SALU_CYCLE_1)
	s_and_b32 s14, s14, exec_lo
                                        ; implicit-def: $vgpr151
	s_or_saveexec_b32 s39, s39
	v_mov_b32_e32 v14, s38
	s_xor_b32 exec_lo, exec_lo, s39
	s_cbranch_execz .LBB4_2191
.LBB4_2497:                             ;   in Loop: Header=BB4_1840 Depth=4
	v_cmp_ne_u16_e64 vcc_lo, 0, v151
	v_mov_b32_e32 v14, 0
	s_and_not1_b32 s14, s14, exec_lo
	s_delay_alu instid0(VALU_DEP_2) | instskip(NEXT) | instid1(SALU_CYCLE_1)
	s_and_b32 vcc_lo, vcc_lo, exec_lo
	s_or_b32 s14, s14, vcc_lo
	s_or_b32 exec_lo, exec_lo, s39
	s_and_saveexec_b32 s38, s14
	s_cbranch_execnz .LBB4_2192
	s_branch .LBB4_2193
.LBB4_2498:                             ;   in Loop: Header=BB4_1840 Depth=4
	s_mov_b32 s14, -1
	s_mov_b32 s40, exec_lo
                                        ; implicit-def: $sgpr38
	v_cmpx_eq_u16_e64 0x80, v160
; %bb.2499:                             ;   in Loop: Header=BB4_1840 Depth=4
	s_mov_b32 s38, 0x7f800001
	s_xor_b32 s14, exec_lo, -1
; %bb.2500:                             ;   in Loop: Header=BB4_1840 Depth=4
	s_or_b32 exec_lo, exec_lo, s40
	s_delay_alu instid0(SALU_CYCLE_1)
	s_and_b32 s14, s14, exec_lo
                                        ; implicit-def: $vgpr160
	s_or_saveexec_b32 s39, s39
	v_mov_b32_e32 v151, s38
	s_xor_b32 exec_lo, exec_lo, s39
	s_cbranch_execz .LBB4_2195
.LBB4_2501:                             ;   in Loop: Header=BB4_1840 Depth=4
	v_cmp_ne_u16_e64 vcc_lo, 0, v160
	v_mov_b32_e32 v151, 0
	s_and_not1_b32 s14, s14, exec_lo
	s_delay_alu instid0(VALU_DEP_2) | instskip(NEXT) | instid1(SALU_CYCLE_1)
	s_and_b32 vcc_lo, vcc_lo, exec_lo
	s_or_b32 s14, s14, vcc_lo
	s_or_b32 exec_lo, exec_lo, s39
	s_and_saveexec_b32 s38, s14
	s_cbranch_execnz .LBB4_2196
	s_branch .LBB4_2197
.LBB4_2502:                             ;   in Loop: Header=BB4_1840 Depth=4
	s_mov_b32 s14, -1
	s_mov_b32 s40, exec_lo
                                        ; implicit-def: $sgpr38
	v_cmpx_eq_u16_e64 0x80, v151
; %bb.2503:                             ;   in Loop: Header=BB4_1840 Depth=4
	s_mov_b32 s38, 0x7f800001
	s_xor_b32 s14, exec_lo, -1
; %bb.2504:                             ;   in Loop: Header=BB4_1840 Depth=4
	s_or_b32 exec_lo, exec_lo, s40
	s_delay_alu instid0(SALU_CYCLE_1)
	s_and_b32 s14, s14, exec_lo
                                        ; implicit-def: $vgpr151
	s_or_saveexec_b32 s39, s39
	v_mov_b32_e32 v14, s38
	s_xor_b32 exec_lo, exec_lo, s39
	s_cbranch_execz .LBB4_2202
.LBB4_2505:                             ;   in Loop: Header=BB4_1840 Depth=4
	v_cmp_ne_u16_e64 vcc_lo, 0, v151
	v_mov_b32_e32 v14, 0
	s_and_not1_b32 s14, s14, exec_lo
	s_delay_alu instid0(VALU_DEP_2) | instskip(NEXT) | instid1(SALU_CYCLE_1)
	s_and_b32 vcc_lo, vcc_lo, exec_lo
	s_or_b32 s14, s14, vcc_lo
	s_or_b32 exec_lo, exec_lo, s39
	s_and_saveexec_b32 s38, s14
	s_cbranch_execnz .LBB4_2203
	s_branch .LBB4_2204
.LBB4_2506:                             ;   in Loop: Header=BB4_1840 Depth=4
	s_mov_b32 s14, -1
	s_mov_b32 s40, exec_lo
                                        ; implicit-def: $sgpr38
	v_cmpx_eq_u16_e64 0x80, v160
; %bb.2507:                             ;   in Loop: Header=BB4_1840 Depth=4
	s_mov_b32 s38, 0x7f800001
	s_xor_b32 s14, exec_lo, -1
; %bb.2508:                             ;   in Loop: Header=BB4_1840 Depth=4
	s_or_b32 exec_lo, exec_lo, s40
	s_delay_alu instid0(SALU_CYCLE_1)
	s_and_b32 s14, s14, exec_lo
                                        ; implicit-def: $vgpr160
	s_or_saveexec_b32 s39, s39
	v_mov_b32_e32 v151, s38
	s_xor_b32 exec_lo, exec_lo, s39
	s_cbranch_execz .LBB4_2206
.LBB4_2509:                             ;   in Loop: Header=BB4_1840 Depth=4
	v_cmp_ne_u16_e64 vcc_lo, 0, v160
	v_mov_b32_e32 v151, 0
	s_and_not1_b32 s14, s14, exec_lo
	s_delay_alu instid0(VALU_DEP_2) | instskip(NEXT) | instid1(SALU_CYCLE_1)
	s_and_b32 vcc_lo, vcc_lo, exec_lo
	s_or_b32 s14, s14, vcc_lo
	s_or_b32 exec_lo, exec_lo, s39
	s_and_saveexec_b32 s38, s14
	s_cbranch_execnz .LBB4_2207
	s_branch .LBB4_2208
.LBB4_2510:                             ;   in Loop: Header=BB4_1840 Depth=4
	s_mov_b32 s14, -1
	s_mov_b32 s40, exec_lo
                                        ; implicit-def: $sgpr38
	v_cmpx_eq_u16_e64 0x80, v160
; %bb.2511:                             ;   in Loop: Header=BB4_1840 Depth=4
	s_mov_b32 s38, 0x7f800001
	s_xor_b32 s14, exec_lo, -1
; %bb.2512:                             ;   in Loop: Header=BB4_1840 Depth=4
	s_or_b32 exec_lo, exec_lo, s40
	s_delay_alu instid0(SALU_CYCLE_1)
	s_and_b32 s14, s14, exec_lo
	s_or_saveexec_b32 s39, s39
	v_mov_b32_e32 v161, s38
	s_xor_b32 exec_lo, exec_lo, s39
	s_cbranch_execz .LBB4_2220
.LBB4_2513:                             ;   in Loop: Header=BB4_1840 Depth=4
	v_cmp_ne_u16_e64 vcc_lo, 0, v160
	v_mov_b32_e32 v161, 0
	s_and_not1_b32 s14, s14, exec_lo
	s_delay_alu instid0(VALU_DEP_2) | instskip(NEXT) | instid1(SALU_CYCLE_1)
	s_and_b32 vcc_lo, vcc_lo, exec_lo
	s_or_b32 s14, s14, vcc_lo
	s_or_b32 exec_lo, exec_lo, s39
	s_and_saveexec_b32 s38, s14
	s_cbranch_execnz .LBB4_2221
	s_branch .LBB4_2222
.LBB4_2514:                             ;   in Loop: Header=BB4_1840 Depth=4
	s_mov_b32 s14, -1
	s_mov_b32 s40, exec_lo
                                        ; implicit-def: $sgpr38
	v_cmpx_eq_u16_e64 0x80, v151
; %bb.2515:                             ;   in Loop: Header=BB4_1840 Depth=4
	s_mov_b32 s38, 0x7f800001
	s_xor_b32 s14, exec_lo, -1
; %bb.2516:                             ;   in Loop: Header=BB4_1840 Depth=4
	s_or_b32 exec_lo, exec_lo, s40
	s_delay_alu instid0(SALU_CYCLE_1)
	s_and_b32 s14, s14, exec_lo
	s_or_saveexec_b32 s39, s39
	v_mov_b32_e32 v162, s38
	s_xor_b32 exec_lo, exec_lo, s39
	s_cbranch_execz .LBB4_2224
.LBB4_2517:                             ;   in Loop: Header=BB4_1840 Depth=4
	v_cmp_ne_u16_e64 vcc_lo, 0, v151
	v_mov_b32_e32 v162, 0
	s_and_not1_b32 s14, s14, exec_lo
	s_delay_alu instid0(VALU_DEP_2) | instskip(NEXT) | instid1(SALU_CYCLE_1)
	s_and_b32 vcc_lo, vcc_lo, exec_lo
	s_or_b32 s14, s14, vcc_lo
	s_or_b32 exec_lo, exec_lo, s39
	s_and_saveexec_b32 s38, s14
	s_cbranch_execnz .LBB4_2225
	s_branch .LBB4_2226
.LBB4_2518:                             ;   in Loop: Header=BB4_1840 Depth=4
	s_mov_b32 s14, -1
	s_mov_b32 s40, exec_lo
                                        ; implicit-def: $sgpr38
	v_cmpx_eq_u16_e64 0x80, v160
; %bb.2519:                             ;   in Loop: Header=BB4_1840 Depth=4
	s_mov_b32 s38, 0x7f800001
	s_xor_b32 s14, exec_lo, -1
; %bb.2520:                             ;   in Loop: Header=BB4_1840 Depth=4
	s_or_b32 exec_lo, exec_lo, s40
	s_delay_alu instid0(SALU_CYCLE_1)
	s_and_b32 s14, s14, exec_lo
	s_or_saveexec_b32 s39, s39
	v_mov_b32_e32 v161, s38
	s_xor_b32 exec_lo, exec_lo, s39
	s_cbranch_execz .LBB4_2231
.LBB4_2521:                             ;   in Loop: Header=BB4_1840 Depth=4
	v_cmp_ne_u16_e64 vcc_lo, 0, v160
	v_mov_b32_e32 v161, 0
	s_and_not1_b32 s14, s14, exec_lo
	s_delay_alu instid0(VALU_DEP_2) | instskip(NEXT) | instid1(SALU_CYCLE_1)
	s_and_b32 vcc_lo, vcc_lo, exec_lo
	s_or_b32 s14, s14, vcc_lo
	s_or_b32 exec_lo, exec_lo, s39
	s_and_saveexec_b32 s38, s14
	s_cbranch_execnz .LBB4_2232
	s_branch .LBB4_2233
.LBB4_2522:                             ;   in Loop: Header=BB4_1840 Depth=4
	s_mov_b32 s14, -1
	s_mov_b32 s40, exec_lo
                                        ; implicit-def: $sgpr38
	v_cmpx_eq_u16_e64 0x80, v151
; %bb.2523:                             ;   in Loop: Header=BB4_1840 Depth=4
	s_mov_b32 s38, 0x7f800001
	s_xor_b32 s14, exec_lo, -1
; %bb.2524:                             ;   in Loop: Header=BB4_1840 Depth=4
	s_or_b32 exec_lo, exec_lo, s40
	s_delay_alu instid0(SALU_CYCLE_1)
	s_and_b32 s14, s14, exec_lo
	s_or_saveexec_b32 s39, s39
	v_mov_b32_e32 v160, s38
	s_xor_b32 exec_lo, exec_lo, s39
	s_cbranch_execz .LBB4_2235
.LBB4_2525:                             ;   in Loop: Header=BB4_1840 Depth=4
	v_cmp_ne_u16_e64 vcc_lo, 0, v151
	v_mov_b32_e32 v160, 0
	s_and_not1_b32 s14, s14, exec_lo
	s_delay_alu instid0(VALU_DEP_2) | instskip(NEXT) | instid1(SALU_CYCLE_1)
	s_and_b32 vcc_lo, vcc_lo, exec_lo
	s_or_b32 s14, s14, vcc_lo
	s_or_b32 exec_lo, exec_lo, s39
	s_and_saveexec_b32 s38, s14
	s_cbranch_execnz .LBB4_2236
	s_branch .LBB4_2237
.LBB4_2526:                             ;   in Loop: Header=BB4_1840 Depth=4
	s_mov_b32 s14, -1
	s_mov_b32 s40, exec_lo
                                        ; implicit-def: $sgpr38
	v_cmpx_eq_u16_e64 0x80, v163
; %bb.2527:                             ;   in Loop: Header=BB4_1840 Depth=4
	s_mov_b32 s38, 0x7f800001
	s_xor_b32 s14, exec_lo, -1
; %bb.2528:                             ;   in Loop: Header=BB4_1840 Depth=4
	s_or_b32 exec_lo, exec_lo, s40
	s_delay_alu instid0(SALU_CYCLE_1)
	s_and_b32 s14, s14, exec_lo
                                        ; implicit-def: $vgpr163
	s_or_saveexec_b32 s39, s39
	v_mov_b32_e32 v162, s38
	s_xor_b32 exec_lo, exec_lo, s39
	s_cbranch_execz .LBB4_2249
.LBB4_2529:                             ;   in Loop: Header=BB4_1840 Depth=4
	v_cmp_ne_u16_e64 vcc_lo, 0, v163
	v_mov_b32_e32 v162, 0
	s_and_not1_b32 s14, s14, exec_lo
	s_delay_alu instid0(VALU_DEP_2) | instskip(NEXT) | instid1(SALU_CYCLE_1)
	s_and_b32 vcc_lo, vcc_lo, exec_lo
	s_or_b32 s14, s14, vcc_lo
	s_or_b32 exec_lo, exec_lo, s39
	s_and_saveexec_b32 s38, s14
	s_cbranch_execnz .LBB4_2250
	s_branch .LBB4_2251
.LBB4_2530:                             ;   in Loop: Header=BB4_1840 Depth=4
	s_mov_b32 s14, -1
	s_mov_b32 s40, exec_lo
                                        ; implicit-def: $sgpr38
	v_cmpx_eq_u16_e64 0x80, v164
; %bb.2531:                             ;   in Loop: Header=BB4_1840 Depth=4
	s_mov_b32 s38, 0x7f800001
	s_xor_b32 s14, exec_lo, -1
; %bb.2532:                             ;   in Loop: Header=BB4_1840 Depth=4
	s_or_b32 exec_lo, exec_lo, s40
	s_delay_alu instid0(SALU_CYCLE_1)
	s_and_b32 s14, s14, exec_lo
                                        ; implicit-def: $vgpr164
	s_or_saveexec_b32 s39, s39
	v_mov_b32_e32 v163, s38
	s_xor_b32 exec_lo, exec_lo, s39
	s_cbranch_execz .LBB4_2253
.LBB4_2533:                             ;   in Loop: Header=BB4_1840 Depth=4
	v_cmp_ne_u16_e64 vcc_lo, 0, v164
	v_mov_b32_e32 v163, 0
	s_and_not1_b32 s14, s14, exec_lo
	s_delay_alu instid0(VALU_DEP_2) | instskip(NEXT) | instid1(SALU_CYCLE_1)
	s_and_b32 vcc_lo, vcc_lo, exec_lo
	s_or_b32 s14, s14, vcc_lo
	s_or_b32 exec_lo, exec_lo, s39
	s_and_saveexec_b32 s38, s14
	s_cbranch_execnz .LBB4_2254
	s_branch .LBB4_2255
.LBB4_2534:                             ;   in Loop: Header=BB4_1840 Depth=4
	s_mov_b32 s14, -1
	s_mov_b32 s40, exec_lo
                                        ; implicit-def: $sgpr38
	v_cmpx_eq_u16_e64 0x80, v163
; %bb.2535:                             ;   in Loop: Header=BB4_1840 Depth=4
	s_mov_b32 s38, 0x7f800001
	s_xor_b32 s14, exec_lo, -1
; %bb.2536:                             ;   in Loop: Header=BB4_1840 Depth=4
	s_or_b32 exec_lo, exec_lo, s40
	s_delay_alu instid0(SALU_CYCLE_1)
	s_and_b32 s14, s14, exec_lo
                                        ; implicit-def: $vgpr163
	s_or_saveexec_b32 s39, s39
	v_mov_b32_e32 v162, s38
	s_xor_b32 exec_lo, exec_lo, s39
	s_cbranch_execz .LBB4_2260
.LBB4_2537:                             ;   in Loop: Header=BB4_1840 Depth=4
	v_cmp_ne_u16_e64 vcc_lo, 0, v163
	v_mov_b32_e32 v162, 0
	s_and_not1_b32 s14, s14, exec_lo
	s_delay_alu instid0(VALU_DEP_2) | instskip(NEXT) | instid1(SALU_CYCLE_1)
	s_and_b32 vcc_lo, vcc_lo, exec_lo
	s_or_b32 s14, s14, vcc_lo
	s_or_b32 exec_lo, exec_lo, s39
	s_and_saveexec_b32 s38, s14
	s_cbranch_execnz .LBB4_2261
	s_branch .LBB4_2262
.LBB4_2538:                             ;   in Loop: Header=BB4_1840 Depth=4
	s_mov_b32 s14, -1
	s_mov_b32 s40, exec_lo
                                        ; implicit-def: $sgpr38
	v_cmpx_eq_u16_e64 0x80, v163
; %bb.2539:                             ;   in Loop: Header=BB4_1840 Depth=4
	s_mov_b32 s38, 0x7f800001
	s_xor_b32 s14, exec_lo, -1
; %bb.2540:                             ;   in Loop: Header=BB4_1840 Depth=4
	s_or_b32 exec_lo, exec_lo, s40
	s_delay_alu instid0(SALU_CYCLE_1)
	s_and_b32 s14, s14, exec_lo
                                        ; implicit-def: $vgpr163
	s_or_saveexec_b32 s39, s39
	v_mov_b32_e32 v161, s38
	s_xor_b32 exec_lo, exec_lo, s39
	s_cbranch_execz .LBB4_2264
.LBB4_2541:                             ;   in Loop: Header=BB4_1840 Depth=4
	v_cmp_ne_u16_e64 vcc_lo, 0, v163
	v_mov_b32_e32 v161, 0
	s_and_not1_b32 s14, s14, exec_lo
	s_delay_alu instid0(VALU_DEP_2) | instskip(NEXT) | instid1(SALU_CYCLE_1)
	s_and_b32 vcc_lo, vcc_lo, exec_lo
	s_or_b32 s14, s14, vcc_lo
	s_or_b32 exec_lo, exec_lo, s39
	s_and_saveexec_b32 s38, s14
	s_cbranch_execnz .LBB4_2265
	s_branch .LBB4_2266
.LBB4_2542:                             ;   in Loop: Header=BB4_1840 Depth=4
	s_mov_b32 s14, -1
	s_mov_b32 s40, exec_lo
                                        ; implicit-def: $sgpr38
	v_cmpx_eq_u16_e64 0x80, v162
; %bb.2543:                             ;   in Loop: Header=BB4_1840 Depth=4
	s_mov_b32 s38, 0x7f800001
	s_xor_b32 s14, exec_lo, -1
; %bb.2544:                             ;   in Loop: Header=BB4_1840 Depth=4
	s_or_b32 exec_lo, exec_lo, s40
	s_delay_alu instid0(SALU_CYCLE_1)
	s_and_b32 s14, s14, exec_lo
	s_or_saveexec_b32 s39, s39
	v_mov_b32_e32 v163, s38
	s_xor_b32 exec_lo, exec_lo, s39
	s_cbranch_execz .LBB4_2278
.LBB4_2545:                             ;   in Loop: Header=BB4_1840 Depth=4
	v_cmp_ne_u16_e64 vcc_lo, 0, v162
	v_mov_b32_e32 v163, 0
	s_and_not1_b32 s14, s14, exec_lo
	s_delay_alu instid0(VALU_DEP_2) | instskip(NEXT) | instid1(SALU_CYCLE_1)
	s_and_b32 vcc_lo, vcc_lo, exec_lo
	s_or_b32 s14, s14, vcc_lo
	s_or_b32 exec_lo, exec_lo, s39
	s_and_saveexec_b32 s38, s14
	s_cbranch_execnz .LBB4_2279
	s_branch .LBB4_2280
.LBB4_2546:                             ;   in Loop: Header=BB4_1840 Depth=4
	s_mov_b32 s14, -1
	s_mov_b32 s40, exec_lo
                                        ; implicit-def: $sgpr38
	v_cmpx_eq_u16_e64 0x80, v161
; %bb.2547:                             ;   in Loop: Header=BB4_1840 Depth=4
	s_mov_b32 s38, 0x7f800001
	s_xor_b32 s14, exec_lo, -1
; %bb.2548:                             ;   in Loop: Header=BB4_1840 Depth=4
	s_or_b32 exec_lo, exec_lo, s40
	s_delay_alu instid0(SALU_CYCLE_1)
	s_and_b32 s14, s14, exec_lo
	s_or_saveexec_b32 s39, s39
	v_mov_b32_e32 v164, s38
	s_xor_b32 exec_lo, exec_lo, s39
	s_cbranch_execz .LBB4_2282
.LBB4_2549:                             ;   in Loop: Header=BB4_1840 Depth=4
	v_cmp_ne_u16_e64 vcc_lo, 0, v161
	v_mov_b32_e32 v164, 0
	s_and_not1_b32 s14, s14, exec_lo
	s_delay_alu instid0(VALU_DEP_2) | instskip(NEXT) | instid1(SALU_CYCLE_1)
	s_and_b32 vcc_lo, vcc_lo, exec_lo
	s_or_b32 s14, s14, vcc_lo
	s_or_b32 exec_lo, exec_lo, s39
	s_and_saveexec_b32 s38, s14
	s_cbranch_execnz .LBB4_2283
	s_branch .LBB4_2284
.LBB4_2550:                             ;   in Loop: Header=BB4_1840 Depth=4
	s_mov_b32 s14, -1
	s_mov_b32 s40, exec_lo
                                        ; implicit-def: $sgpr38
	v_cmpx_eq_u16_e64 0x80, v162
; %bb.2551:                             ;   in Loop: Header=BB4_1840 Depth=4
	s_mov_b32 s38, 0x7f800001
	s_xor_b32 s14, exec_lo, -1
; %bb.2552:                             ;   in Loop: Header=BB4_1840 Depth=4
	s_or_b32 exec_lo, exec_lo, s40
	s_delay_alu instid0(SALU_CYCLE_1)
	s_and_b32 s14, s14, exec_lo
	s_or_saveexec_b32 s39, s39
	v_mov_b32_e32 v163, s38
	s_xor_b32 exec_lo, exec_lo, s39
	s_cbranch_execz .LBB4_2289
.LBB4_2553:                             ;   in Loop: Header=BB4_1840 Depth=4
	v_cmp_ne_u16_e64 vcc_lo, 0, v162
	v_mov_b32_e32 v163, 0
	s_and_not1_b32 s14, s14, exec_lo
	s_delay_alu instid0(VALU_DEP_2) | instskip(NEXT) | instid1(SALU_CYCLE_1)
	s_and_b32 vcc_lo, vcc_lo, exec_lo
	s_or_b32 s14, s14, vcc_lo
	s_or_b32 exec_lo, exec_lo, s39
	s_and_saveexec_b32 s38, s14
	s_cbranch_execnz .LBB4_2290
	s_branch .LBB4_2291
.LBB4_2554:                             ;   in Loop: Header=BB4_1840 Depth=4
	s_mov_b32 s14, -1
	s_mov_b32 s40, exec_lo
                                        ; implicit-def: $sgpr38
	v_cmpx_eq_u16_e64 0x80, v161
; %bb.2555:                             ;   in Loop: Header=BB4_1840 Depth=4
	s_mov_b32 s38, 0x7f800001
	s_xor_b32 s14, exec_lo, -1
; %bb.2556:                             ;   in Loop: Header=BB4_1840 Depth=4
	s_or_b32 exec_lo, exec_lo, s40
	s_delay_alu instid0(SALU_CYCLE_1)
	s_and_b32 s14, s14, exec_lo
	s_or_saveexec_b32 s39, s39
	v_mov_b32_e32 v15, s38
	s_xor_b32 exec_lo, exec_lo, s39
	s_cbranch_execz .LBB4_2293
.LBB4_2557:                             ;   in Loop: Header=BB4_1840 Depth=4
	v_cmp_ne_u16_e64 vcc_lo, 0, v161
	v_mov_b32_e32 v15, 0
	s_and_not1_b32 s14, s14, exec_lo
	s_delay_alu instid0(VALU_DEP_2) | instskip(NEXT) | instid1(SALU_CYCLE_1)
	s_and_b32 vcc_lo, vcc_lo, exec_lo
	s_or_b32 s14, s14, vcc_lo
	s_or_b32 exec_lo, exec_lo, s39
	s_and_saveexec_b32 s38, s14
	s_cbranch_execnz .LBB4_2294
	s_branch .LBB4_2295
.LBB4_2558:                             ;   in Loop: Header=BB4_305 Depth=3
	s_or_b32 exec_lo, exec_lo, s36
.LBB4_2559:                             ;   in Loop: Header=BB4_305 Depth=3
	s_delay_alu instid0(SALU_CYCLE_1) | instskip(SKIP_3) | instid1(VALU_DEP_1)
	s_or_b32 exec_lo, exec_lo, s35
	v_dual_mov_b32 v14, 0 :: v_dual_and_b32 v9, 15, v69
	s_mov_b32 s14, 0
	s_mov_b32 s35, exec_lo
                                        ; implicit-def: $vgpr16
                                        ; implicit-def: $vgpr8
	v_cndmask_b32_e64 v15, v80, v9, s13
	s_delay_alu instid0(VALU_DEP_1)
	v_cmpx_ne_u32_e32 0, v15
	s_cbranch_execz .LBB4_2561
; %bb.2560:                             ;   in Loop: Header=BB4_305 Depth=3
	v_cmp_lt_i32_e32 vcc_lo, 0, v81
	v_sub_nc_u32_e32 v9, v80, v9
	s_mov_b32 s14, exec_lo
	v_cndmask_b32_e32 v8, 0, v97, vcc_lo
	s_delay_alu instid0(VALU_DEP_2) | instskip(NEXT) | instid1(VALU_DEP_2)
	v_cndmask_b32_e64 v9, 0, v9, s13
	v_sub_nc_u32_e32 v8, v8, v81
	s_delay_alu instid0(VALU_DEP_2) | instskip(NEXT) | instid1(VALU_DEP_2)
	v_add3_u32 v14, v2, v22, v9
	v_lshl_add_u32 v16, v8, 5, v23
	s_delay_alu instid0(VALU_DEP_1) | instskip(NEXT) | instid1(VALU_DEP_1)
	v_ashrrev_i32_e32 v8, 31, v16
	v_lshrrev_b32_e32 v8, 27, v8
	s_delay_alu instid0(VALU_DEP_1) | instskip(NEXT) | instid1(VALU_DEP_1)
	v_add_nc_u32_e32 v8, v16, v8
	v_ashrrev_i32_e32 v8, 5, v8
.LBB4_2561:                             ;   in Loop: Header=BB4_305 Depth=3
	s_or_b32 exec_lo, exec_lo, s35
	s_delay_alu instid0(SALU_CYCLE_1)
	s_and_b32 s13, s14, exec_lo
.LBB4_2562:                             ;   in Loop: Header=BB4_305 Depth=3
	s_or_b32 exec_lo, exec_lo, s34
.LBB4_2563:                             ;   in Loop: Header=BB4_305 Depth=3
	s_and_saveexec_b32 s14, s13
	s_cbranch_execz .LBB4_3340
; %bb.2564:                             ;   in Loop: Header=BB4_305 Depth=3
	s_delay_alu instid0(VALU_DEP_1) | instskip(SKIP_1) | instid1(VALU_DEP_1)
	v_ashrrev_i32_e32 v2, 31, v15
	s_mov_b32 s34, exec_lo
	v_lshrrev_b32_e32 v2, 23, v2
	s_delay_alu instid0(VALU_DEP_1) | instskip(NEXT) | instid1(VALU_DEP_1)
	v_add_nc_u32_e32 v2, v15, v2
	v_ashrrev_i32_e32 v17, 9, v2
	s_delay_alu instid0(VALU_DEP_1) | instskip(NEXT) | instid1(VALU_DEP_1)
	v_sub_nc_u32_e32 v2, v17, v8
	v_cmpx_lt_i32_e32 0, v2
	s_cbranch_execz .LBB4_3289
; %bb.2565:                             ;   in Loop: Header=BB4_305 Depth=3
	s_cbranch_execz .LBB4_2566
; %bb.10864:
	s_getpc_b64 s[48:49]
.Lpost_getpc209:
	s_add_u32 s48, s48, (.LBB4_10474-.Lpost_getpc209)&4294967295
	s_addc_u32 s49, s49, (.LBB4_10474-.Lpost_getpc209)>>32
	s_setpc_b64 s[48:49]
.LBB4_2566:                             ;   in Loop: Header=BB4_305 Depth=3
	v_ashrrev_i32_e32 v9, 31, v16
	ds_load_b64 v[18:19], v0
	v_lshlrev_b32_e32 v8, 9, v8
	s_bitcmp1_b32 s31, 0
	s_mov_b32 s36, 0
	v_lshrrev_b32_e32 v9, 27, v9
	s_cselect_b32 s35, -1, 0
	s_delay_alu instid0(VALU_DEP_1) | instskip(NEXT) | instid1(VALU_DEP_1)
	v_add_nc_u32_e32 v9, v16, v9
	v_and_b32_e32 v13, 0xffffffe0, v9
	ds_load_b128 v[9:12], v0
	v_sub_nc_u32_e32 v13, v16, v13
	s_waitcnt lgkmcnt(1)
	v_add_co_u32 v18, vcc_lo, 0x1e0, v18
	v_add_co_ci_u32_e32 v19, vcc_lo, 0, v19, vcc_lo
	s_delay_alu instid0(VALU_DEP_3) | instskip(NEXT) | instid1(VALU_DEP_1)
	v_add3_u32 v13, v14, v13, v8
	v_ashrrev_i32_e32 v20, 31, v13
	s_waitcnt lgkmcnt(0)
	v_add_co_u32 v8, vcc_lo, v9, v13
	s_delay_alu instid0(VALU_DEP_2)
	v_add_co_ci_u32_e32 v9, vcc_lo, v10, v20, vcc_lo
	v_add_co_u32 v10, vcc_lo, v11, v13
	v_add_co_ci_u32_e32 v11, vcc_lo, v12, v20, vcc_lo
	v_add_co_u32 v12, vcc_lo, v18, v13
	v_add_co_ci_u32_e32 v13, vcc_lo, v19, v20, vcc_lo
	s_branch .LBB4_2570
.LBB4_2567:                             ;   in Loop: Header=BB4_2570 Depth=4
	s_or_b32 exec_lo, exec_lo, s13
	s_delay_alu instid0(VALU_DEP_1) | instskip(NEXT) | instid1(VALU_DEP_2)
	v_lshrrev_b32_e32 v19, 20, v19
	v_cmp_gt_i32_e32 vcc_lo, 16, v18
	v_lshrrev_b32_e32 v22, 24, v22
	v_min_i32_e32 v81, 15, v18
	s_delay_alu instid0(VALU_DEP_2) | instskip(NEXT) | instid1(VALU_DEP_1)
	v_dual_cndmask_b32 v19, 7, v19 :: v_dual_and_b32 v22, 0x80, v22
	v_or_b32_e32 v18, v18, v19
	v_and_b32_e32 v84, 7, v19
	s_delay_alu instid0(VALU_DEP_2) | instskip(SKIP_1) | instid1(VALU_DEP_1)
	v_cmp_ne_u32_e32 vcc_lo, 0, v18
	v_lshlrev_b32_e32 v81, 3, v81
	v_or3_b32 v19, v81, v22, v84
	s_delay_alu instid0(VALU_DEP_1)
	v_cndmask_b32_e32 v18, 0, v19, vcc_lo
.LBB4_2568:                             ;   in Loop: Header=BB4_2570 Depth=4
	s_or_b32 exec_lo, exec_lo, s38
.LBB4_2569:                             ;   in Loop: Header=BB4_2570 Depth=4
	s_delay_alu instid0(SALU_CYCLE_1)
	s_or_b32 exec_lo, exec_lo, s37
	v_add_co_u32 v176, vcc_lo, 0xfffffe20, v12
	v_add_co_ci_u32_e32 v177, vcc_lo, -1, v13, vcc_lo
	v_add_co_u32 v178, vcc_lo, 0xfffffe40, v12
	v_add_co_ci_u32_e32 v179, vcc_lo, -1, v13, vcc_lo
	;; [unrolled: 2-line block ×5, first 2 shown]
	v_add_co_u32 v19, vcc_lo, 0xfffffec0, v12
	flat_store_b8 v[176:177], v20 glc slc dlc
	flat_store_b8 v[178:179], v23 glc slc dlc
	;; [unrolled: 1-line block ×5, first 2 shown]
	v_add_co_ci_u32_e32 v20, vcc_lo, -1, v13, vcc_lo
	v_add_co_u32 v22, vcc_lo, 0xfffffee0, v12
	v_add_co_ci_u32_e32 v23, vcc_lo, -1, v13, vcc_lo
	v_add_co_u32 v81, vcc_lo, 0xffffff00, v12
	;; [unrolled: 2-line block ×4, first 2 shown]
	v_add_co_ci_u32_e32 v149, vcc_lo, -1, v13, vcc_lo
	flat_store_b8 v[19:20], v160 glc slc dlc
	flat_store_b8 v[22:23], v163 glc slc dlc
	flat_store_b8 v[81:82], v166 glc slc dlc
	flat_store_b8 v[84:85], v164 glc slc dlc
	flat_store_b8 v[148:149], v161 glc slc dlc
	v_add_co_u32 v19, vcc_lo, 0xffffff60, v12
	v_add_co_ci_u32_e32 v20, vcc_lo, -1, v13, vcc_lo
	v_add_co_u32 v22, vcc_lo, 0xffffff80, v12
	v_add_co_ci_u32_e32 v23, vcc_lo, -1, v13, vcc_lo
	;; [unrolled: 2-line block ×5, first 2 shown]
	v_add_co_u32 v8, vcc_lo, v8, v117
	v_sub_nc_u32_e32 v2, v2, v97
	v_add_co_ci_u32_e32 v9, vcc_lo, v9, v118, vcc_lo
	v_add_co_u32 v10, vcc_lo, v10, v117
	v_add_co_ci_u32_e32 v11, vcc_lo, v11, v118, vcc_lo
	flat_store_b8 v[19:20], v150 glc slc dlc
	flat_store_b8 v[22:23], v147 glc slc dlc
	;; [unrolled: 1-line block ×6, first 2 shown]
	v_cmp_gt_i32_e32 vcc_lo, 1, v2
	v_add_co_u32 v12, s13, v12, v117
	s_delay_alu instid0(VALU_DEP_1) | instskip(SKIP_1) | instid1(SALU_CYCLE_1)
	v_add_co_ci_u32_e64 v13, s13, v13, v118, s13
	s_or_b32 s36, vcc_lo, s36
	s_and_not1_b32 exec_lo, exec_lo, s36
	s_cbranch_execz .LBB4_3288
.LBB4_2570:                             ;   Parent Loop BB4_51 Depth=1
                                        ;     Parent Loop BB4_303 Depth=2
                                        ;       Parent Loop BB4_305 Depth=3
                                        ; =>      This Inner Loop Header: Depth=4
	s_clause 0xf
	flat_load_u8 v182, v[8:9] slc dlc
	flat_load_u8 v181, v[8:9] offset:32 slc dlc
	flat_load_u8 v180, v[8:9] offset:64 slc dlc
	;; [unrolled: 1-line block ×15, first 2 shown]
	s_clause 0xf
	flat_load_u8 v20, v[10:11] slc dlc
	flat_load_u8 v23, v[10:11] offset:32 slc dlc
	flat_load_u8 v82, v[10:11] offset:64 slc dlc
	;; [unrolled: 1-line block ×15, first 2 shown]
	s_and_b32 vcc_lo, exec_lo, s35
	s_cbranch_vccz .LBB4_2580
; %bb.2571:                             ;   in Loop: Header=BB4_2570 Depth=4
	s_waitcnt vmcnt(31) lgkmcnt(31)
	v_and_b32_e32 v40, 0xff, v182
	s_mov_b32 s13, 0
	s_mov_b32 s38, exec_lo
                                        ; implicit-def: $sgpr37
	s_delay_alu instid0(VALU_DEP_1)
	v_cmpx_lt_i16_e32 0x7f, v40
	s_xor_b32 s38, exec_lo, s38
	s_cbranch_execnz .LBB4_3032
; %bb.2572:                             ;   in Loop: Header=BB4_2570 Depth=4
	s_or_saveexec_b32 s38, s38
	v_mov_b32_e32 v183, s37
	s_xor_b32 exec_lo, exec_lo, s38
	s_cbranch_execnz .LBB4_3035
.LBB4_2573:                             ;   in Loop: Header=BB4_2570 Depth=4
	s_or_b32 exec_lo, exec_lo, s38
	s_and_saveexec_b32 s37, s13
	s_cbranch_execz .LBB4_2575
.LBB4_2574:                             ;   in Loop: Header=BB4_2570 Depth=4
	v_lshrrev_b16 v42, 3, v182
	v_lshlrev_b32_e32 v43, 24, v182
	s_delay_alu instid0(VALU_DEP_2) | instskip(NEXT) | instid1(VALU_DEP_1)
	v_and_b32_e32 v42, 15, v42
	v_cmp_eq_u32_e32 vcc_lo, 0, v42
	v_and_b32_e32 v183, 7, v182
	s_delay_alu instid0(VALU_DEP_1) | instskip(NEXT) | instid1(VALU_DEP_1)
	v_clz_i32_u32_e32 v40, v183
	v_min_u32_e32 v40, 32, v40
	s_delay_alu instid0(VALU_DEP_1) | instskip(SKIP_1) | instid1(VALU_DEP_1)
	v_subrev_nc_u32_e32 v41, 28, v40
	v_sub_nc_u32_e32 v40, 29, v40
	v_dual_cndmask_b32 v40, v42, v40 :: v_dual_lshlrev_b32 v41, v41, v182
	s_delay_alu instid0(VALU_DEP_1) | instskip(NEXT) | instid1(VALU_DEP_2)
	v_and_b32_e32 v41, 7, v41
	v_lshl_add_u32 v40, v40, 23, 0x3b800000
	s_delay_alu instid0(VALU_DEP_2) | instskip(SKIP_1) | instid1(VALU_DEP_2)
	v_cndmask_b32_e32 v183, v183, v41, vcc_lo
	v_and_b32_e32 v41, 0x80000000, v43
	v_lshlrev_b32_e32 v183, 20, v183
	s_delay_alu instid0(VALU_DEP_1)
	v_or3_b32 v183, v41, v40, v183
.LBB4_2575:                             ;   in Loop: Header=BB4_2570 Depth=4
	s_or_b32 exec_lo, exec_lo, s37
	s_waitcnt vmcnt(15) lgkmcnt(15)
	v_and_b32_e32 v41, 0xff, v20
	s_mov_b32 s13, 0
	s_mov_b32 s38, exec_lo
                                        ; implicit-def: $sgpr37
	s_delay_alu instid0(VALU_DEP_1)
	v_cmpx_lt_i16_e32 0x7f, v41
	s_xor_b32 s38, exec_lo, s38
	s_cbranch_execnz .LBB4_3036
; %bb.2576:                             ;   in Loop: Header=BB4_2570 Depth=4
	s_or_saveexec_b32 s38, s38
	v_mov_b32_e32 v40, s37
	s_xor_b32 exec_lo, exec_lo, s38
	s_cbranch_execnz .LBB4_3039
.LBB4_2577:                             ;   in Loop: Header=BB4_2570 Depth=4
	s_or_b32 exec_lo, exec_lo, s38
	s_and_saveexec_b32 s37, s13
	s_cbranch_execz .LBB4_2579
.LBB4_2578:                             ;   in Loop: Header=BB4_2570 Depth=4
	v_lshrrev_b16 v43, 3, v20
	v_lshlrev_b32_e32 v44, 24, v20
	s_delay_alu instid0(VALU_DEP_2) | instskip(NEXT) | instid1(VALU_DEP_1)
	v_and_b32_e32 v43, 15, v43
	v_cmp_eq_u32_e32 vcc_lo, 0, v43
	v_and_b32_e32 v40, 7, v20
	s_delay_alu instid0(VALU_DEP_1) | instskip(NEXT) | instid1(VALU_DEP_1)
	v_clz_i32_u32_e32 v41, v40
	v_min_u32_e32 v41, 32, v41
	s_delay_alu instid0(VALU_DEP_1) | instskip(SKIP_1) | instid1(VALU_DEP_1)
	v_subrev_nc_u32_e32 v42, 28, v41
	v_sub_nc_u32_e32 v41, 29, v41
	v_dual_cndmask_b32 v41, v43, v41 :: v_dual_lshlrev_b32 v42, v42, v20
	s_delay_alu instid0(VALU_DEP_1) | instskip(NEXT) | instid1(VALU_DEP_2)
	v_and_b32_e32 v42, 7, v42
	v_lshl_add_u32 v41, v41, 23, 0x3b800000
	s_delay_alu instid0(VALU_DEP_2) | instskip(SKIP_1) | instid1(VALU_DEP_2)
	v_cndmask_b32_e32 v40, v40, v42, vcc_lo
	v_and_b32_e32 v42, 0x80000000, v44
	v_lshlrev_b32_e32 v40, 20, v40
	s_delay_alu instid0(VALU_DEP_1)
	v_or3_b32 v40, v42, v41, v40
.LBB4_2579:                             ;   in Loop: Header=BB4_2570 Depth=4
	s_or_b32 exec_lo, exec_lo, s37
	s_delay_alu instid0(VALU_DEP_1) | instskip(SKIP_1) | instid1(VALU_DEP_1)
	v_dual_max_f32 v40, v40, v40 :: v_dual_max_f32 v183, v183, v183
	s_mov_b32 s13, 0
	v_max_f32_e32 v183, v183, v40
	s_branch .LBB4_2581
.LBB4_2580:                             ;   in Loop: Header=BB4_2570 Depth=4
	s_mov_b32 s13, -1
                                        ; implicit-def: $vgpr183
.LBB4_2581:                             ;   in Loop: Header=BB4_2570 Depth=4
	s_delay_alu instid0(SALU_CYCLE_1)
	s_and_b32 vcc_lo, exec_lo, s13
	s_cbranch_vccz .LBB4_2591
; %bb.2582:                             ;   in Loop: Header=BB4_2570 Depth=4
	s_waitcnt vmcnt(31) lgkmcnt(31)
	v_and_b32_e32 v40, 0xff, v182
	s_mov_b32 s13, 0
	s_mov_b32 s38, exec_lo
                                        ; implicit-def: $sgpr37
	s_delay_alu instid0(VALU_DEP_1)
	v_cmpx_lt_i16_e32 0x7f, v40
	s_xor_b32 s38, exec_lo, s38
	s_cbranch_execnz .LBB4_3040
; %bb.2583:                             ;   in Loop: Header=BB4_2570 Depth=4
	s_or_saveexec_b32 s38, s38
	v_mov_b32_e32 v183, s37
	s_xor_b32 exec_lo, exec_lo, s38
	s_cbranch_execnz .LBB4_3043
.LBB4_2584:                             ;   in Loop: Header=BB4_2570 Depth=4
	s_or_b32 exec_lo, exec_lo, s38
	s_and_saveexec_b32 s37, s13
	s_cbranch_execz .LBB4_2586
.LBB4_2585:                             ;   in Loop: Header=BB4_2570 Depth=4
	v_lshrrev_b16 v42, 3, v182
	s_delay_alu instid0(VALU_DEP_1) | instskip(NEXT) | instid1(VALU_DEP_1)
	v_and_b32_e32 v42, 15, v42
	v_cmp_eq_u32_e32 vcc_lo, 0, v42
	v_and_b32_e32 v183, 7, v182
	s_delay_alu instid0(VALU_DEP_1) | instskip(NEXT) | instid1(VALU_DEP_1)
	v_clz_i32_u32_e32 v40, v183
	v_min_u32_e32 v40, 32, v40
	s_delay_alu instid0(VALU_DEP_1) | instskip(SKIP_1) | instid1(VALU_DEP_1)
	v_subrev_nc_u32_e32 v41, 28, v40
	v_sub_nc_u32_e32 v40, 29, v40
	v_dual_cndmask_b32 v40, v42, v40 :: v_dual_lshlrev_b32 v41, v41, v182
	v_lshlrev_b32_e32 v182, 24, v182
	s_delay_alu instid0(VALU_DEP_2) | instskip(NEXT) | instid1(VALU_DEP_3)
	v_and_b32_e32 v41, 7, v41
	v_lshl_add_u32 v40, v40, 23, 0x3b800000
	s_delay_alu instid0(VALU_DEP_2) | instskip(NEXT) | instid1(VALU_DEP_1)
	v_dual_cndmask_b32 v183, v183, v41 :: v_dual_and_b32 v182, 0x80000000, v182
	v_lshlrev_b32_e32 v183, 20, v183
	s_delay_alu instid0(VALU_DEP_1)
	v_or3_b32 v183, v182, v40, v183
.LBB4_2586:                             ;   in Loop: Header=BB4_2570 Depth=4
	s_or_b32 exec_lo, exec_lo, s37
	s_waitcnt vmcnt(15) lgkmcnt(15)
	v_and_b32_e32 v40, 0xff, v20
	s_mov_b32 s13, 0
	s_mov_b32 s38, exec_lo
                                        ; implicit-def: $sgpr37
	s_delay_alu instid0(VALU_DEP_1)
	v_cmpx_lt_i16_e32 0x7f, v40
	s_xor_b32 s38, exec_lo, s38
	s_cbranch_execnz .LBB4_3044
; %bb.2587:                             ;   in Loop: Header=BB4_2570 Depth=4
	s_or_saveexec_b32 s38, s38
	v_mov_b32_e32 v182, s37
	s_xor_b32 exec_lo, exec_lo, s38
	s_cbranch_execnz .LBB4_3047
.LBB4_2588:                             ;   in Loop: Header=BB4_2570 Depth=4
	s_or_b32 exec_lo, exec_lo, s38
	s_and_saveexec_b32 s37, s13
	s_cbranch_execz .LBB4_2590
.LBB4_2589:                             ;   in Loop: Header=BB4_2570 Depth=4
	v_and_b32_e32 v182, 7, v20
	v_lshrrev_b16 v42, 3, v20
	s_delay_alu instid0(VALU_DEP_2) | instskip(NEXT) | instid1(VALU_DEP_2)
	v_clz_i32_u32_e32 v40, v182
	v_and_b32_e32 v42, 15, v42
	s_delay_alu instid0(VALU_DEP_2) | instskip(NEXT) | instid1(VALU_DEP_2)
	v_min_u32_e32 v40, 32, v40
	v_cmp_eq_u32_e32 vcc_lo, 0, v42
	s_delay_alu instid0(VALU_DEP_2) | instskip(SKIP_1) | instid1(VALU_DEP_2)
	v_subrev_nc_u32_e32 v41, 28, v40
	v_sub_nc_u32_e32 v40, 29, v40
	v_lshlrev_b32_e32 v41, v41, v20
	v_lshlrev_b32_e32 v20, 24, v20
	s_delay_alu instid0(VALU_DEP_2) | instskip(NEXT) | instid1(VALU_DEP_2)
	v_dual_cndmask_b32 v40, v42, v40 :: v_dual_and_b32 v41, 7, v41
	v_and_b32_e32 v20, 0x80000000, v20
	s_delay_alu instid0(VALU_DEP_2) | instskip(NEXT) | instid1(VALU_DEP_3)
	v_lshl_add_u32 v40, v40, 23, 0x3b800000
	v_cndmask_b32_e32 v182, v182, v41, vcc_lo
	s_delay_alu instid0(VALU_DEP_1) | instskip(NEXT) | instid1(VALU_DEP_1)
	v_lshlrev_b32_e32 v182, 20, v182
	v_or3_b32 v182, v20, v40, v182
.LBB4_2590:                             ;   in Loop: Header=BB4_2570 Depth=4
	s_or_b32 exec_lo, exec_lo, s37
	s_delay_alu instid0(VALU_DEP_1) | instskip(SKIP_1) | instid1(VALU_DEP_1)
	v_max_f32_e32 v20, v182, v182
	v_max_f32_e32 v182, v183, v183
	v_min_f32_e32 v183, v182, v20
.LBB4_2591:                             ;   in Loop: Header=BB4_2570 Depth=4
	s_waitcnt vmcnt(15) lgkmcnt(15)
	s_delay_alu instid0(VALU_DEP_1) | instskip(NEXT) | instid1(VALU_DEP_1)
	v_and_b32_e32 v20, 0x7f800000, v183
	v_cmp_ne_u32_e32 vcc_lo, 0x7f800000, v20
	v_mov_b32_e32 v20, 0x80
	s_and_saveexec_b32 s37, vcc_lo
	s_cbranch_execz .LBB4_2599
; %bb.2592:                             ;   in Loop: Header=BB4_2570 Depth=4
	v_mov_b32_e32 v20, 0
	s_mov_b32 s38, exec_lo
	v_cmpx_ne_u32_e32 0, v183
	s_cbranch_execz .LBB4_2598
; %bb.2593:                             ;   in Loop: Header=BB4_2570 Depth=4
	v_bfe_u32 v20, v183, 23, 8
	v_and_b32_e32 v182, 0x7fffff, v183
	s_delay_alu instid0(VALU_DEP_2) | instskip(SKIP_1) | instid1(VALU_DEP_3)
	v_sub_nc_u32_e32 v40, 0x78, v20
	v_cmp_gt_u32_e32 vcc_lo, 0x79, v20
	v_or_b32_e32 v41, 0x800000, v182
	s_delay_alu instid0(VALU_DEP_3) | instskip(SKIP_2) | instid1(VALU_DEP_3)
	v_cndmask_b32_e32 v40, 0, v40, vcc_lo
	v_cmp_eq_u32_e32 vcc_lo, 0, v20
	v_add_nc_u32_e32 v20, 0xffffff89, v20
	v_cndmask_b32_e64 v40, v40, 0x77, vcc_lo
	v_cndmask_b32_e32 v182, v41, v182, vcc_lo
	s_delay_alu instid0(VALU_DEP_3) | instskip(NEXT) | instid1(VALU_DEP_3)
	v_cndmask_b32_e64 v20, v20, 0xffffff8a, vcc_lo
	v_lshl_add_u32 v41, 0x100000, v40, -1
	s_delay_alu instid0(VALU_DEP_3) | instskip(SKIP_1) | instid1(VALU_DEP_4)
	v_lshrrev_b32_e32 v42, v40, v182
	v_lshlrev_b32_e64 v44, v40, 0x80000
	v_add_nc_u32_e32 v40, v40, v20
	s_delay_alu instid0(VALU_DEP_4) | instskip(NEXT) | instid1(VALU_DEP_4)
	v_and_b32_e32 v182, v41, v182
	v_bfe_u32 v43, v42, 20, 1
	s_delay_alu instid0(VALU_DEP_2) | instskip(NEXT) | instid1(VALU_DEP_2)
	v_cmp_eq_u32_e64 s13, v182, v44
	v_add_nc_u32_e32 v41, -1, v43
	s_delay_alu instid0(VALU_DEP_1) | instskip(SKIP_2) | instid1(VALU_DEP_2)
	v_cndmask_b32_e64 v182, 0, v41, s13
	v_lshrrev_b32_e32 v41, 23, v42
	s_mov_b32 s13, exec_lo
	v_add_nc_u32_e32 v182, v182, v42
	s_delay_alu instid0(VALU_DEP_2) | instskip(NEXT) | instid1(VALU_DEP_2)
	v_xor_b32_e32 v41, 1, v41
	v_and_b32_e32 v20, 0xfffff, v182
	s_delay_alu instid0(VALU_DEP_1) | instskip(NEXT) | instid1(VALU_DEP_3)
	v_add_nc_u32_e32 v182, v20, v42
                                        ; implicit-def: $vgpr20
	v_cmpx_ne_u32_e64 v40, v41
	s_xor_b32 s13, exec_lo, s13
; %bb.2594:                             ;   in Loop: Header=BB4_2570 Depth=4
	s_delay_alu instid0(VALU_DEP_2) | instskip(SKIP_2) | instid1(VALU_DEP_2)
	v_cmp_lt_u32_e32 vcc_lo, 0xffffff, v182
	v_sub_nc_u32_e32 v20, v40, v41
	v_cndmask_b32_e64 v40, 0, 1, vcc_lo
	v_add_co_ci_u32_e32 v20, vcc_lo, 0, v20, vcc_lo
	s_delay_alu instid0(VALU_DEP_2)
	v_lshrrev_b32_e32 v182, v40, v182
; %bb.2595:                             ;   in Loop: Header=BB4_2570 Depth=4
	s_and_not1_saveexec_b32 s13, s13
; %bb.2596:                             ;   in Loop: Header=BB4_2570 Depth=4
	s_delay_alu instid0(VALU_DEP_1)
	v_bfe_u32 v20, v182, 23, 1
; %bb.2597:                             ;   in Loop: Header=BB4_2570 Depth=4
	s_or_b32 exec_lo, exec_lo, s13
	v_lshrrev_b32_e32 v182, 20, v182
	s_delay_alu instid0(VALU_DEP_2) | instskip(SKIP_2) | instid1(VALU_DEP_2)
	v_cmp_gt_i32_e32 vcc_lo, 16, v20
	v_lshrrev_b32_e32 v183, 24, v183
	v_min_i32_e32 v40, 15, v20
	v_dual_cndmask_b32 v182, 7, v182 :: v_dual_and_b32 v183, 0x80, v183
	s_delay_alu instid0(VALU_DEP_2) | instskip(NEXT) | instid1(VALU_DEP_2)
	v_lshlrev_b32_e32 v40, 3, v40
	v_and_b32_e32 v41, 7, v182
	v_or_b32_e32 v20, v20, v182
	s_delay_alu instid0(VALU_DEP_2) | instskip(NEXT) | instid1(VALU_DEP_2)
	v_or3_b32 v182, v40, v183, v41
	v_cmp_ne_u32_e32 vcc_lo, 0, v20
	s_delay_alu instid0(VALU_DEP_2)
	v_cndmask_b32_e32 v20, 0, v182, vcc_lo
.LBB4_2598:                             ;   in Loop: Header=BB4_2570 Depth=4
	s_or_b32 exec_lo, exec_lo, s38
.LBB4_2599:                             ;   in Loop: Header=BB4_2570 Depth=4
	s_delay_alu instid0(SALU_CYCLE_1) | instskip(NEXT) | instid1(SALU_CYCLE_1)
	s_or_b32 exec_lo, exec_lo, s37
	s_and_not1_b32 vcc_lo, exec_lo, s35
	s_cbranch_vccnz .LBB4_2609
; %bb.2600:                             ;   in Loop: Header=BB4_2570 Depth=4
	v_and_b32_e32 v183, 0xff, v181
	s_mov_b32 s13, 0
	s_mov_b32 s38, exec_lo
                                        ; implicit-def: $sgpr37
	s_delay_alu instid0(VALU_DEP_1)
	v_cmpx_lt_i16_e64 0x7f, v183
	s_xor_b32 s38, exec_lo, s38
	s_cbranch_execnz .LBB4_3048
; %bb.2601:                             ;   in Loop: Header=BB4_2570 Depth=4
	s_or_saveexec_b32 s38, s38
	v_mov_b32_e32 v182, s37
	s_xor_b32 exec_lo, exec_lo, s38
	s_cbranch_execnz .LBB4_3051
.LBB4_2602:                             ;   in Loop: Header=BB4_2570 Depth=4
	s_or_b32 exec_lo, exec_lo, s38
	s_and_saveexec_b32 s37, s13
	s_cbranch_execz .LBB4_2604
.LBB4_2603:                             ;   in Loop: Header=BB4_2570 Depth=4
	v_lshrrev_b16 v41, 3, v181
	v_lshlrev_b32_e32 v42, 24, v181
	s_delay_alu instid0(VALU_DEP_2) | instskip(NEXT) | instid1(VALU_DEP_1)
	v_and_b32_e32 v41, 15, v41
	v_cmp_eq_u32_e32 vcc_lo, 0, v41
	v_and_b32_e32 v182, 7, v181
	s_delay_alu instid0(VALU_DEP_1) | instskip(NEXT) | instid1(VALU_DEP_1)
	v_clz_i32_u32_e32 v183, v182
	v_min_u32_e32 v183, 32, v183
	s_delay_alu instid0(VALU_DEP_1) | instskip(SKIP_1) | instid1(VALU_DEP_1)
	v_subrev_nc_u32_e32 v40, 28, v183
	v_sub_nc_u32_e32 v183, 29, v183
	v_dual_cndmask_b32 v183, v41, v183 :: v_dual_lshlrev_b32 v40, v40, v181
	s_delay_alu instid0(VALU_DEP_1) | instskip(NEXT) | instid1(VALU_DEP_2)
	v_and_b32_e32 v40, 7, v40
	v_lshl_add_u32 v183, v183, 23, 0x3b800000
	s_delay_alu instid0(VALU_DEP_2) | instskip(SKIP_1) | instid1(VALU_DEP_2)
	v_cndmask_b32_e32 v182, v182, v40, vcc_lo
	v_and_b32_e32 v40, 0x80000000, v42
	v_lshlrev_b32_e32 v182, 20, v182
	s_delay_alu instid0(VALU_DEP_1)
	v_or3_b32 v182, v40, v183, v182
.LBB4_2604:                             ;   in Loop: Header=BB4_2570 Depth=4
	s_or_b32 exec_lo, exec_lo, s37
	s_waitcnt vmcnt(14) lgkmcnt(14)
	v_and_b32_e32 v40, 0xff, v23
	s_mov_b32 s13, 0
	s_mov_b32 s38, exec_lo
                                        ; implicit-def: $sgpr37
	s_delay_alu instid0(VALU_DEP_1)
	v_cmpx_lt_i16_e32 0x7f, v40
	s_xor_b32 s38, exec_lo, s38
	s_cbranch_execnz .LBB4_3052
; %bb.2605:                             ;   in Loop: Header=BB4_2570 Depth=4
	s_or_saveexec_b32 s38, s38
	v_mov_b32_e32 v183, s37
	s_xor_b32 exec_lo, exec_lo, s38
	s_cbranch_execnz .LBB4_3055
.LBB4_2606:                             ;   in Loop: Header=BB4_2570 Depth=4
	s_or_b32 exec_lo, exec_lo, s38
	s_and_saveexec_b32 s37, s13
	s_cbranch_execz .LBB4_2608
.LBB4_2607:                             ;   in Loop: Header=BB4_2570 Depth=4
	v_lshrrev_b16 v42, 3, v23
	v_lshlrev_b32_e32 v43, 24, v23
	s_delay_alu instid0(VALU_DEP_2) | instskip(NEXT) | instid1(VALU_DEP_1)
	v_and_b32_e32 v42, 15, v42
	v_cmp_eq_u32_e32 vcc_lo, 0, v42
	v_and_b32_e32 v183, 7, v23
	s_delay_alu instid0(VALU_DEP_1) | instskip(NEXT) | instid1(VALU_DEP_1)
	v_clz_i32_u32_e32 v40, v183
	v_min_u32_e32 v40, 32, v40
	s_delay_alu instid0(VALU_DEP_1) | instskip(SKIP_1) | instid1(VALU_DEP_1)
	v_subrev_nc_u32_e32 v41, 28, v40
	v_sub_nc_u32_e32 v40, 29, v40
	v_dual_cndmask_b32 v40, v42, v40 :: v_dual_lshlrev_b32 v41, v41, v23
	s_delay_alu instid0(VALU_DEP_1) | instskip(NEXT) | instid1(VALU_DEP_2)
	v_and_b32_e32 v41, 7, v41
	v_lshl_add_u32 v40, v40, 23, 0x3b800000
	s_delay_alu instid0(VALU_DEP_2) | instskip(SKIP_1) | instid1(VALU_DEP_2)
	v_cndmask_b32_e32 v183, v183, v41, vcc_lo
	v_and_b32_e32 v41, 0x80000000, v43
	v_lshlrev_b32_e32 v183, 20, v183
	s_delay_alu instid0(VALU_DEP_1)
	v_or3_b32 v183, v41, v40, v183
.LBB4_2608:                             ;   in Loop: Header=BB4_2570 Depth=4
	s_or_b32 exec_lo, exec_lo, s37
	s_delay_alu instid0(VALU_DEP_1) | instskip(SKIP_1) | instid1(VALU_DEP_1)
	v_dual_max_f32 v183, v183, v183 :: v_dual_max_f32 v182, v182, v182
	s_mov_b32 s13, 0
	v_max_f32_e32 v182, v182, v183
	s_branch .LBB4_2610
.LBB4_2609:                             ;   in Loop: Header=BB4_2570 Depth=4
	s_mov_b32 s13, -1
                                        ; implicit-def: $vgpr182
.LBB4_2610:                             ;   in Loop: Header=BB4_2570 Depth=4
	s_delay_alu instid0(SALU_CYCLE_1)
	s_and_b32 vcc_lo, exec_lo, s13
	s_cbranch_vccz .LBB4_2620
; %bb.2611:                             ;   in Loop: Header=BB4_2570 Depth=4
	v_and_b32_e32 v183, 0xff, v181
	s_mov_b32 s13, 0
	s_mov_b32 s38, exec_lo
                                        ; implicit-def: $sgpr37
	s_delay_alu instid0(VALU_DEP_1)
	v_cmpx_lt_i16_e64 0x7f, v183
	s_xor_b32 s38, exec_lo, s38
	s_cbranch_execnz .LBB4_3056
; %bb.2612:                             ;   in Loop: Header=BB4_2570 Depth=4
	s_or_saveexec_b32 s38, s38
	v_mov_b32_e32 v182, s37
	s_xor_b32 exec_lo, exec_lo, s38
	s_cbranch_execnz .LBB4_3059
.LBB4_2613:                             ;   in Loop: Header=BB4_2570 Depth=4
	s_or_b32 exec_lo, exec_lo, s38
	s_and_saveexec_b32 s37, s13
	s_cbranch_execz .LBB4_2615
.LBB4_2614:                             ;   in Loop: Header=BB4_2570 Depth=4
	v_lshrrev_b16 v41, 3, v181
	s_delay_alu instid0(VALU_DEP_1) | instskip(NEXT) | instid1(VALU_DEP_1)
	v_and_b32_e32 v41, 15, v41
	v_cmp_eq_u32_e32 vcc_lo, 0, v41
	v_and_b32_e32 v182, 7, v181
	s_delay_alu instid0(VALU_DEP_1) | instskip(NEXT) | instid1(VALU_DEP_1)
	v_clz_i32_u32_e32 v183, v182
	v_min_u32_e32 v183, 32, v183
	s_delay_alu instid0(VALU_DEP_1) | instskip(SKIP_1) | instid1(VALU_DEP_1)
	v_subrev_nc_u32_e32 v40, 28, v183
	v_sub_nc_u32_e32 v183, 29, v183
	v_dual_cndmask_b32 v183, v41, v183 :: v_dual_lshlrev_b32 v40, v40, v181
	v_lshlrev_b32_e32 v181, 24, v181
	s_delay_alu instid0(VALU_DEP_2) | instskip(NEXT) | instid1(VALU_DEP_3)
	v_and_b32_e32 v40, 7, v40
	v_lshl_add_u32 v183, v183, 23, 0x3b800000
	s_delay_alu instid0(VALU_DEP_2) | instskip(NEXT) | instid1(VALU_DEP_1)
	v_dual_cndmask_b32 v182, v182, v40 :: v_dual_and_b32 v181, 0x80000000, v181
	v_lshlrev_b32_e32 v182, 20, v182
	s_delay_alu instid0(VALU_DEP_1)
	v_or3_b32 v182, v181, v183, v182
.LBB4_2615:                             ;   in Loop: Header=BB4_2570 Depth=4
	s_or_b32 exec_lo, exec_lo, s37
	s_waitcnt vmcnt(14) lgkmcnt(14)
	v_and_b32_e32 v183, 0xff, v23
	s_mov_b32 s13, 0
	s_mov_b32 s38, exec_lo
                                        ; implicit-def: $sgpr37
	s_delay_alu instid0(VALU_DEP_1)
	v_cmpx_lt_i16_e64 0x7f, v183
	s_xor_b32 s38, exec_lo, s38
	s_cbranch_execnz .LBB4_3060
; %bb.2616:                             ;   in Loop: Header=BB4_2570 Depth=4
	s_or_saveexec_b32 s38, s38
	v_mov_b32_e32 v181, s37
	s_xor_b32 exec_lo, exec_lo, s38
	s_cbranch_execnz .LBB4_3063
.LBB4_2617:                             ;   in Loop: Header=BB4_2570 Depth=4
	s_or_b32 exec_lo, exec_lo, s38
	s_and_saveexec_b32 s37, s13
	s_cbranch_execz .LBB4_2619
.LBB4_2618:                             ;   in Loop: Header=BB4_2570 Depth=4
	v_and_b32_e32 v181, 7, v23
	v_lshrrev_b16 v41, 3, v23
	s_delay_alu instid0(VALU_DEP_2) | instskip(NEXT) | instid1(VALU_DEP_2)
	v_clz_i32_u32_e32 v183, v181
	v_and_b32_e32 v41, 15, v41
	s_delay_alu instid0(VALU_DEP_2) | instskip(NEXT) | instid1(VALU_DEP_2)
	v_min_u32_e32 v183, 32, v183
	v_cmp_eq_u32_e32 vcc_lo, 0, v41
	s_delay_alu instid0(VALU_DEP_2) | instskip(SKIP_1) | instid1(VALU_DEP_2)
	v_subrev_nc_u32_e32 v40, 28, v183
	v_sub_nc_u32_e32 v183, 29, v183
	v_lshlrev_b32_e32 v40, v40, v23
	v_lshlrev_b32_e32 v23, 24, v23
	s_delay_alu instid0(VALU_DEP_2) | instskip(NEXT) | instid1(VALU_DEP_2)
	v_dual_cndmask_b32 v183, v41, v183 :: v_dual_and_b32 v40, 7, v40
	v_and_b32_e32 v23, 0x80000000, v23
	s_delay_alu instid0(VALU_DEP_2) | instskip(NEXT) | instid1(VALU_DEP_3)
	v_lshl_add_u32 v183, v183, 23, 0x3b800000
	v_cndmask_b32_e32 v181, v181, v40, vcc_lo
	s_delay_alu instid0(VALU_DEP_1) | instskip(NEXT) | instid1(VALU_DEP_1)
	v_lshlrev_b32_e32 v181, 20, v181
	v_or3_b32 v181, v23, v183, v181
.LBB4_2619:                             ;   in Loop: Header=BB4_2570 Depth=4
	s_or_b32 exec_lo, exec_lo, s37
	s_delay_alu instid0(VALU_DEP_1) | instskip(SKIP_1) | instid1(VALU_DEP_1)
	v_max_f32_e32 v23, v181, v181
	v_max_f32_e32 v181, v182, v182
	v_min_f32_e32 v182, v181, v23
.LBB4_2620:                             ;   in Loop: Header=BB4_2570 Depth=4
	s_waitcnt vmcnt(14) lgkmcnt(14)
	s_delay_alu instid0(VALU_DEP_1) | instskip(NEXT) | instid1(VALU_DEP_1)
	v_and_b32_e32 v23, 0x7f800000, v182
	v_cmp_ne_u32_e32 vcc_lo, 0x7f800000, v23
	v_mov_b32_e32 v23, 0x80
	s_and_saveexec_b32 s37, vcc_lo
	s_cbranch_execz .LBB4_2628
; %bb.2621:                             ;   in Loop: Header=BB4_2570 Depth=4
	v_mov_b32_e32 v23, 0
	s_mov_b32 s38, exec_lo
	v_cmpx_ne_u32_e32 0, v182
	s_cbranch_execz .LBB4_2627
; %bb.2622:                             ;   in Loop: Header=BB4_2570 Depth=4
	v_bfe_u32 v23, v182, 23, 8
	v_and_b32_e32 v181, 0x7fffff, v182
	s_delay_alu instid0(VALU_DEP_2) | instskip(SKIP_1) | instid1(VALU_DEP_3)
	v_sub_nc_u32_e32 v183, 0x78, v23
	v_cmp_gt_u32_e32 vcc_lo, 0x79, v23
	v_or_b32_e32 v40, 0x800000, v181
	s_delay_alu instid0(VALU_DEP_3) | instskip(SKIP_2) | instid1(VALU_DEP_3)
	v_cndmask_b32_e32 v183, 0, v183, vcc_lo
	v_cmp_eq_u32_e32 vcc_lo, 0, v23
	v_add_nc_u32_e32 v23, 0xffffff89, v23
	v_cndmask_b32_e64 v183, v183, 0x77, vcc_lo
	v_cndmask_b32_e32 v181, v40, v181, vcc_lo
	s_delay_alu instid0(VALU_DEP_3) | instskip(NEXT) | instid1(VALU_DEP_3)
	v_cndmask_b32_e64 v23, v23, 0xffffff8a, vcc_lo
	v_lshl_add_u32 v40, 0x100000, v183, -1
	s_delay_alu instid0(VALU_DEP_3) | instskip(SKIP_1) | instid1(VALU_DEP_4)
	v_lshrrev_b32_e32 v41, v183, v181
	v_lshlrev_b32_e64 v43, v183, 0x80000
	v_add_nc_u32_e32 v183, v183, v23
	s_delay_alu instid0(VALU_DEP_4) | instskip(NEXT) | instid1(VALU_DEP_4)
	v_and_b32_e32 v181, v40, v181
	v_bfe_u32 v42, v41, 20, 1
	s_delay_alu instid0(VALU_DEP_2) | instskip(NEXT) | instid1(VALU_DEP_2)
	v_cmp_eq_u32_e64 s13, v181, v43
	v_add_nc_u32_e32 v40, -1, v42
	s_delay_alu instid0(VALU_DEP_1) | instskip(SKIP_2) | instid1(VALU_DEP_2)
	v_cndmask_b32_e64 v181, 0, v40, s13
	v_lshrrev_b32_e32 v40, 23, v41
	s_mov_b32 s13, exec_lo
	v_add_nc_u32_e32 v181, v181, v41
	s_delay_alu instid0(VALU_DEP_2) | instskip(NEXT) | instid1(VALU_DEP_2)
	v_xor_b32_e32 v40, 1, v40
	v_and_b32_e32 v23, 0xfffff, v181
	s_delay_alu instid0(VALU_DEP_1) | instskip(NEXT) | instid1(VALU_DEP_3)
	v_add_nc_u32_e32 v181, v23, v41
                                        ; implicit-def: $vgpr23
	v_cmpx_ne_u32_e64 v183, v40
	s_xor_b32 s13, exec_lo, s13
; %bb.2623:                             ;   in Loop: Header=BB4_2570 Depth=4
	s_delay_alu instid0(VALU_DEP_2) | instskip(SKIP_2) | instid1(VALU_DEP_2)
	v_cmp_lt_u32_e32 vcc_lo, 0xffffff, v181
	v_sub_nc_u32_e32 v23, v183, v40
	v_cndmask_b32_e64 v183, 0, 1, vcc_lo
	v_add_co_ci_u32_e32 v23, vcc_lo, 0, v23, vcc_lo
	s_delay_alu instid0(VALU_DEP_2)
	v_lshrrev_b32_e32 v181, v183, v181
; %bb.2624:                             ;   in Loop: Header=BB4_2570 Depth=4
	s_and_not1_saveexec_b32 s13, s13
; %bb.2625:                             ;   in Loop: Header=BB4_2570 Depth=4
	s_delay_alu instid0(VALU_DEP_1)
	v_bfe_u32 v23, v181, 23, 1
; %bb.2626:                             ;   in Loop: Header=BB4_2570 Depth=4
	s_or_b32 exec_lo, exec_lo, s13
	v_lshrrev_b32_e32 v181, 20, v181
	s_delay_alu instid0(VALU_DEP_2) | instskip(SKIP_2) | instid1(VALU_DEP_2)
	v_cmp_gt_i32_e32 vcc_lo, 16, v23
	v_lshrrev_b32_e32 v182, 24, v182
	v_min_i32_e32 v183, 15, v23
	v_dual_cndmask_b32 v181, 7, v181 :: v_dual_and_b32 v182, 0x80, v182
	s_delay_alu instid0(VALU_DEP_2) | instskip(NEXT) | instid1(VALU_DEP_2)
	v_lshlrev_b32_e32 v183, 3, v183
	v_and_b32_e32 v40, 7, v181
	v_or_b32_e32 v23, v23, v181
	s_delay_alu instid0(VALU_DEP_2) | instskip(NEXT) | instid1(VALU_DEP_2)
	v_or3_b32 v181, v183, v182, v40
	v_cmp_ne_u32_e32 vcc_lo, 0, v23
	s_delay_alu instid0(VALU_DEP_2)
	v_cndmask_b32_e32 v23, 0, v181, vcc_lo
.LBB4_2627:                             ;   in Loop: Header=BB4_2570 Depth=4
	s_or_b32 exec_lo, exec_lo, s38
.LBB4_2628:                             ;   in Loop: Header=BB4_2570 Depth=4
	s_delay_alu instid0(SALU_CYCLE_1) | instskip(NEXT) | instid1(SALU_CYCLE_1)
	s_or_b32 exec_lo, exec_lo, s37
	s_and_not1_b32 vcc_lo, exec_lo, s35
	s_cbranch_vccnz .LBB4_2638
; %bb.2629:                             ;   in Loop: Header=BB4_2570 Depth=4
	v_and_b32_e32 v182, 0xff, v180
	s_mov_b32 s13, 0
	s_mov_b32 s38, exec_lo
                                        ; implicit-def: $sgpr37
	s_delay_alu instid0(VALU_DEP_1)
	v_cmpx_lt_i16_e64 0x7f, v182
	s_xor_b32 s38, exec_lo, s38
	s_cbranch_execnz .LBB4_3064
; %bb.2630:                             ;   in Loop: Header=BB4_2570 Depth=4
	s_or_saveexec_b32 s38, s38
	v_mov_b32_e32 v181, s37
	s_xor_b32 exec_lo, exec_lo, s38
	s_cbranch_execnz .LBB4_3067
.LBB4_2631:                             ;   in Loop: Header=BB4_2570 Depth=4
	s_or_b32 exec_lo, exec_lo, s38
	s_and_saveexec_b32 s37, s13
	s_cbranch_execz .LBB4_2633
.LBB4_2632:                             ;   in Loop: Header=BB4_2570 Depth=4
	v_lshrrev_b16 v40, 3, v180
	v_lshlrev_b32_e32 v41, 24, v180
	s_delay_alu instid0(VALU_DEP_2) | instskip(NEXT) | instid1(VALU_DEP_1)
	v_and_b32_e32 v40, 15, v40
	v_cmp_eq_u32_e32 vcc_lo, 0, v40
	v_and_b32_e32 v181, 7, v180
	s_delay_alu instid0(VALU_DEP_1) | instskip(NEXT) | instid1(VALU_DEP_1)
	v_clz_i32_u32_e32 v182, v181
	v_min_u32_e32 v182, 32, v182
	s_delay_alu instid0(VALU_DEP_1) | instskip(SKIP_1) | instid1(VALU_DEP_1)
	v_subrev_nc_u32_e32 v183, 28, v182
	v_sub_nc_u32_e32 v182, 29, v182
	v_dual_cndmask_b32 v182, v40, v182 :: v_dual_lshlrev_b32 v183, v183, v180
	s_delay_alu instid0(VALU_DEP_1) | instskip(NEXT) | instid1(VALU_DEP_2)
	v_and_b32_e32 v183, 7, v183
	v_lshl_add_u32 v182, v182, 23, 0x3b800000
	s_delay_alu instid0(VALU_DEP_2) | instskip(SKIP_1) | instid1(VALU_DEP_2)
	v_cndmask_b32_e32 v181, v181, v183, vcc_lo
	v_and_b32_e32 v183, 0x80000000, v41
	v_lshlrev_b32_e32 v181, 20, v181
	s_delay_alu instid0(VALU_DEP_1)
	v_or3_b32 v181, v183, v182, v181
.LBB4_2633:                             ;   in Loop: Header=BB4_2570 Depth=4
	s_or_b32 exec_lo, exec_lo, s37
	s_waitcnt vmcnt(13) lgkmcnt(13)
	v_and_b32_e32 v183, 0xff, v82
	s_mov_b32 s13, 0
	s_mov_b32 s38, exec_lo
                                        ; implicit-def: $sgpr37
	s_delay_alu instid0(VALU_DEP_1)
	v_cmpx_lt_i16_e64 0x7f, v183
	s_xor_b32 s38, exec_lo, s38
	s_cbranch_execnz .LBB4_3068
; %bb.2634:                             ;   in Loop: Header=BB4_2570 Depth=4
	s_or_saveexec_b32 s38, s38
	v_mov_b32_e32 v182, s37
	s_xor_b32 exec_lo, exec_lo, s38
	s_cbranch_execnz .LBB4_3071
.LBB4_2635:                             ;   in Loop: Header=BB4_2570 Depth=4
	s_or_b32 exec_lo, exec_lo, s38
	s_and_saveexec_b32 s37, s13
	s_cbranch_execz .LBB4_2637
.LBB4_2636:                             ;   in Loop: Header=BB4_2570 Depth=4
	v_lshrrev_b16 v41, 3, v82
	v_lshlrev_b32_e32 v42, 24, v82
	s_delay_alu instid0(VALU_DEP_2) | instskip(NEXT) | instid1(VALU_DEP_1)
	v_and_b32_e32 v41, 15, v41
	v_cmp_eq_u32_e32 vcc_lo, 0, v41
	v_and_b32_e32 v182, 7, v82
	s_delay_alu instid0(VALU_DEP_1) | instskip(NEXT) | instid1(VALU_DEP_1)
	v_clz_i32_u32_e32 v183, v182
	v_min_u32_e32 v183, 32, v183
	s_delay_alu instid0(VALU_DEP_1) | instskip(SKIP_1) | instid1(VALU_DEP_1)
	v_subrev_nc_u32_e32 v40, 28, v183
	v_sub_nc_u32_e32 v183, 29, v183
	v_dual_cndmask_b32 v183, v41, v183 :: v_dual_lshlrev_b32 v40, v40, v82
	s_delay_alu instid0(VALU_DEP_1) | instskip(NEXT) | instid1(VALU_DEP_2)
	v_and_b32_e32 v40, 7, v40
	v_lshl_add_u32 v183, v183, 23, 0x3b800000
	s_delay_alu instid0(VALU_DEP_2) | instskip(SKIP_1) | instid1(VALU_DEP_2)
	v_cndmask_b32_e32 v182, v182, v40, vcc_lo
	v_and_b32_e32 v40, 0x80000000, v42
	v_lshlrev_b32_e32 v182, 20, v182
	s_delay_alu instid0(VALU_DEP_1)
	v_or3_b32 v182, v40, v183, v182
.LBB4_2637:                             ;   in Loop: Header=BB4_2570 Depth=4
	s_or_b32 exec_lo, exec_lo, s37
	s_delay_alu instid0(VALU_DEP_1) | instskip(SKIP_1) | instid1(VALU_DEP_1)
	v_dual_max_f32 v182, v182, v182 :: v_dual_max_f32 v181, v181, v181
	s_mov_b32 s13, 0
	v_max_f32_e32 v181, v181, v182
	s_branch .LBB4_2639
.LBB4_2638:                             ;   in Loop: Header=BB4_2570 Depth=4
	s_mov_b32 s13, -1
                                        ; implicit-def: $vgpr181
.LBB4_2639:                             ;   in Loop: Header=BB4_2570 Depth=4
	s_delay_alu instid0(SALU_CYCLE_1)
	s_and_b32 vcc_lo, exec_lo, s13
	s_cbranch_vccz .LBB4_2649
; %bb.2640:                             ;   in Loop: Header=BB4_2570 Depth=4
	v_and_b32_e32 v182, 0xff, v180
	s_mov_b32 s13, 0
	s_mov_b32 s38, exec_lo
                                        ; implicit-def: $sgpr37
	s_delay_alu instid0(VALU_DEP_1)
	v_cmpx_lt_i16_e64 0x7f, v182
	s_xor_b32 s38, exec_lo, s38
	s_cbranch_execnz .LBB4_3072
; %bb.2641:                             ;   in Loop: Header=BB4_2570 Depth=4
	s_or_saveexec_b32 s38, s38
	v_mov_b32_e32 v181, s37
	s_xor_b32 exec_lo, exec_lo, s38
	s_cbranch_execnz .LBB4_3075
.LBB4_2642:                             ;   in Loop: Header=BB4_2570 Depth=4
	s_or_b32 exec_lo, exec_lo, s38
	s_and_saveexec_b32 s37, s13
	s_cbranch_execz .LBB4_2644
.LBB4_2643:                             ;   in Loop: Header=BB4_2570 Depth=4
	v_lshrrev_b16 v40, 3, v180
	s_delay_alu instid0(VALU_DEP_1) | instskip(NEXT) | instid1(VALU_DEP_1)
	v_and_b32_e32 v40, 15, v40
	v_cmp_eq_u32_e32 vcc_lo, 0, v40
	v_and_b32_e32 v181, 7, v180
	s_delay_alu instid0(VALU_DEP_1) | instskip(NEXT) | instid1(VALU_DEP_1)
	v_clz_i32_u32_e32 v182, v181
	v_min_u32_e32 v182, 32, v182
	s_delay_alu instid0(VALU_DEP_1) | instskip(SKIP_1) | instid1(VALU_DEP_1)
	v_subrev_nc_u32_e32 v183, 28, v182
	v_sub_nc_u32_e32 v182, 29, v182
	v_dual_cndmask_b32 v182, v40, v182 :: v_dual_lshlrev_b32 v183, v183, v180
	v_lshlrev_b32_e32 v180, 24, v180
	s_delay_alu instid0(VALU_DEP_2) | instskip(NEXT) | instid1(VALU_DEP_3)
	v_and_b32_e32 v183, 7, v183
	v_lshl_add_u32 v182, v182, 23, 0x3b800000
	s_delay_alu instid0(VALU_DEP_2) | instskip(NEXT) | instid1(VALU_DEP_1)
	v_dual_cndmask_b32 v181, v181, v183 :: v_dual_and_b32 v180, 0x80000000, v180
	v_lshlrev_b32_e32 v181, 20, v181
	s_delay_alu instid0(VALU_DEP_1)
	v_or3_b32 v181, v180, v182, v181
.LBB4_2644:                             ;   in Loop: Header=BB4_2570 Depth=4
	s_or_b32 exec_lo, exec_lo, s37
	s_waitcnt vmcnt(13) lgkmcnt(13)
	v_and_b32_e32 v182, 0xff, v82
	s_mov_b32 s13, 0
	s_mov_b32 s38, exec_lo
                                        ; implicit-def: $sgpr37
	s_delay_alu instid0(VALU_DEP_1)
	v_cmpx_lt_i16_e64 0x7f, v182
	s_xor_b32 s38, exec_lo, s38
	s_cbranch_execnz .LBB4_3076
; %bb.2645:                             ;   in Loop: Header=BB4_2570 Depth=4
	s_or_saveexec_b32 s38, s38
	v_mov_b32_e32 v180, s37
	s_xor_b32 exec_lo, exec_lo, s38
	s_cbranch_execnz .LBB4_3079
.LBB4_2646:                             ;   in Loop: Header=BB4_2570 Depth=4
	s_or_b32 exec_lo, exec_lo, s38
	s_and_saveexec_b32 s37, s13
	s_cbranch_execz .LBB4_2648
.LBB4_2647:                             ;   in Loop: Header=BB4_2570 Depth=4
	v_and_b32_e32 v180, 7, v82
	v_lshrrev_b16 v40, 3, v82
	s_delay_alu instid0(VALU_DEP_2) | instskip(NEXT) | instid1(VALU_DEP_2)
	v_clz_i32_u32_e32 v182, v180
	v_and_b32_e32 v40, 15, v40
	s_delay_alu instid0(VALU_DEP_2) | instskip(NEXT) | instid1(VALU_DEP_2)
	v_min_u32_e32 v182, 32, v182
	v_cmp_eq_u32_e32 vcc_lo, 0, v40
	s_delay_alu instid0(VALU_DEP_2) | instskip(SKIP_1) | instid1(VALU_DEP_2)
	v_subrev_nc_u32_e32 v183, 28, v182
	v_sub_nc_u32_e32 v182, 29, v182
	v_lshlrev_b32_e32 v183, v183, v82
	v_lshlrev_b32_e32 v82, 24, v82
	s_delay_alu instid0(VALU_DEP_2) | instskip(NEXT) | instid1(VALU_DEP_2)
	v_dual_cndmask_b32 v182, v40, v182 :: v_dual_and_b32 v183, 7, v183
	v_and_b32_e32 v82, 0x80000000, v82
	s_delay_alu instid0(VALU_DEP_2) | instskip(NEXT) | instid1(VALU_DEP_3)
	v_lshl_add_u32 v182, v182, 23, 0x3b800000
	v_cndmask_b32_e32 v180, v180, v183, vcc_lo
	s_delay_alu instid0(VALU_DEP_1) | instskip(NEXT) | instid1(VALU_DEP_1)
	v_lshlrev_b32_e32 v180, 20, v180
	v_or3_b32 v180, v82, v182, v180
.LBB4_2648:                             ;   in Loop: Header=BB4_2570 Depth=4
	s_or_b32 exec_lo, exec_lo, s37
	s_delay_alu instid0(VALU_DEP_1) | instskip(SKIP_1) | instid1(VALU_DEP_1)
	v_max_f32_e32 v82, v180, v180
	v_max_f32_e32 v180, v181, v181
	v_min_f32_e32 v181, v180, v82
.LBB4_2649:                             ;   in Loop: Header=BB4_2570 Depth=4
	s_waitcnt vmcnt(13) lgkmcnt(13)
	s_delay_alu instid0(VALU_DEP_1) | instskip(NEXT) | instid1(VALU_DEP_1)
	v_and_b32_e32 v82, 0x7f800000, v181
	v_cmp_ne_u32_e32 vcc_lo, 0x7f800000, v82
	v_mov_b32_e32 v82, 0x80
	s_and_saveexec_b32 s37, vcc_lo
	s_cbranch_execz .LBB4_2657
; %bb.2650:                             ;   in Loop: Header=BB4_2570 Depth=4
	v_mov_b32_e32 v82, 0
	s_mov_b32 s38, exec_lo
	v_cmpx_ne_u32_e32 0, v181
	s_cbranch_execz .LBB4_2656
; %bb.2651:                             ;   in Loop: Header=BB4_2570 Depth=4
	v_bfe_u32 v82, v181, 23, 8
	v_and_b32_e32 v180, 0x7fffff, v181
	s_delay_alu instid0(VALU_DEP_2) | instskip(SKIP_1) | instid1(VALU_DEP_3)
	v_sub_nc_u32_e32 v182, 0x78, v82
	v_cmp_gt_u32_e32 vcc_lo, 0x79, v82
	v_or_b32_e32 v183, 0x800000, v180
	s_delay_alu instid0(VALU_DEP_3) | instskip(SKIP_2) | instid1(VALU_DEP_3)
	v_cndmask_b32_e32 v182, 0, v182, vcc_lo
	v_cmp_eq_u32_e32 vcc_lo, 0, v82
	v_add_nc_u32_e32 v82, 0xffffff89, v82
	v_cndmask_b32_e64 v182, v182, 0x77, vcc_lo
	v_cndmask_b32_e32 v180, v183, v180, vcc_lo
	s_delay_alu instid0(VALU_DEP_3) | instskip(NEXT) | instid1(VALU_DEP_3)
	v_cndmask_b32_e64 v82, v82, 0xffffff8a, vcc_lo
	v_lshl_add_u32 v183, 0x100000, v182, -1
	s_delay_alu instid0(VALU_DEP_3) | instskip(SKIP_1) | instid1(VALU_DEP_4)
	v_lshrrev_b32_e32 v40, v182, v180
	v_lshlrev_b32_e64 v42, v182, 0x80000
	v_add_nc_u32_e32 v182, v182, v82
	s_delay_alu instid0(VALU_DEP_4) | instskip(NEXT) | instid1(VALU_DEP_4)
	v_and_b32_e32 v180, v183, v180
	v_bfe_u32 v41, v40, 20, 1
	s_delay_alu instid0(VALU_DEP_2) | instskip(NEXT) | instid1(VALU_DEP_2)
	v_cmp_eq_u32_e64 s13, v180, v42
	v_add_nc_u32_e32 v183, -1, v41
	s_delay_alu instid0(VALU_DEP_1) | instskip(SKIP_2) | instid1(VALU_DEP_2)
	v_cndmask_b32_e64 v180, 0, v183, s13
	v_lshrrev_b32_e32 v183, 23, v40
	s_mov_b32 s13, exec_lo
	v_add_nc_u32_e32 v180, v180, v40
	s_delay_alu instid0(VALU_DEP_2) | instskip(NEXT) | instid1(VALU_DEP_2)
	v_xor_b32_e32 v183, 1, v183
	v_and_b32_e32 v82, 0xfffff, v180
	s_delay_alu instid0(VALU_DEP_1) | instskip(NEXT) | instid1(VALU_DEP_3)
	v_add_nc_u32_e32 v180, v82, v40
                                        ; implicit-def: $vgpr82
	v_cmpx_ne_u32_e64 v182, v183
	s_xor_b32 s13, exec_lo, s13
; %bb.2652:                             ;   in Loop: Header=BB4_2570 Depth=4
	s_delay_alu instid0(VALU_DEP_2) | instskip(SKIP_2) | instid1(VALU_DEP_2)
	v_cmp_lt_u32_e32 vcc_lo, 0xffffff, v180
	v_sub_nc_u32_e32 v82, v182, v183
	v_cndmask_b32_e64 v182, 0, 1, vcc_lo
	v_add_co_ci_u32_e32 v82, vcc_lo, 0, v82, vcc_lo
	s_delay_alu instid0(VALU_DEP_2)
	v_lshrrev_b32_e32 v180, v182, v180
; %bb.2653:                             ;   in Loop: Header=BB4_2570 Depth=4
	s_and_not1_saveexec_b32 s13, s13
; %bb.2654:                             ;   in Loop: Header=BB4_2570 Depth=4
	s_delay_alu instid0(VALU_DEP_1)
	v_bfe_u32 v82, v180, 23, 1
; %bb.2655:                             ;   in Loop: Header=BB4_2570 Depth=4
	s_or_b32 exec_lo, exec_lo, s13
	v_lshrrev_b32_e32 v180, 20, v180
	s_delay_alu instid0(VALU_DEP_2) | instskip(SKIP_2) | instid1(VALU_DEP_2)
	v_cmp_gt_i32_e32 vcc_lo, 16, v82
	v_lshrrev_b32_e32 v181, 24, v181
	v_min_i32_e32 v182, 15, v82
	v_dual_cndmask_b32 v180, 7, v180 :: v_dual_and_b32 v181, 0x80, v181
	s_delay_alu instid0(VALU_DEP_2) | instskip(NEXT) | instid1(VALU_DEP_2)
	v_lshlrev_b32_e32 v182, 3, v182
	v_and_b32_e32 v183, 7, v180
	v_or_b32_e32 v82, v82, v180
	s_delay_alu instid0(VALU_DEP_2) | instskip(NEXT) | instid1(VALU_DEP_2)
	v_or3_b32 v180, v182, v181, v183
	v_cmp_ne_u32_e32 vcc_lo, 0, v82
	s_delay_alu instid0(VALU_DEP_2)
	v_cndmask_b32_e32 v82, 0, v180, vcc_lo
.LBB4_2656:                             ;   in Loop: Header=BB4_2570 Depth=4
	s_or_b32 exec_lo, exec_lo, s38
.LBB4_2657:                             ;   in Loop: Header=BB4_2570 Depth=4
	s_delay_alu instid0(SALU_CYCLE_1) | instskip(NEXT) | instid1(SALU_CYCLE_1)
	s_or_b32 exec_lo, exec_lo, s37
	s_and_not1_b32 vcc_lo, exec_lo, s35
	s_cbranch_vccnz .LBB4_2667
; %bb.2658:                             ;   in Loop: Header=BB4_2570 Depth=4
	v_and_b32_e32 v181, 0xff, v179
	s_mov_b32 s13, 0
	s_mov_b32 s38, exec_lo
                                        ; implicit-def: $sgpr37
	s_delay_alu instid0(VALU_DEP_1)
	v_cmpx_lt_i16_e64 0x7f, v181
	s_xor_b32 s38, exec_lo, s38
	s_cbranch_execnz .LBB4_3080
; %bb.2659:                             ;   in Loop: Header=BB4_2570 Depth=4
	s_or_saveexec_b32 s38, s38
	v_mov_b32_e32 v180, s37
	s_xor_b32 exec_lo, exec_lo, s38
	s_cbranch_execnz .LBB4_3083
.LBB4_2660:                             ;   in Loop: Header=BB4_2570 Depth=4
	s_or_b32 exec_lo, exec_lo, s38
	s_and_saveexec_b32 s37, s13
	s_cbranch_execz .LBB4_2662
.LBB4_2661:                             ;   in Loop: Header=BB4_2570 Depth=4
	v_lshrrev_b16 v183, 3, v179
	v_lshlrev_b32_e32 v40, 24, v179
	s_delay_alu instid0(VALU_DEP_2) | instskip(NEXT) | instid1(VALU_DEP_1)
	v_and_b32_e32 v183, 15, v183
	v_cmp_eq_u32_e32 vcc_lo, 0, v183
	v_and_b32_e32 v180, 7, v179
	s_delay_alu instid0(VALU_DEP_1) | instskip(NEXT) | instid1(VALU_DEP_1)
	v_clz_i32_u32_e32 v181, v180
	v_min_u32_e32 v181, 32, v181
	s_delay_alu instid0(VALU_DEP_1) | instskip(SKIP_1) | instid1(VALU_DEP_1)
	v_subrev_nc_u32_e32 v182, 28, v181
	v_sub_nc_u32_e32 v181, 29, v181
	v_dual_cndmask_b32 v181, v183, v181 :: v_dual_lshlrev_b32 v182, v182, v179
	s_delay_alu instid0(VALU_DEP_1) | instskip(NEXT) | instid1(VALU_DEP_2)
	v_and_b32_e32 v182, 7, v182
	v_lshl_add_u32 v181, v181, 23, 0x3b800000
	s_delay_alu instid0(VALU_DEP_2) | instskip(SKIP_1) | instid1(VALU_DEP_2)
	v_cndmask_b32_e32 v180, v180, v182, vcc_lo
	v_and_b32_e32 v182, 0x80000000, v40
	v_lshlrev_b32_e32 v180, 20, v180
	s_delay_alu instid0(VALU_DEP_1)
	v_or3_b32 v180, v182, v181, v180
.LBB4_2662:                             ;   in Loop: Header=BB4_2570 Depth=4
	s_or_b32 exec_lo, exec_lo, s37
	s_waitcnt vmcnt(12) lgkmcnt(12)
	v_and_b32_e32 v182, 0xff, v85
	s_mov_b32 s13, 0
	s_mov_b32 s38, exec_lo
                                        ; implicit-def: $sgpr37
	s_delay_alu instid0(VALU_DEP_1)
	v_cmpx_lt_i16_e64 0x7f, v182
	s_xor_b32 s38, exec_lo, s38
	s_cbranch_execnz .LBB4_3084
; %bb.2663:                             ;   in Loop: Header=BB4_2570 Depth=4
	s_or_saveexec_b32 s38, s38
	v_mov_b32_e32 v181, s37
	s_xor_b32 exec_lo, exec_lo, s38
	s_cbranch_execnz .LBB4_3087
.LBB4_2664:                             ;   in Loop: Header=BB4_2570 Depth=4
	s_or_b32 exec_lo, exec_lo, s38
	s_and_saveexec_b32 s37, s13
	s_cbranch_execz .LBB4_2666
.LBB4_2665:                             ;   in Loop: Header=BB4_2570 Depth=4
	v_lshrrev_b16 v40, 3, v85
	v_lshlrev_b32_e32 v41, 24, v85
	s_delay_alu instid0(VALU_DEP_2) | instskip(NEXT) | instid1(VALU_DEP_1)
	v_and_b32_e32 v40, 15, v40
	v_cmp_eq_u32_e32 vcc_lo, 0, v40
	v_and_b32_e32 v181, 7, v85
	s_delay_alu instid0(VALU_DEP_1) | instskip(NEXT) | instid1(VALU_DEP_1)
	v_clz_i32_u32_e32 v182, v181
	v_min_u32_e32 v182, 32, v182
	s_delay_alu instid0(VALU_DEP_1) | instskip(SKIP_1) | instid1(VALU_DEP_1)
	v_subrev_nc_u32_e32 v183, 28, v182
	v_sub_nc_u32_e32 v182, 29, v182
	v_dual_cndmask_b32 v182, v40, v182 :: v_dual_lshlrev_b32 v183, v183, v85
	s_delay_alu instid0(VALU_DEP_1) | instskip(NEXT) | instid1(VALU_DEP_2)
	v_and_b32_e32 v183, 7, v183
	v_lshl_add_u32 v182, v182, 23, 0x3b800000
	s_delay_alu instid0(VALU_DEP_2) | instskip(SKIP_1) | instid1(VALU_DEP_2)
	v_cndmask_b32_e32 v181, v181, v183, vcc_lo
	v_and_b32_e32 v183, 0x80000000, v41
	v_lshlrev_b32_e32 v181, 20, v181
	s_delay_alu instid0(VALU_DEP_1)
	v_or3_b32 v181, v183, v182, v181
.LBB4_2666:                             ;   in Loop: Header=BB4_2570 Depth=4
	s_or_b32 exec_lo, exec_lo, s37
	s_delay_alu instid0(VALU_DEP_1) | instskip(SKIP_1) | instid1(VALU_DEP_1)
	v_dual_max_f32 v181, v181, v181 :: v_dual_max_f32 v180, v180, v180
	s_mov_b32 s13, 0
	v_max_f32_e32 v180, v180, v181
	s_branch .LBB4_2668
.LBB4_2667:                             ;   in Loop: Header=BB4_2570 Depth=4
	s_mov_b32 s13, -1
                                        ; implicit-def: $vgpr180
.LBB4_2668:                             ;   in Loop: Header=BB4_2570 Depth=4
	s_delay_alu instid0(SALU_CYCLE_1)
	s_and_b32 vcc_lo, exec_lo, s13
	s_cbranch_vccz .LBB4_2678
; %bb.2669:                             ;   in Loop: Header=BB4_2570 Depth=4
	v_and_b32_e32 v181, 0xff, v179
	s_mov_b32 s13, 0
	s_mov_b32 s38, exec_lo
                                        ; implicit-def: $sgpr37
	s_delay_alu instid0(VALU_DEP_1)
	v_cmpx_lt_i16_e64 0x7f, v181
	s_xor_b32 s38, exec_lo, s38
	s_cbranch_execnz .LBB4_3088
; %bb.2670:                             ;   in Loop: Header=BB4_2570 Depth=4
	s_or_saveexec_b32 s38, s38
	v_mov_b32_e32 v180, s37
	s_xor_b32 exec_lo, exec_lo, s38
	s_cbranch_execnz .LBB4_3091
.LBB4_2671:                             ;   in Loop: Header=BB4_2570 Depth=4
	s_or_b32 exec_lo, exec_lo, s38
	s_and_saveexec_b32 s37, s13
	s_cbranch_execz .LBB4_2673
.LBB4_2672:                             ;   in Loop: Header=BB4_2570 Depth=4
	v_lshrrev_b16 v183, 3, v179
	s_delay_alu instid0(VALU_DEP_1) | instskip(NEXT) | instid1(VALU_DEP_1)
	v_and_b32_e32 v183, 15, v183
	v_cmp_eq_u32_e32 vcc_lo, 0, v183
	v_and_b32_e32 v180, 7, v179
	s_delay_alu instid0(VALU_DEP_1) | instskip(NEXT) | instid1(VALU_DEP_1)
	v_clz_i32_u32_e32 v181, v180
	v_min_u32_e32 v181, 32, v181
	s_delay_alu instid0(VALU_DEP_1) | instskip(SKIP_1) | instid1(VALU_DEP_1)
	v_subrev_nc_u32_e32 v182, 28, v181
	v_sub_nc_u32_e32 v181, 29, v181
	v_dual_cndmask_b32 v181, v183, v181 :: v_dual_lshlrev_b32 v182, v182, v179
	v_lshlrev_b32_e32 v179, 24, v179
	s_delay_alu instid0(VALU_DEP_2) | instskip(NEXT) | instid1(VALU_DEP_3)
	v_and_b32_e32 v182, 7, v182
	v_lshl_add_u32 v181, v181, 23, 0x3b800000
	s_delay_alu instid0(VALU_DEP_2) | instskip(NEXT) | instid1(VALU_DEP_1)
	v_dual_cndmask_b32 v180, v180, v182 :: v_dual_and_b32 v179, 0x80000000, v179
	v_lshlrev_b32_e32 v180, 20, v180
	s_delay_alu instid0(VALU_DEP_1)
	v_or3_b32 v180, v179, v181, v180
.LBB4_2673:                             ;   in Loop: Header=BB4_2570 Depth=4
	s_or_b32 exec_lo, exec_lo, s37
	s_waitcnt vmcnt(12) lgkmcnt(12)
	v_and_b32_e32 v181, 0xff, v85
	s_mov_b32 s13, 0
	s_mov_b32 s38, exec_lo
                                        ; implicit-def: $sgpr37
	s_delay_alu instid0(VALU_DEP_1)
	v_cmpx_lt_i16_e64 0x7f, v181
	s_xor_b32 s38, exec_lo, s38
	s_cbranch_execnz .LBB4_3092
; %bb.2674:                             ;   in Loop: Header=BB4_2570 Depth=4
	s_or_saveexec_b32 s38, s38
	v_mov_b32_e32 v179, s37
	s_xor_b32 exec_lo, exec_lo, s38
	s_cbranch_execnz .LBB4_3095
.LBB4_2675:                             ;   in Loop: Header=BB4_2570 Depth=4
	s_or_b32 exec_lo, exec_lo, s38
	s_and_saveexec_b32 s37, s13
	s_cbranch_execz .LBB4_2677
.LBB4_2676:                             ;   in Loop: Header=BB4_2570 Depth=4
	v_and_b32_e32 v179, 7, v85
	v_lshrrev_b16 v183, 3, v85
	s_delay_alu instid0(VALU_DEP_2) | instskip(NEXT) | instid1(VALU_DEP_2)
	v_clz_i32_u32_e32 v181, v179
	v_and_b32_e32 v183, 15, v183
	s_delay_alu instid0(VALU_DEP_2) | instskip(NEXT) | instid1(VALU_DEP_2)
	v_min_u32_e32 v181, 32, v181
	v_cmp_eq_u32_e32 vcc_lo, 0, v183
	s_delay_alu instid0(VALU_DEP_2) | instskip(SKIP_1) | instid1(VALU_DEP_2)
	v_subrev_nc_u32_e32 v182, 28, v181
	v_sub_nc_u32_e32 v181, 29, v181
	v_lshlrev_b32_e32 v182, v182, v85
	v_lshlrev_b32_e32 v85, 24, v85
	s_delay_alu instid0(VALU_DEP_2) | instskip(NEXT) | instid1(VALU_DEP_2)
	v_dual_cndmask_b32 v181, v183, v181 :: v_dual_and_b32 v182, 7, v182
	v_and_b32_e32 v85, 0x80000000, v85
	s_delay_alu instid0(VALU_DEP_2) | instskip(NEXT) | instid1(VALU_DEP_3)
	v_lshl_add_u32 v181, v181, 23, 0x3b800000
	v_cndmask_b32_e32 v179, v179, v182, vcc_lo
	s_delay_alu instid0(VALU_DEP_1) | instskip(NEXT) | instid1(VALU_DEP_1)
	v_lshlrev_b32_e32 v179, 20, v179
	v_or3_b32 v179, v85, v181, v179
.LBB4_2677:                             ;   in Loop: Header=BB4_2570 Depth=4
	s_or_b32 exec_lo, exec_lo, s37
	s_delay_alu instid0(VALU_DEP_1) | instskip(SKIP_1) | instid1(VALU_DEP_1)
	v_max_f32_e32 v85, v179, v179
	v_max_f32_e32 v179, v180, v180
	v_min_f32_e32 v180, v179, v85
.LBB4_2678:                             ;   in Loop: Header=BB4_2570 Depth=4
	s_waitcnt vmcnt(12) lgkmcnt(12)
	s_delay_alu instid0(VALU_DEP_1) | instskip(NEXT) | instid1(VALU_DEP_1)
	v_and_b32_e32 v85, 0x7f800000, v180
	v_cmp_ne_u32_e32 vcc_lo, 0x7f800000, v85
	v_mov_b32_e32 v85, 0x80
	s_and_saveexec_b32 s37, vcc_lo
	s_cbranch_execz .LBB4_2686
; %bb.2679:                             ;   in Loop: Header=BB4_2570 Depth=4
	v_mov_b32_e32 v85, 0
	s_mov_b32 s38, exec_lo
	v_cmpx_ne_u32_e32 0, v180
	s_cbranch_execz .LBB4_2685
; %bb.2680:                             ;   in Loop: Header=BB4_2570 Depth=4
	v_bfe_u32 v85, v180, 23, 8
	v_and_b32_e32 v179, 0x7fffff, v180
	s_delay_alu instid0(VALU_DEP_2) | instskip(SKIP_1) | instid1(VALU_DEP_3)
	v_sub_nc_u32_e32 v181, 0x78, v85
	v_cmp_gt_u32_e32 vcc_lo, 0x79, v85
	v_or_b32_e32 v182, 0x800000, v179
	s_delay_alu instid0(VALU_DEP_3) | instskip(SKIP_2) | instid1(VALU_DEP_3)
	v_cndmask_b32_e32 v181, 0, v181, vcc_lo
	v_cmp_eq_u32_e32 vcc_lo, 0, v85
	v_add_nc_u32_e32 v85, 0xffffff89, v85
	v_cndmask_b32_e64 v181, v181, 0x77, vcc_lo
	v_cndmask_b32_e32 v179, v182, v179, vcc_lo
	s_delay_alu instid0(VALU_DEP_3) | instskip(NEXT) | instid1(VALU_DEP_3)
	v_cndmask_b32_e64 v85, v85, 0xffffff8a, vcc_lo
	v_lshl_add_u32 v182, 0x100000, v181, -1
	s_delay_alu instid0(VALU_DEP_3) | instskip(SKIP_1) | instid1(VALU_DEP_4)
	v_lshrrev_b32_e32 v183, v181, v179
	v_lshlrev_b32_e64 v41, v181, 0x80000
	v_add_nc_u32_e32 v181, v181, v85
	s_delay_alu instid0(VALU_DEP_4) | instskip(NEXT) | instid1(VALU_DEP_4)
	v_and_b32_e32 v179, v182, v179
	v_bfe_u32 v40, v183, 20, 1
	s_delay_alu instid0(VALU_DEP_2) | instskip(NEXT) | instid1(VALU_DEP_2)
	v_cmp_eq_u32_e64 s13, v179, v41
	v_add_nc_u32_e32 v182, -1, v40
	s_delay_alu instid0(VALU_DEP_1) | instskip(SKIP_2) | instid1(VALU_DEP_2)
	v_cndmask_b32_e64 v179, 0, v182, s13
	v_lshrrev_b32_e32 v182, 23, v183
	s_mov_b32 s13, exec_lo
	v_add_nc_u32_e32 v179, v179, v183
	s_delay_alu instid0(VALU_DEP_2) | instskip(NEXT) | instid1(VALU_DEP_2)
	v_xor_b32_e32 v182, 1, v182
	v_and_b32_e32 v85, 0xfffff, v179
	s_delay_alu instid0(VALU_DEP_1) | instskip(NEXT) | instid1(VALU_DEP_3)
	v_add_nc_u32_e32 v179, v85, v183
                                        ; implicit-def: $vgpr85
	v_cmpx_ne_u32_e64 v181, v182
	s_xor_b32 s13, exec_lo, s13
; %bb.2681:                             ;   in Loop: Header=BB4_2570 Depth=4
	s_delay_alu instid0(VALU_DEP_2) | instskip(SKIP_2) | instid1(VALU_DEP_2)
	v_cmp_lt_u32_e32 vcc_lo, 0xffffff, v179
	v_sub_nc_u32_e32 v85, v181, v182
	v_cndmask_b32_e64 v181, 0, 1, vcc_lo
	v_add_co_ci_u32_e32 v85, vcc_lo, 0, v85, vcc_lo
	s_delay_alu instid0(VALU_DEP_2)
	v_lshrrev_b32_e32 v179, v181, v179
; %bb.2682:                             ;   in Loop: Header=BB4_2570 Depth=4
	s_and_not1_saveexec_b32 s13, s13
; %bb.2683:                             ;   in Loop: Header=BB4_2570 Depth=4
	s_delay_alu instid0(VALU_DEP_1)
	v_bfe_u32 v85, v179, 23, 1
; %bb.2684:                             ;   in Loop: Header=BB4_2570 Depth=4
	s_or_b32 exec_lo, exec_lo, s13
	v_lshrrev_b32_e32 v179, 20, v179
	s_delay_alu instid0(VALU_DEP_2) | instskip(SKIP_2) | instid1(VALU_DEP_2)
	v_cmp_gt_i32_e32 vcc_lo, 16, v85
	v_lshrrev_b32_e32 v180, 24, v180
	v_min_i32_e32 v181, 15, v85
	v_dual_cndmask_b32 v179, 7, v179 :: v_dual_and_b32 v180, 0x80, v180
	s_delay_alu instid0(VALU_DEP_2) | instskip(NEXT) | instid1(VALU_DEP_2)
	v_lshlrev_b32_e32 v181, 3, v181
	v_and_b32_e32 v182, 7, v179
	v_or_b32_e32 v85, v85, v179
	s_delay_alu instid0(VALU_DEP_2) | instskip(NEXT) | instid1(VALU_DEP_2)
	v_or3_b32 v179, v181, v180, v182
	v_cmp_ne_u32_e32 vcc_lo, 0, v85
	s_delay_alu instid0(VALU_DEP_2)
	v_cndmask_b32_e32 v85, 0, v179, vcc_lo
.LBB4_2685:                             ;   in Loop: Header=BB4_2570 Depth=4
	s_or_b32 exec_lo, exec_lo, s38
.LBB4_2686:                             ;   in Loop: Header=BB4_2570 Depth=4
	s_delay_alu instid0(SALU_CYCLE_1) | instskip(NEXT) | instid1(SALU_CYCLE_1)
	s_or_b32 exec_lo, exec_lo, s37
	s_and_not1_b32 vcc_lo, exec_lo, s35
	s_cbranch_vccnz .LBB4_2696
; %bb.2687:                             ;   in Loop: Header=BB4_2570 Depth=4
	v_and_b32_e32 v180, 0xff, v178
	s_mov_b32 s13, 0
	s_mov_b32 s38, exec_lo
                                        ; implicit-def: $sgpr37
	s_delay_alu instid0(VALU_DEP_1)
	v_cmpx_lt_i16_e64 0x7f, v180
	s_xor_b32 s38, exec_lo, s38
	s_cbranch_execnz .LBB4_3096
; %bb.2688:                             ;   in Loop: Header=BB4_2570 Depth=4
	s_or_saveexec_b32 s38, s38
	v_mov_b32_e32 v179, s37
	s_xor_b32 exec_lo, exec_lo, s38
	s_cbranch_execnz .LBB4_3099
.LBB4_2689:                             ;   in Loop: Header=BB4_2570 Depth=4
	s_or_b32 exec_lo, exec_lo, s38
	s_and_saveexec_b32 s37, s13
	s_cbranch_execz .LBB4_2691
.LBB4_2690:                             ;   in Loop: Header=BB4_2570 Depth=4
	v_lshrrev_b16 v182, 3, v178
	v_lshlrev_b32_e32 v183, 24, v178
	s_delay_alu instid0(VALU_DEP_2) | instskip(NEXT) | instid1(VALU_DEP_1)
	v_and_b32_e32 v182, 15, v182
	v_cmp_eq_u32_e32 vcc_lo, 0, v182
	v_and_b32_e32 v179, 7, v178
	s_delay_alu instid0(VALU_DEP_1) | instskip(NEXT) | instid1(VALU_DEP_1)
	v_clz_i32_u32_e32 v180, v179
	v_min_u32_e32 v180, 32, v180
	s_delay_alu instid0(VALU_DEP_1) | instskip(SKIP_1) | instid1(VALU_DEP_1)
	v_subrev_nc_u32_e32 v181, 28, v180
	v_sub_nc_u32_e32 v180, 29, v180
	v_dual_cndmask_b32 v180, v182, v180 :: v_dual_lshlrev_b32 v181, v181, v178
	s_delay_alu instid0(VALU_DEP_1) | instskip(NEXT) | instid1(VALU_DEP_2)
	v_and_b32_e32 v181, 7, v181
	v_lshl_add_u32 v180, v180, 23, 0x3b800000
	s_delay_alu instid0(VALU_DEP_2) | instskip(SKIP_1) | instid1(VALU_DEP_2)
	v_cndmask_b32_e32 v179, v179, v181, vcc_lo
	v_and_b32_e32 v181, 0x80000000, v183
	v_lshlrev_b32_e32 v179, 20, v179
	s_delay_alu instid0(VALU_DEP_1)
	v_or3_b32 v179, v181, v180, v179
.LBB4_2691:                             ;   in Loop: Header=BB4_2570 Depth=4
	s_or_b32 exec_lo, exec_lo, s37
	s_waitcnt vmcnt(11) lgkmcnt(11)
	v_and_b32_e32 v181, 0xff, v149
	s_mov_b32 s13, 0
	s_mov_b32 s38, exec_lo
                                        ; implicit-def: $sgpr37
	s_delay_alu instid0(VALU_DEP_1)
	v_cmpx_lt_i16_e64 0x7f, v181
	s_xor_b32 s38, exec_lo, s38
	s_cbranch_execnz .LBB4_3100
; %bb.2692:                             ;   in Loop: Header=BB4_2570 Depth=4
	s_or_saveexec_b32 s38, s38
	v_mov_b32_e32 v180, s37
	s_xor_b32 exec_lo, exec_lo, s38
	s_cbranch_execnz .LBB4_3103
.LBB4_2693:                             ;   in Loop: Header=BB4_2570 Depth=4
	s_or_b32 exec_lo, exec_lo, s38
	s_and_saveexec_b32 s37, s13
	s_cbranch_execz .LBB4_2695
.LBB4_2694:                             ;   in Loop: Header=BB4_2570 Depth=4
	v_and_b32_e32 v180, 7, v149
	v_lshrrev_b16 v183, 3, v149
	v_lshlrev_b32_e32 v40, 24, v149
	s_delay_alu instid0(VALU_DEP_3) | instskip(NEXT) | instid1(VALU_DEP_1)
	v_clz_i32_u32_e32 v181, v180
	v_min_u32_e32 v181, 32, v181
	s_delay_alu instid0(VALU_DEP_1) | instskip(SKIP_1) | instid1(VALU_DEP_2)
	v_subrev_nc_u32_e32 v182, 28, v181
	v_sub_nc_u32_e32 v181, 29, v181
	v_lshlrev_b32_e32 v182, v182, v149
	s_delay_alu instid0(VALU_DEP_1) | instskip(SKIP_1) | instid1(VALU_DEP_1)
	v_and_b32_e32 v182, 7, v182
	v_and_b32_e32 v183, 15, v183
	v_cmp_eq_u32_e32 vcc_lo, 0, v183
	s_delay_alu instid0(VALU_DEP_3) | instskip(SKIP_1) | instid1(VALU_DEP_2)
	v_dual_cndmask_b32 v180, v180, v182 :: v_dual_cndmask_b32 v181, v183, v181
	v_and_b32_e32 v182, 0x80000000, v40
	v_lshlrev_b32_e32 v180, 20, v180
	s_delay_alu instid0(VALU_DEP_3) | instskip(NEXT) | instid1(VALU_DEP_1)
	v_lshl_add_u32 v181, v181, 23, 0x3b800000
	v_or3_b32 v180, v182, v181, v180
.LBB4_2695:                             ;   in Loop: Header=BB4_2570 Depth=4
	s_or_b32 exec_lo, exec_lo, s37
	s_delay_alu instid0(VALU_DEP_1) | instskip(SKIP_1) | instid1(VALU_DEP_1)
	v_dual_max_f32 v180, v180, v180 :: v_dual_max_f32 v179, v179, v179
	s_mov_b32 s13, 0
	v_max_f32_e32 v179, v179, v180
	s_branch .LBB4_2697
.LBB4_2696:                             ;   in Loop: Header=BB4_2570 Depth=4
	s_mov_b32 s13, -1
                                        ; implicit-def: $vgpr179
.LBB4_2697:                             ;   in Loop: Header=BB4_2570 Depth=4
	s_delay_alu instid0(SALU_CYCLE_1)
	s_and_b32 vcc_lo, exec_lo, s13
	s_cbranch_vccz .LBB4_2707
; %bb.2698:                             ;   in Loop: Header=BB4_2570 Depth=4
	v_and_b32_e32 v180, 0xff, v178
	s_mov_b32 s13, 0
	s_mov_b32 s38, exec_lo
                                        ; implicit-def: $sgpr37
	s_delay_alu instid0(VALU_DEP_1)
	v_cmpx_lt_i16_e64 0x7f, v180
	s_xor_b32 s38, exec_lo, s38
	s_cbranch_execnz .LBB4_3104
; %bb.2699:                             ;   in Loop: Header=BB4_2570 Depth=4
	s_or_saveexec_b32 s38, s38
	v_mov_b32_e32 v179, s37
	s_xor_b32 exec_lo, exec_lo, s38
	s_cbranch_execnz .LBB4_3107
.LBB4_2700:                             ;   in Loop: Header=BB4_2570 Depth=4
	s_or_b32 exec_lo, exec_lo, s38
	s_and_saveexec_b32 s37, s13
	s_cbranch_execz .LBB4_2702
.LBB4_2701:                             ;   in Loop: Header=BB4_2570 Depth=4
	v_lshrrev_b16 v182, 3, v178
	s_delay_alu instid0(VALU_DEP_1) | instskip(NEXT) | instid1(VALU_DEP_1)
	v_and_b32_e32 v182, 15, v182
	v_cmp_eq_u32_e32 vcc_lo, 0, v182
	v_and_b32_e32 v179, 7, v178
	s_delay_alu instid0(VALU_DEP_1) | instskip(NEXT) | instid1(VALU_DEP_1)
	v_clz_i32_u32_e32 v180, v179
	v_min_u32_e32 v180, 32, v180
	s_delay_alu instid0(VALU_DEP_1) | instskip(SKIP_1) | instid1(VALU_DEP_1)
	v_subrev_nc_u32_e32 v181, 28, v180
	v_sub_nc_u32_e32 v180, 29, v180
	v_dual_cndmask_b32 v180, v182, v180 :: v_dual_lshlrev_b32 v181, v181, v178
	v_lshlrev_b32_e32 v178, 24, v178
	s_delay_alu instid0(VALU_DEP_2) | instskip(NEXT) | instid1(VALU_DEP_3)
	v_and_b32_e32 v181, 7, v181
	v_lshl_add_u32 v180, v180, 23, 0x3b800000
	s_delay_alu instid0(VALU_DEP_2) | instskip(NEXT) | instid1(VALU_DEP_1)
	v_dual_cndmask_b32 v179, v179, v181 :: v_dual_and_b32 v178, 0x80000000, v178
	v_lshlrev_b32_e32 v179, 20, v179
	s_delay_alu instid0(VALU_DEP_1)
	v_or3_b32 v179, v178, v180, v179
.LBB4_2702:                             ;   in Loop: Header=BB4_2570 Depth=4
	s_or_b32 exec_lo, exec_lo, s37
	s_waitcnt vmcnt(11) lgkmcnt(11)
	v_and_b32_e32 v180, 0xff, v149
	s_mov_b32 s13, 0
	s_mov_b32 s38, exec_lo
                                        ; implicit-def: $sgpr37
	s_delay_alu instid0(VALU_DEP_1)
	v_cmpx_lt_i16_e64 0x7f, v180
	s_xor_b32 s38, exec_lo, s38
	s_cbranch_execnz .LBB4_3108
; %bb.2703:                             ;   in Loop: Header=BB4_2570 Depth=4
	s_or_saveexec_b32 s38, s38
	v_mov_b32_e32 v178, s37
	s_xor_b32 exec_lo, exec_lo, s38
	s_cbranch_execnz .LBB4_3111
.LBB4_2704:                             ;   in Loop: Header=BB4_2570 Depth=4
	s_or_b32 exec_lo, exec_lo, s38
	s_and_saveexec_b32 s37, s13
	s_cbranch_execz .LBB4_2706
.LBB4_2705:                             ;   in Loop: Header=BB4_2570 Depth=4
	v_and_b32_e32 v178, 7, v149
	v_lshrrev_b16 v182, 3, v149
	s_delay_alu instid0(VALU_DEP_2) | instskip(NEXT) | instid1(VALU_DEP_2)
	v_clz_i32_u32_e32 v180, v178
	v_and_b32_e32 v182, 15, v182
	s_delay_alu instid0(VALU_DEP_2) | instskip(NEXT) | instid1(VALU_DEP_2)
	v_min_u32_e32 v180, 32, v180
	v_cmp_eq_u32_e32 vcc_lo, 0, v182
	s_delay_alu instid0(VALU_DEP_2) | instskip(SKIP_1) | instid1(VALU_DEP_1)
	v_subrev_nc_u32_e32 v181, 28, v180
	v_sub_nc_u32_e32 v180, 29, v180
	v_dual_cndmask_b32 v180, v182, v180 :: v_dual_lshlrev_b32 v181, v181, v149
	v_lshlrev_b32_e32 v149, 24, v149
	s_delay_alu instid0(VALU_DEP_2) | instskip(NEXT) | instid1(VALU_DEP_3)
	v_and_b32_e32 v181, 7, v181
	v_lshl_add_u32 v180, v180, 23, 0x3b800000
	s_delay_alu instid0(VALU_DEP_3) | instskip(NEXT) | instid1(VALU_DEP_3)
	v_and_b32_e32 v149, 0x80000000, v149
	v_cndmask_b32_e32 v178, v178, v181, vcc_lo
	s_delay_alu instid0(VALU_DEP_1) | instskip(NEXT) | instid1(VALU_DEP_1)
	v_lshlrev_b32_e32 v178, 20, v178
	v_or3_b32 v178, v149, v180, v178
.LBB4_2706:                             ;   in Loop: Header=BB4_2570 Depth=4
	s_or_b32 exec_lo, exec_lo, s37
	s_delay_alu instid0(VALU_DEP_1) | instskip(NEXT) | instid1(VALU_DEP_1)
	v_dual_max_f32 v149, v178, v178 :: v_dual_max_f32 v178, v179, v179
	v_min_f32_e32 v179, v178, v149
.LBB4_2707:                             ;   in Loop: Header=BB4_2570 Depth=4
	s_waitcnt vmcnt(11) lgkmcnt(11)
	s_delay_alu instid0(VALU_DEP_1) | instskip(NEXT) | instid1(VALU_DEP_1)
	v_and_b32_e32 v149, 0x7f800000, v179
	v_cmp_ne_u32_e32 vcc_lo, 0x7f800000, v149
	v_mov_b32_e32 v149, 0x80
	s_and_saveexec_b32 s37, vcc_lo
	s_cbranch_execz .LBB4_2715
; %bb.2708:                             ;   in Loop: Header=BB4_2570 Depth=4
	v_mov_b32_e32 v149, 0
	s_mov_b32 s38, exec_lo
	v_cmpx_ne_u32_e32 0, v179
	s_cbranch_execz .LBB4_2714
; %bb.2709:                             ;   in Loop: Header=BB4_2570 Depth=4
	v_bfe_u32 v149, v179, 23, 8
	v_and_b32_e32 v178, 0x7fffff, v179
	s_delay_alu instid0(VALU_DEP_2) | instskip(SKIP_1) | instid1(VALU_DEP_3)
	v_sub_nc_u32_e32 v180, 0x78, v149
	v_cmp_gt_u32_e32 vcc_lo, 0x79, v149
	v_or_b32_e32 v181, 0x800000, v178
	s_delay_alu instid0(VALU_DEP_3) | instskip(SKIP_2) | instid1(VALU_DEP_3)
	v_cndmask_b32_e32 v180, 0, v180, vcc_lo
	v_cmp_eq_u32_e32 vcc_lo, 0, v149
	v_add_nc_u32_e32 v149, 0xffffff89, v149
	v_cndmask_b32_e64 v180, v180, 0x77, vcc_lo
	v_cndmask_b32_e32 v178, v181, v178, vcc_lo
	s_delay_alu instid0(VALU_DEP_3) | instskip(NEXT) | instid1(VALU_DEP_3)
	v_cndmask_b32_e64 v149, v149, 0xffffff8a, vcc_lo
	v_lshl_add_u32 v181, 0x100000, v180, -1
	s_delay_alu instid0(VALU_DEP_3) | instskip(SKIP_1) | instid1(VALU_DEP_4)
	v_lshrrev_b32_e32 v182, v180, v178
	v_lshlrev_b32_e64 v40, v180, 0x80000
	v_add_nc_u32_e32 v180, v180, v149
	s_delay_alu instid0(VALU_DEP_4) | instskip(NEXT) | instid1(VALU_DEP_4)
	v_and_b32_e32 v178, v181, v178
	v_bfe_u32 v183, v182, 20, 1
	s_delay_alu instid0(VALU_DEP_2) | instskip(NEXT) | instid1(VALU_DEP_2)
	v_cmp_eq_u32_e64 s13, v178, v40
	v_add_nc_u32_e32 v181, -1, v183
	s_delay_alu instid0(VALU_DEP_1) | instskip(SKIP_2) | instid1(VALU_DEP_2)
	v_cndmask_b32_e64 v178, 0, v181, s13
	v_lshrrev_b32_e32 v181, 23, v182
	s_mov_b32 s13, exec_lo
	v_add_nc_u32_e32 v178, v178, v182
	s_delay_alu instid0(VALU_DEP_2) | instskip(NEXT) | instid1(VALU_DEP_2)
	v_xor_b32_e32 v181, 1, v181
	v_and_b32_e32 v149, 0xfffff, v178
	s_delay_alu instid0(VALU_DEP_1) | instskip(NEXT) | instid1(VALU_DEP_3)
	v_add_nc_u32_e32 v178, v149, v182
                                        ; implicit-def: $vgpr149
	v_cmpx_ne_u32_e64 v180, v181
	s_xor_b32 s13, exec_lo, s13
; %bb.2710:                             ;   in Loop: Header=BB4_2570 Depth=4
	s_delay_alu instid0(VALU_DEP_2) | instskip(SKIP_2) | instid1(VALU_DEP_2)
	v_cmp_lt_u32_e32 vcc_lo, 0xffffff, v178
	v_sub_nc_u32_e32 v149, v180, v181
	v_cndmask_b32_e64 v180, 0, 1, vcc_lo
	v_add_co_ci_u32_e32 v149, vcc_lo, 0, v149, vcc_lo
	s_delay_alu instid0(VALU_DEP_2)
	v_lshrrev_b32_e32 v178, v180, v178
; %bb.2711:                             ;   in Loop: Header=BB4_2570 Depth=4
	s_and_not1_saveexec_b32 s13, s13
; %bb.2712:                             ;   in Loop: Header=BB4_2570 Depth=4
	s_delay_alu instid0(VALU_DEP_1)
	v_bfe_u32 v149, v178, 23, 1
; %bb.2713:                             ;   in Loop: Header=BB4_2570 Depth=4
	s_or_b32 exec_lo, exec_lo, s13
	v_lshrrev_b32_e32 v178, 20, v178
	s_delay_alu instid0(VALU_DEP_2) | instskip(SKIP_2) | instid1(VALU_DEP_2)
	v_cmp_gt_i32_e32 vcc_lo, 16, v149
	v_lshrrev_b32_e32 v179, 24, v179
	v_min_i32_e32 v180, 15, v149
	v_dual_cndmask_b32 v178, 7, v178 :: v_dual_and_b32 v179, 0x80, v179
	s_delay_alu instid0(VALU_DEP_1) | instskip(SKIP_1) | instid1(VALU_DEP_2)
	v_or_b32_e32 v149, v149, v178
	v_and_b32_e32 v181, 7, v178
	v_cmp_ne_u32_e32 vcc_lo, 0, v149
	v_lshlrev_b32_e32 v180, 3, v180
	s_delay_alu instid0(VALU_DEP_1) | instskip(NEXT) | instid1(VALU_DEP_1)
	v_or3_b32 v178, v180, v179, v181
	v_cndmask_b32_e32 v149, 0, v178, vcc_lo
.LBB4_2714:                             ;   in Loop: Header=BB4_2570 Depth=4
	s_or_b32 exec_lo, exec_lo, s38
.LBB4_2715:                             ;   in Loop: Header=BB4_2570 Depth=4
	s_delay_alu instid0(SALU_CYCLE_1) | instskip(NEXT) | instid1(SALU_CYCLE_1)
	s_or_b32 exec_lo, exec_lo, s37
	s_and_not1_b32 vcc_lo, exec_lo, s35
	s_cbranch_vccnz .LBB4_2725
; %bb.2716:                             ;   in Loop: Header=BB4_2570 Depth=4
	v_and_b32_e32 v179, 0xff, v177
	s_mov_b32 s13, 0
	s_mov_b32 s38, exec_lo
                                        ; implicit-def: $sgpr37
	s_delay_alu instid0(VALU_DEP_1)
	v_cmpx_lt_i16_e64 0x7f, v179
	s_xor_b32 s38, exec_lo, s38
	s_cbranch_execnz .LBB4_3112
; %bb.2717:                             ;   in Loop: Header=BB4_2570 Depth=4
	s_or_saveexec_b32 s38, s38
	v_mov_b32_e32 v178, s37
	s_xor_b32 exec_lo, exec_lo, s38
	s_cbranch_execnz .LBB4_3115
.LBB4_2718:                             ;   in Loop: Header=BB4_2570 Depth=4
	s_or_b32 exec_lo, exec_lo, s38
	s_and_saveexec_b32 s37, s13
	s_cbranch_execz .LBB4_2720
.LBB4_2719:                             ;   in Loop: Header=BB4_2570 Depth=4
	v_lshrrev_b16 v181, 3, v177
	v_lshlrev_b32_e32 v182, 24, v177
	s_delay_alu instid0(VALU_DEP_2) | instskip(NEXT) | instid1(VALU_DEP_1)
	v_and_b32_e32 v181, 15, v181
	v_cmp_eq_u32_e32 vcc_lo, 0, v181
	v_and_b32_e32 v178, 7, v177
	s_delay_alu instid0(VALU_DEP_1) | instskip(NEXT) | instid1(VALU_DEP_1)
	v_clz_i32_u32_e32 v179, v178
	v_min_u32_e32 v179, 32, v179
	s_delay_alu instid0(VALU_DEP_1) | instskip(SKIP_1) | instid1(VALU_DEP_1)
	v_subrev_nc_u32_e32 v180, 28, v179
	v_sub_nc_u32_e32 v179, 29, v179
	v_dual_cndmask_b32 v179, v181, v179 :: v_dual_lshlrev_b32 v180, v180, v177
	s_delay_alu instid0(VALU_DEP_1) | instskip(NEXT) | instid1(VALU_DEP_2)
	v_and_b32_e32 v180, 7, v180
	v_lshl_add_u32 v179, v179, 23, 0x3b800000
	s_delay_alu instid0(VALU_DEP_2) | instskip(SKIP_1) | instid1(VALU_DEP_2)
	v_cndmask_b32_e32 v178, v178, v180, vcc_lo
	v_and_b32_e32 v180, 0x80000000, v182
	v_lshlrev_b32_e32 v178, 20, v178
	s_delay_alu instid0(VALU_DEP_1)
	v_or3_b32 v178, v180, v179, v178
.LBB4_2720:                             ;   in Loop: Header=BB4_2570 Depth=4
	s_or_b32 exec_lo, exec_lo, s37
	s_waitcnt vmcnt(10) lgkmcnt(10)
	v_and_b32_e32 v180, 0xff, v160
	s_mov_b32 s13, 0
	s_mov_b32 s38, exec_lo
                                        ; implicit-def: $sgpr37
	s_delay_alu instid0(VALU_DEP_1)
	v_cmpx_lt_i16_e64 0x7f, v180
	s_xor_b32 s38, exec_lo, s38
	s_cbranch_execnz .LBB4_3116
; %bb.2721:                             ;   in Loop: Header=BB4_2570 Depth=4
	s_or_saveexec_b32 s38, s38
	v_mov_b32_e32 v179, s37
	s_xor_b32 exec_lo, exec_lo, s38
	s_cbranch_execnz .LBB4_3119
.LBB4_2722:                             ;   in Loop: Header=BB4_2570 Depth=4
	s_or_b32 exec_lo, exec_lo, s38
	s_and_saveexec_b32 s37, s13
	s_cbranch_execz .LBB4_2724
.LBB4_2723:                             ;   in Loop: Header=BB4_2570 Depth=4
	v_and_b32_e32 v179, 7, v160
	v_lshrrev_b16 v182, 3, v160
	v_lshlrev_b32_e32 v183, 24, v160
	s_delay_alu instid0(VALU_DEP_3) | instskip(NEXT) | instid1(VALU_DEP_1)
	v_clz_i32_u32_e32 v180, v179
	v_min_u32_e32 v180, 32, v180
	s_delay_alu instid0(VALU_DEP_1) | instskip(SKIP_1) | instid1(VALU_DEP_2)
	v_subrev_nc_u32_e32 v181, 28, v180
	v_sub_nc_u32_e32 v180, 29, v180
	v_lshlrev_b32_e32 v181, v181, v160
	s_delay_alu instid0(VALU_DEP_1) | instskip(SKIP_1) | instid1(VALU_DEP_1)
	v_and_b32_e32 v181, 7, v181
	v_and_b32_e32 v182, 15, v182
	v_cmp_eq_u32_e32 vcc_lo, 0, v182
	s_delay_alu instid0(VALU_DEP_3) | instskip(SKIP_1) | instid1(VALU_DEP_2)
	v_dual_cndmask_b32 v179, v179, v181 :: v_dual_cndmask_b32 v180, v182, v180
	v_and_b32_e32 v181, 0x80000000, v183
	v_lshlrev_b32_e32 v179, 20, v179
	s_delay_alu instid0(VALU_DEP_3) | instskip(NEXT) | instid1(VALU_DEP_1)
	v_lshl_add_u32 v180, v180, 23, 0x3b800000
	v_or3_b32 v179, v181, v180, v179
.LBB4_2724:                             ;   in Loop: Header=BB4_2570 Depth=4
	s_or_b32 exec_lo, exec_lo, s37
	s_delay_alu instid0(VALU_DEP_1) | instskip(SKIP_1) | instid1(VALU_DEP_1)
	v_dual_max_f32 v179, v179, v179 :: v_dual_max_f32 v178, v178, v178
	s_mov_b32 s13, 0
	v_max_f32_e32 v178, v178, v179
	s_branch .LBB4_2726
.LBB4_2725:                             ;   in Loop: Header=BB4_2570 Depth=4
	s_mov_b32 s13, -1
                                        ; implicit-def: $vgpr178
.LBB4_2726:                             ;   in Loop: Header=BB4_2570 Depth=4
	s_delay_alu instid0(SALU_CYCLE_1)
	s_and_b32 vcc_lo, exec_lo, s13
	s_cbranch_vccz .LBB4_2736
; %bb.2727:                             ;   in Loop: Header=BB4_2570 Depth=4
	v_and_b32_e32 v179, 0xff, v177
	s_mov_b32 s13, 0
	s_mov_b32 s38, exec_lo
                                        ; implicit-def: $sgpr37
	s_delay_alu instid0(VALU_DEP_1)
	v_cmpx_lt_i16_e64 0x7f, v179
	s_xor_b32 s38, exec_lo, s38
	s_cbranch_execnz .LBB4_3120
; %bb.2728:                             ;   in Loop: Header=BB4_2570 Depth=4
	s_or_saveexec_b32 s38, s38
	v_mov_b32_e32 v178, s37
	s_xor_b32 exec_lo, exec_lo, s38
	s_cbranch_execnz .LBB4_3123
.LBB4_2729:                             ;   in Loop: Header=BB4_2570 Depth=4
	s_or_b32 exec_lo, exec_lo, s38
	s_and_saveexec_b32 s37, s13
	s_cbranch_execz .LBB4_2731
.LBB4_2730:                             ;   in Loop: Header=BB4_2570 Depth=4
	v_lshrrev_b16 v181, 3, v177
	s_delay_alu instid0(VALU_DEP_1) | instskip(NEXT) | instid1(VALU_DEP_1)
	v_and_b32_e32 v181, 15, v181
	v_cmp_eq_u32_e32 vcc_lo, 0, v181
	v_and_b32_e32 v178, 7, v177
	s_delay_alu instid0(VALU_DEP_1) | instskip(NEXT) | instid1(VALU_DEP_1)
	v_clz_i32_u32_e32 v179, v178
	v_min_u32_e32 v179, 32, v179
	s_delay_alu instid0(VALU_DEP_1) | instskip(SKIP_1) | instid1(VALU_DEP_1)
	v_subrev_nc_u32_e32 v180, 28, v179
	v_sub_nc_u32_e32 v179, 29, v179
	v_dual_cndmask_b32 v179, v181, v179 :: v_dual_lshlrev_b32 v180, v180, v177
	v_lshlrev_b32_e32 v177, 24, v177
	s_delay_alu instid0(VALU_DEP_2) | instskip(NEXT) | instid1(VALU_DEP_3)
	v_and_b32_e32 v180, 7, v180
	v_lshl_add_u32 v179, v179, 23, 0x3b800000
	s_delay_alu instid0(VALU_DEP_2) | instskip(NEXT) | instid1(VALU_DEP_1)
	v_dual_cndmask_b32 v178, v178, v180 :: v_dual_and_b32 v177, 0x80000000, v177
	v_lshlrev_b32_e32 v178, 20, v178
	s_delay_alu instid0(VALU_DEP_1)
	v_or3_b32 v178, v177, v179, v178
.LBB4_2731:                             ;   in Loop: Header=BB4_2570 Depth=4
	s_or_b32 exec_lo, exec_lo, s37
	s_waitcnt vmcnt(10) lgkmcnt(10)
	v_and_b32_e32 v179, 0xff, v160
	s_mov_b32 s13, 0
	s_mov_b32 s38, exec_lo
                                        ; implicit-def: $sgpr37
	s_delay_alu instid0(VALU_DEP_1)
	v_cmpx_lt_i16_e64 0x7f, v179
	s_xor_b32 s38, exec_lo, s38
	s_cbranch_execnz .LBB4_3124
; %bb.2732:                             ;   in Loop: Header=BB4_2570 Depth=4
	s_or_saveexec_b32 s38, s38
	v_mov_b32_e32 v177, s37
	s_xor_b32 exec_lo, exec_lo, s38
	s_cbranch_execnz .LBB4_3127
.LBB4_2733:                             ;   in Loop: Header=BB4_2570 Depth=4
	s_or_b32 exec_lo, exec_lo, s38
	s_and_saveexec_b32 s37, s13
	s_cbranch_execz .LBB4_2735
.LBB4_2734:                             ;   in Loop: Header=BB4_2570 Depth=4
	v_and_b32_e32 v177, 7, v160
	v_lshrrev_b16 v181, 3, v160
	s_delay_alu instid0(VALU_DEP_2) | instskip(NEXT) | instid1(VALU_DEP_2)
	v_clz_i32_u32_e32 v179, v177
	v_and_b32_e32 v181, 15, v181
	s_delay_alu instid0(VALU_DEP_2) | instskip(NEXT) | instid1(VALU_DEP_2)
	v_min_u32_e32 v179, 32, v179
	v_cmp_eq_u32_e32 vcc_lo, 0, v181
	s_delay_alu instid0(VALU_DEP_2) | instskip(SKIP_1) | instid1(VALU_DEP_1)
	v_subrev_nc_u32_e32 v180, 28, v179
	v_sub_nc_u32_e32 v179, 29, v179
	v_dual_cndmask_b32 v179, v181, v179 :: v_dual_lshlrev_b32 v180, v180, v160
	v_lshlrev_b32_e32 v160, 24, v160
	s_delay_alu instid0(VALU_DEP_2) | instskip(NEXT) | instid1(VALU_DEP_3)
	v_and_b32_e32 v180, 7, v180
	v_lshl_add_u32 v179, v179, 23, 0x3b800000
	s_delay_alu instid0(VALU_DEP_3) | instskip(NEXT) | instid1(VALU_DEP_3)
	v_and_b32_e32 v160, 0x80000000, v160
	v_cndmask_b32_e32 v177, v177, v180, vcc_lo
	s_delay_alu instid0(VALU_DEP_1) | instskip(NEXT) | instid1(VALU_DEP_1)
	v_lshlrev_b32_e32 v177, 20, v177
	v_or3_b32 v177, v160, v179, v177
.LBB4_2735:                             ;   in Loop: Header=BB4_2570 Depth=4
	s_or_b32 exec_lo, exec_lo, s37
	s_delay_alu instid0(VALU_DEP_1) | instskip(NEXT) | instid1(VALU_DEP_1)
	v_dual_max_f32 v160, v177, v177 :: v_dual_max_f32 v177, v178, v178
	v_min_f32_e32 v178, v177, v160
.LBB4_2736:                             ;   in Loop: Header=BB4_2570 Depth=4
	s_waitcnt vmcnt(10) lgkmcnt(10)
	s_delay_alu instid0(VALU_DEP_1) | instskip(NEXT) | instid1(VALU_DEP_1)
	v_and_b32_e32 v160, 0x7f800000, v178
	v_cmp_ne_u32_e32 vcc_lo, 0x7f800000, v160
	v_mov_b32_e32 v160, 0x80
	s_and_saveexec_b32 s37, vcc_lo
	s_cbranch_execz .LBB4_2744
; %bb.2737:                             ;   in Loop: Header=BB4_2570 Depth=4
	v_mov_b32_e32 v160, 0
	s_mov_b32 s38, exec_lo
	v_cmpx_ne_u32_e32 0, v178
	s_cbranch_execz .LBB4_2743
; %bb.2738:                             ;   in Loop: Header=BB4_2570 Depth=4
	v_bfe_u32 v160, v178, 23, 8
	v_and_b32_e32 v177, 0x7fffff, v178
	s_delay_alu instid0(VALU_DEP_2) | instskip(SKIP_1) | instid1(VALU_DEP_3)
	v_sub_nc_u32_e32 v179, 0x78, v160
	v_cmp_gt_u32_e32 vcc_lo, 0x79, v160
	v_or_b32_e32 v180, 0x800000, v177
	s_delay_alu instid0(VALU_DEP_3) | instskip(SKIP_2) | instid1(VALU_DEP_3)
	v_cndmask_b32_e32 v179, 0, v179, vcc_lo
	v_cmp_eq_u32_e32 vcc_lo, 0, v160
	v_add_nc_u32_e32 v160, 0xffffff89, v160
	v_cndmask_b32_e64 v179, v179, 0x77, vcc_lo
	v_cndmask_b32_e32 v177, v180, v177, vcc_lo
	s_delay_alu instid0(VALU_DEP_3) | instskip(NEXT) | instid1(VALU_DEP_3)
	v_cndmask_b32_e64 v160, v160, 0xffffff8a, vcc_lo
	v_lshl_add_u32 v180, 0x100000, v179, -1
	s_delay_alu instid0(VALU_DEP_3) | instskip(SKIP_1) | instid1(VALU_DEP_4)
	v_lshrrev_b32_e32 v181, v179, v177
	v_lshlrev_b32_e64 v183, v179, 0x80000
	v_add_nc_u32_e32 v179, v179, v160
	s_delay_alu instid0(VALU_DEP_4) | instskip(NEXT) | instid1(VALU_DEP_4)
	v_and_b32_e32 v177, v180, v177
	v_bfe_u32 v182, v181, 20, 1
	s_delay_alu instid0(VALU_DEP_2) | instskip(NEXT) | instid1(VALU_DEP_2)
	v_cmp_eq_u32_e64 s13, v177, v183
	v_add_nc_u32_e32 v180, -1, v182
	s_delay_alu instid0(VALU_DEP_1) | instskip(SKIP_2) | instid1(VALU_DEP_2)
	v_cndmask_b32_e64 v177, 0, v180, s13
	v_lshrrev_b32_e32 v180, 23, v181
	s_mov_b32 s13, exec_lo
	v_add_nc_u32_e32 v177, v177, v181
	s_delay_alu instid0(VALU_DEP_2) | instskip(NEXT) | instid1(VALU_DEP_2)
	v_xor_b32_e32 v180, 1, v180
	v_and_b32_e32 v160, 0xfffff, v177
	s_delay_alu instid0(VALU_DEP_1) | instskip(NEXT) | instid1(VALU_DEP_3)
	v_add_nc_u32_e32 v177, v160, v181
                                        ; implicit-def: $vgpr160
	v_cmpx_ne_u32_e64 v179, v180
	s_xor_b32 s13, exec_lo, s13
; %bb.2739:                             ;   in Loop: Header=BB4_2570 Depth=4
	s_delay_alu instid0(VALU_DEP_2) | instskip(SKIP_2) | instid1(VALU_DEP_2)
	v_cmp_lt_u32_e32 vcc_lo, 0xffffff, v177
	v_sub_nc_u32_e32 v160, v179, v180
	v_cndmask_b32_e64 v179, 0, 1, vcc_lo
	v_add_co_ci_u32_e32 v160, vcc_lo, 0, v160, vcc_lo
	s_delay_alu instid0(VALU_DEP_2)
	v_lshrrev_b32_e32 v177, v179, v177
; %bb.2740:                             ;   in Loop: Header=BB4_2570 Depth=4
	s_and_not1_saveexec_b32 s13, s13
; %bb.2741:                             ;   in Loop: Header=BB4_2570 Depth=4
	s_delay_alu instid0(VALU_DEP_1)
	v_bfe_u32 v160, v177, 23, 1
; %bb.2742:                             ;   in Loop: Header=BB4_2570 Depth=4
	s_or_b32 exec_lo, exec_lo, s13
	v_lshrrev_b32_e32 v177, 20, v177
	s_delay_alu instid0(VALU_DEP_2) | instskip(SKIP_2) | instid1(VALU_DEP_2)
	v_cmp_gt_i32_e32 vcc_lo, 16, v160
	v_lshrrev_b32_e32 v178, 24, v178
	v_min_i32_e32 v179, 15, v160
	v_dual_cndmask_b32 v177, 7, v177 :: v_dual_and_b32 v178, 0x80, v178
	s_delay_alu instid0(VALU_DEP_1) | instskip(SKIP_1) | instid1(VALU_DEP_2)
	v_or_b32_e32 v160, v160, v177
	v_and_b32_e32 v180, 7, v177
	v_cmp_ne_u32_e32 vcc_lo, 0, v160
	v_lshlrev_b32_e32 v179, 3, v179
	s_delay_alu instid0(VALU_DEP_1) | instskip(NEXT) | instid1(VALU_DEP_1)
	v_or3_b32 v177, v179, v178, v180
	v_cndmask_b32_e32 v160, 0, v177, vcc_lo
.LBB4_2743:                             ;   in Loop: Header=BB4_2570 Depth=4
	s_or_b32 exec_lo, exec_lo, s38
.LBB4_2744:                             ;   in Loop: Header=BB4_2570 Depth=4
	s_delay_alu instid0(SALU_CYCLE_1) | instskip(NEXT) | instid1(SALU_CYCLE_1)
	s_or_b32 exec_lo, exec_lo, s37
	s_and_not1_b32 vcc_lo, exec_lo, s35
	s_cbranch_vccnz .LBB4_2754
; %bb.2745:                             ;   in Loop: Header=BB4_2570 Depth=4
	v_and_b32_e32 v178, 0xff, v176
	s_mov_b32 s13, 0
	s_mov_b32 s38, exec_lo
                                        ; implicit-def: $sgpr37
	s_delay_alu instid0(VALU_DEP_1)
	v_cmpx_lt_i16_e64 0x7f, v178
	s_xor_b32 s38, exec_lo, s38
	s_cbranch_execnz .LBB4_3128
; %bb.2746:                             ;   in Loop: Header=BB4_2570 Depth=4
	s_or_saveexec_b32 s38, s38
	v_mov_b32_e32 v177, s37
	s_xor_b32 exec_lo, exec_lo, s38
	s_cbranch_execnz .LBB4_3131
.LBB4_2747:                             ;   in Loop: Header=BB4_2570 Depth=4
	s_or_b32 exec_lo, exec_lo, s38
	s_and_saveexec_b32 s37, s13
	s_cbranch_execz .LBB4_2749
.LBB4_2748:                             ;   in Loop: Header=BB4_2570 Depth=4
	v_lshrrev_b16 v180, 3, v176
	v_lshlrev_b32_e32 v181, 24, v176
	s_delay_alu instid0(VALU_DEP_2) | instskip(NEXT) | instid1(VALU_DEP_1)
	v_and_b32_e32 v180, 15, v180
	v_cmp_eq_u32_e32 vcc_lo, 0, v180
	v_and_b32_e32 v177, 7, v176
	s_delay_alu instid0(VALU_DEP_1) | instskip(NEXT) | instid1(VALU_DEP_1)
	v_clz_i32_u32_e32 v178, v177
	v_min_u32_e32 v178, 32, v178
	s_delay_alu instid0(VALU_DEP_1) | instskip(SKIP_1) | instid1(VALU_DEP_1)
	v_subrev_nc_u32_e32 v179, 28, v178
	v_sub_nc_u32_e32 v178, 29, v178
	v_dual_cndmask_b32 v178, v180, v178 :: v_dual_lshlrev_b32 v179, v179, v176
	s_delay_alu instid0(VALU_DEP_1) | instskip(NEXT) | instid1(VALU_DEP_2)
	v_and_b32_e32 v179, 7, v179
	v_lshl_add_u32 v178, v178, 23, 0x3b800000
	s_delay_alu instid0(VALU_DEP_2) | instskip(SKIP_1) | instid1(VALU_DEP_2)
	v_cndmask_b32_e32 v177, v177, v179, vcc_lo
	v_and_b32_e32 v179, 0x80000000, v181
	v_lshlrev_b32_e32 v177, 20, v177
	s_delay_alu instid0(VALU_DEP_1)
	v_or3_b32 v177, v179, v178, v177
.LBB4_2749:                             ;   in Loop: Header=BB4_2570 Depth=4
	s_or_b32 exec_lo, exec_lo, s37
	s_waitcnt vmcnt(9) lgkmcnt(9)
	v_and_b32_e32 v179, 0xff, v163
	s_mov_b32 s13, 0
	s_mov_b32 s38, exec_lo
                                        ; implicit-def: $sgpr37
	s_delay_alu instid0(VALU_DEP_1)
	v_cmpx_lt_i16_e64 0x7f, v179
	s_xor_b32 s38, exec_lo, s38
	s_cbranch_execnz .LBB4_3132
; %bb.2750:                             ;   in Loop: Header=BB4_2570 Depth=4
	s_or_saveexec_b32 s38, s38
	v_mov_b32_e32 v178, s37
	s_xor_b32 exec_lo, exec_lo, s38
	s_cbranch_execnz .LBB4_3135
.LBB4_2751:                             ;   in Loop: Header=BB4_2570 Depth=4
	s_or_b32 exec_lo, exec_lo, s38
	s_and_saveexec_b32 s37, s13
	s_cbranch_execz .LBB4_2753
.LBB4_2752:                             ;   in Loop: Header=BB4_2570 Depth=4
	v_and_b32_e32 v178, 7, v163
	v_lshrrev_b16 v181, 3, v163
	v_lshlrev_b32_e32 v182, 24, v163
	s_delay_alu instid0(VALU_DEP_3) | instskip(NEXT) | instid1(VALU_DEP_1)
	v_clz_i32_u32_e32 v179, v178
	v_min_u32_e32 v179, 32, v179
	s_delay_alu instid0(VALU_DEP_1) | instskip(SKIP_1) | instid1(VALU_DEP_2)
	v_subrev_nc_u32_e32 v180, 28, v179
	v_sub_nc_u32_e32 v179, 29, v179
	v_lshlrev_b32_e32 v180, v180, v163
	s_delay_alu instid0(VALU_DEP_1) | instskip(SKIP_1) | instid1(VALU_DEP_1)
	v_and_b32_e32 v180, 7, v180
	v_and_b32_e32 v181, 15, v181
	v_cmp_eq_u32_e32 vcc_lo, 0, v181
	s_delay_alu instid0(VALU_DEP_3) | instskip(SKIP_1) | instid1(VALU_DEP_2)
	v_dual_cndmask_b32 v178, v178, v180 :: v_dual_cndmask_b32 v179, v181, v179
	v_and_b32_e32 v180, 0x80000000, v182
	v_lshlrev_b32_e32 v178, 20, v178
	s_delay_alu instid0(VALU_DEP_3) | instskip(NEXT) | instid1(VALU_DEP_1)
	v_lshl_add_u32 v179, v179, 23, 0x3b800000
	v_or3_b32 v178, v180, v179, v178
.LBB4_2753:                             ;   in Loop: Header=BB4_2570 Depth=4
	s_or_b32 exec_lo, exec_lo, s37
	s_delay_alu instid0(VALU_DEP_1) | instskip(SKIP_1) | instid1(VALU_DEP_1)
	v_dual_max_f32 v178, v178, v178 :: v_dual_max_f32 v177, v177, v177
	s_mov_b32 s13, 0
	v_max_f32_e32 v177, v177, v178
	s_branch .LBB4_2755
.LBB4_2754:                             ;   in Loop: Header=BB4_2570 Depth=4
	s_mov_b32 s13, -1
                                        ; implicit-def: $vgpr177
.LBB4_2755:                             ;   in Loop: Header=BB4_2570 Depth=4
	s_delay_alu instid0(SALU_CYCLE_1)
	s_and_b32 vcc_lo, exec_lo, s13
	s_cbranch_vccz .LBB4_2765
; %bb.2756:                             ;   in Loop: Header=BB4_2570 Depth=4
	v_and_b32_e32 v178, 0xff, v176
	s_mov_b32 s13, 0
	s_mov_b32 s38, exec_lo
                                        ; implicit-def: $sgpr37
	s_delay_alu instid0(VALU_DEP_1)
	v_cmpx_lt_i16_e64 0x7f, v178
	s_xor_b32 s38, exec_lo, s38
	s_cbranch_execnz .LBB4_3136
; %bb.2757:                             ;   in Loop: Header=BB4_2570 Depth=4
	s_or_saveexec_b32 s38, s38
	v_mov_b32_e32 v177, s37
	s_xor_b32 exec_lo, exec_lo, s38
	s_cbranch_execnz .LBB4_3139
.LBB4_2758:                             ;   in Loop: Header=BB4_2570 Depth=4
	s_or_b32 exec_lo, exec_lo, s38
	s_and_saveexec_b32 s37, s13
	s_cbranch_execz .LBB4_2760
.LBB4_2759:                             ;   in Loop: Header=BB4_2570 Depth=4
	v_lshrrev_b16 v180, 3, v176
	s_delay_alu instid0(VALU_DEP_1) | instskip(NEXT) | instid1(VALU_DEP_1)
	v_and_b32_e32 v180, 15, v180
	v_cmp_eq_u32_e32 vcc_lo, 0, v180
	v_and_b32_e32 v177, 7, v176
	s_delay_alu instid0(VALU_DEP_1) | instskip(NEXT) | instid1(VALU_DEP_1)
	v_clz_i32_u32_e32 v178, v177
	v_min_u32_e32 v178, 32, v178
	s_delay_alu instid0(VALU_DEP_1) | instskip(SKIP_1) | instid1(VALU_DEP_1)
	v_subrev_nc_u32_e32 v179, 28, v178
	v_sub_nc_u32_e32 v178, 29, v178
	v_dual_cndmask_b32 v178, v180, v178 :: v_dual_lshlrev_b32 v179, v179, v176
	v_lshlrev_b32_e32 v176, 24, v176
	s_delay_alu instid0(VALU_DEP_2) | instskip(NEXT) | instid1(VALU_DEP_3)
	v_and_b32_e32 v179, 7, v179
	v_lshl_add_u32 v178, v178, 23, 0x3b800000
	s_delay_alu instid0(VALU_DEP_2) | instskip(NEXT) | instid1(VALU_DEP_1)
	v_dual_cndmask_b32 v177, v177, v179 :: v_dual_and_b32 v176, 0x80000000, v176
	v_lshlrev_b32_e32 v177, 20, v177
	s_delay_alu instid0(VALU_DEP_1)
	v_or3_b32 v177, v176, v178, v177
.LBB4_2760:                             ;   in Loop: Header=BB4_2570 Depth=4
	s_or_b32 exec_lo, exec_lo, s37
	s_waitcnt vmcnt(9) lgkmcnt(9)
	v_and_b32_e32 v178, 0xff, v163
	s_mov_b32 s13, 0
	s_mov_b32 s38, exec_lo
                                        ; implicit-def: $sgpr37
	s_delay_alu instid0(VALU_DEP_1)
	v_cmpx_lt_i16_e64 0x7f, v178
	s_xor_b32 s38, exec_lo, s38
	s_cbranch_execnz .LBB4_3140
; %bb.2761:                             ;   in Loop: Header=BB4_2570 Depth=4
	s_or_saveexec_b32 s38, s38
	v_mov_b32_e32 v176, s37
	s_xor_b32 exec_lo, exec_lo, s38
	s_cbranch_execnz .LBB4_3143
.LBB4_2762:                             ;   in Loop: Header=BB4_2570 Depth=4
	s_or_b32 exec_lo, exec_lo, s38
	s_and_saveexec_b32 s37, s13
	s_cbranch_execz .LBB4_2764
.LBB4_2763:                             ;   in Loop: Header=BB4_2570 Depth=4
	v_and_b32_e32 v176, 7, v163
	v_lshrrev_b16 v180, 3, v163
	s_delay_alu instid0(VALU_DEP_2) | instskip(NEXT) | instid1(VALU_DEP_2)
	v_clz_i32_u32_e32 v178, v176
	v_and_b32_e32 v180, 15, v180
	s_delay_alu instid0(VALU_DEP_2) | instskip(NEXT) | instid1(VALU_DEP_2)
	v_min_u32_e32 v178, 32, v178
	v_cmp_eq_u32_e32 vcc_lo, 0, v180
	s_delay_alu instid0(VALU_DEP_2) | instskip(SKIP_1) | instid1(VALU_DEP_1)
	v_subrev_nc_u32_e32 v179, 28, v178
	v_sub_nc_u32_e32 v178, 29, v178
	v_dual_cndmask_b32 v178, v180, v178 :: v_dual_lshlrev_b32 v179, v179, v163
	v_lshlrev_b32_e32 v163, 24, v163
	s_delay_alu instid0(VALU_DEP_2) | instskip(NEXT) | instid1(VALU_DEP_3)
	v_and_b32_e32 v179, 7, v179
	v_lshl_add_u32 v178, v178, 23, 0x3b800000
	s_delay_alu instid0(VALU_DEP_3) | instskip(NEXT) | instid1(VALU_DEP_3)
	v_and_b32_e32 v163, 0x80000000, v163
	v_cndmask_b32_e32 v176, v176, v179, vcc_lo
	s_delay_alu instid0(VALU_DEP_1) | instskip(NEXT) | instid1(VALU_DEP_1)
	v_lshlrev_b32_e32 v176, 20, v176
	v_or3_b32 v176, v163, v178, v176
.LBB4_2764:                             ;   in Loop: Header=BB4_2570 Depth=4
	s_or_b32 exec_lo, exec_lo, s37
	s_delay_alu instid0(VALU_DEP_1) | instskip(NEXT) | instid1(VALU_DEP_1)
	v_dual_max_f32 v163, v176, v176 :: v_dual_max_f32 v176, v177, v177
	v_min_f32_e32 v177, v176, v163
.LBB4_2765:                             ;   in Loop: Header=BB4_2570 Depth=4
	s_waitcnt vmcnt(9) lgkmcnt(9)
	s_delay_alu instid0(VALU_DEP_1) | instskip(NEXT) | instid1(VALU_DEP_1)
	v_and_b32_e32 v163, 0x7f800000, v177
	v_cmp_ne_u32_e32 vcc_lo, 0x7f800000, v163
	v_mov_b32_e32 v163, 0x80
	s_and_saveexec_b32 s37, vcc_lo
	s_cbranch_execz .LBB4_2773
; %bb.2766:                             ;   in Loop: Header=BB4_2570 Depth=4
	v_mov_b32_e32 v163, 0
	s_mov_b32 s38, exec_lo
	v_cmpx_ne_u32_e32 0, v177
	s_cbranch_execz .LBB4_2772
; %bb.2767:                             ;   in Loop: Header=BB4_2570 Depth=4
	v_bfe_u32 v163, v177, 23, 8
	v_and_b32_e32 v176, 0x7fffff, v177
	s_delay_alu instid0(VALU_DEP_2) | instskip(SKIP_1) | instid1(VALU_DEP_3)
	v_sub_nc_u32_e32 v178, 0x78, v163
	v_cmp_gt_u32_e32 vcc_lo, 0x79, v163
	v_or_b32_e32 v179, 0x800000, v176
	s_delay_alu instid0(VALU_DEP_3) | instskip(SKIP_2) | instid1(VALU_DEP_3)
	v_cndmask_b32_e32 v178, 0, v178, vcc_lo
	v_cmp_eq_u32_e32 vcc_lo, 0, v163
	v_add_nc_u32_e32 v163, 0xffffff89, v163
	v_cndmask_b32_e64 v178, v178, 0x77, vcc_lo
	v_cndmask_b32_e32 v176, v179, v176, vcc_lo
	s_delay_alu instid0(VALU_DEP_3) | instskip(NEXT) | instid1(VALU_DEP_3)
	v_cndmask_b32_e64 v163, v163, 0xffffff8a, vcc_lo
	v_lshl_add_u32 v179, 0x100000, v178, -1
	s_delay_alu instid0(VALU_DEP_3) | instskip(SKIP_1) | instid1(VALU_DEP_4)
	v_lshrrev_b32_e32 v180, v178, v176
	v_lshlrev_b32_e64 v182, v178, 0x80000
	v_add_nc_u32_e32 v178, v178, v163
	s_delay_alu instid0(VALU_DEP_4) | instskip(NEXT) | instid1(VALU_DEP_4)
	v_and_b32_e32 v176, v179, v176
	v_bfe_u32 v181, v180, 20, 1
	s_delay_alu instid0(VALU_DEP_2) | instskip(NEXT) | instid1(VALU_DEP_2)
	v_cmp_eq_u32_e64 s13, v176, v182
	v_add_nc_u32_e32 v179, -1, v181
	s_delay_alu instid0(VALU_DEP_1) | instskip(SKIP_2) | instid1(VALU_DEP_2)
	v_cndmask_b32_e64 v176, 0, v179, s13
	v_lshrrev_b32_e32 v179, 23, v180
	s_mov_b32 s13, exec_lo
	v_add_nc_u32_e32 v176, v176, v180
	s_delay_alu instid0(VALU_DEP_2) | instskip(NEXT) | instid1(VALU_DEP_2)
	v_xor_b32_e32 v179, 1, v179
	v_and_b32_e32 v163, 0xfffff, v176
	s_delay_alu instid0(VALU_DEP_1) | instskip(NEXT) | instid1(VALU_DEP_3)
	v_add_nc_u32_e32 v176, v163, v180
                                        ; implicit-def: $vgpr163
	v_cmpx_ne_u32_e64 v178, v179
	s_xor_b32 s13, exec_lo, s13
; %bb.2768:                             ;   in Loop: Header=BB4_2570 Depth=4
	s_delay_alu instid0(VALU_DEP_2) | instskip(SKIP_2) | instid1(VALU_DEP_2)
	v_cmp_lt_u32_e32 vcc_lo, 0xffffff, v176
	v_sub_nc_u32_e32 v163, v178, v179
	v_cndmask_b32_e64 v178, 0, 1, vcc_lo
	v_add_co_ci_u32_e32 v163, vcc_lo, 0, v163, vcc_lo
	s_delay_alu instid0(VALU_DEP_2)
	v_lshrrev_b32_e32 v176, v178, v176
; %bb.2769:                             ;   in Loop: Header=BB4_2570 Depth=4
	s_and_not1_saveexec_b32 s13, s13
; %bb.2770:                             ;   in Loop: Header=BB4_2570 Depth=4
	s_delay_alu instid0(VALU_DEP_1)
	v_bfe_u32 v163, v176, 23, 1
; %bb.2771:                             ;   in Loop: Header=BB4_2570 Depth=4
	s_or_b32 exec_lo, exec_lo, s13
	v_lshrrev_b32_e32 v176, 20, v176
	s_delay_alu instid0(VALU_DEP_2) | instskip(SKIP_2) | instid1(VALU_DEP_2)
	v_cmp_gt_i32_e32 vcc_lo, 16, v163
	v_lshrrev_b32_e32 v177, 24, v177
	v_min_i32_e32 v178, 15, v163
	v_dual_cndmask_b32 v176, 7, v176 :: v_dual_and_b32 v177, 0x80, v177
	s_delay_alu instid0(VALU_DEP_1) | instskip(SKIP_1) | instid1(VALU_DEP_2)
	v_or_b32_e32 v163, v163, v176
	v_and_b32_e32 v179, 7, v176
	v_cmp_ne_u32_e32 vcc_lo, 0, v163
	v_lshlrev_b32_e32 v178, 3, v178
	s_delay_alu instid0(VALU_DEP_1) | instskip(NEXT) | instid1(VALU_DEP_1)
	v_or3_b32 v176, v178, v177, v179
	v_cndmask_b32_e32 v163, 0, v176, vcc_lo
.LBB4_2772:                             ;   in Loop: Header=BB4_2570 Depth=4
	s_or_b32 exec_lo, exec_lo, s38
.LBB4_2773:                             ;   in Loop: Header=BB4_2570 Depth=4
	s_delay_alu instid0(SALU_CYCLE_1) | instskip(NEXT) | instid1(SALU_CYCLE_1)
	s_or_b32 exec_lo, exec_lo, s37
	s_and_not1_b32 vcc_lo, exec_lo, s35
	s_cbranch_vccnz .LBB4_2783
; %bb.2774:                             ;   in Loop: Header=BB4_2570 Depth=4
	v_and_b32_e32 v177, 0xff, v167
	s_mov_b32 s13, 0
	s_mov_b32 s38, exec_lo
                                        ; implicit-def: $sgpr37
	s_delay_alu instid0(VALU_DEP_1)
	v_cmpx_lt_i16_e64 0x7f, v177
	s_xor_b32 s38, exec_lo, s38
	s_cbranch_execnz .LBB4_3144
; %bb.2775:                             ;   in Loop: Header=BB4_2570 Depth=4
	s_or_saveexec_b32 s38, s38
	v_mov_b32_e32 v176, s37
	s_xor_b32 exec_lo, exec_lo, s38
	s_cbranch_execnz .LBB4_3147
.LBB4_2776:                             ;   in Loop: Header=BB4_2570 Depth=4
	s_or_b32 exec_lo, exec_lo, s38
	s_and_saveexec_b32 s37, s13
	s_cbranch_execz .LBB4_2778
.LBB4_2777:                             ;   in Loop: Header=BB4_2570 Depth=4
	v_lshrrev_b16 v179, 3, v167
	v_lshlrev_b32_e32 v180, 24, v167
	s_delay_alu instid0(VALU_DEP_2) | instskip(NEXT) | instid1(VALU_DEP_1)
	v_and_b32_e32 v179, 15, v179
	v_cmp_eq_u32_e32 vcc_lo, 0, v179
	v_and_b32_e32 v176, 7, v167
	s_delay_alu instid0(VALU_DEP_1) | instskip(NEXT) | instid1(VALU_DEP_1)
	v_clz_i32_u32_e32 v177, v176
	v_min_u32_e32 v177, 32, v177
	s_delay_alu instid0(VALU_DEP_1) | instskip(SKIP_1) | instid1(VALU_DEP_1)
	v_subrev_nc_u32_e32 v178, 28, v177
	v_sub_nc_u32_e32 v177, 29, v177
	v_dual_cndmask_b32 v177, v179, v177 :: v_dual_lshlrev_b32 v178, v178, v167
	s_delay_alu instid0(VALU_DEP_1) | instskip(NEXT) | instid1(VALU_DEP_2)
	v_and_b32_e32 v178, 7, v178
	v_lshl_add_u32 v177, v177, 23, 0x3b800000
	s_delay_alu instid0(VALU_DEP_2) | instskip(SKIP_1) | instid1(VALU_DEP_2)
	v_cndmask_b32_e32 v176, v176, v178, vcc_lo
	v_and_b32_e32 v178, 0x80000000, v180
	v_lshlrev_b32_e32 v176, 20, v176
	s_delay_alu instid0(VALU_DEP_1)
	v_or3_b32 v176, v178, v177, v176
.LBB4_2778:                             ;   in Loop: Header=BB4_2570 Depth=4
	s_or_b32 exec_lo, exec_lo, s37
	s_waitcnt vmcnt(8) lgkmcnt(8)
	v_and_b32_e32 v178, 0xff, v166
	s_mov_b32 s13, 0
	s_mov_b32 s38, exec_lo
                                        ; implicit-def: $sgpr37
	s_delay_alu instid0(VALU_DEP_1)
	v_cmpx_lt_i16_e64 0x7f, v178
	s_xor_b32 s38, exec_lo, s38
	s_cbranch_execnz .LBB4_3148
; %bb.2779:                             ;   in Loop: Header=BB4_2570 Depth=4
	s_or_saveexec_b32 s38, s38
	v_mov_b32_e32 v177, s37
	s_xor_b32 exec_lo, exec_lo, s38
	s_cbranch_execnz .LBB4_3151
.LBB4_2780:                             ;   in Loop: Header=BB4_2570 Depth=4
	s_or_b32 exec_lo, exec_lo, s38
	s_and_saveexec_b32 s37, s13
	s_cbranch_execz .LBB4_2782
.LBB4_2781:                             ;   in Loop: Header=BB4_2570 Depth=4
	v_and_b32_e32 v177, 7, v166
	v_lshrrev_b16 v180, 3, v166
	v_lshlrev_b32_e32 v181, 24, v166
	s_delay_alu instid0(VALU_DEP_3) | instskip(NEXT) | instid1(VALU_DEP_1)
	v_clz_i32_u32_e32 v178, v177
	v_min_u32_e32 v178, 32, v178
	s_delay_alu instid0(VALU_DEP_1) | instskip(SKIP_1) | instid1(VALU_DEP_2)
	v_subrev_nc_u32_e32 v179, 28, v178
	v_sub_nc_u32_e32 v178, 29, v178
	v_lshlrev_b32_e32 v179, v179, v166
	s_delay_alu instid0(VALU_DEP_1) | instskip(SKIP_1) | instid1(VALU_DEP_1)
	v_and_b32_e32 v179, 7, v179
	v_and_b32_e32 v180, 15, v180
	v_cmp_eq_u32_e32 vcc_lo, 0, v180
	s_delay_alu instid0(VALU_DEP_3) | instskip(SKIP_1) | instid1(VALU_DEP_2)
	v_dual_cndmask_b32 v177, v177, v179 :: v_dual_cndmask_b32 v178, v180, v178
	v_and_b32_e32 v179, 0x80000000, v181
	v_lshlrev_b32_e32 v177, 20, v177
	s_delay_alu instid0(VALU_DEP_3) | instskip(NEXT) | instid1(VALU_DEP_1)
	v_lshl_add_u32 v178, v178, 23, 0x3b800000
	v_or3_b32 v177, v179, v178, v177
.LBB4_2782:                             ;   in Loop: Header=BB4_2570 Depth=4
	s_or_b32 exec_lo, exec_lo, s37
	s_delay_alu instid0(VALU_DEP_1) | instskip(SKIP_1) | instid1(VALU_DEP_1)
	v_dual_max_f32 v177, v177, v177 :: v_dual_max_f32 v176, v176, v176
	s_mov_b32 s13, 0
	v_max_f32_e32 v176, v176, v177
	s_branch .LBB4_2784
.LBB4_2783:                             ;   in Loop: Header=BB4_2570 Depth=4
	s_mov_b32 s13, -1
                                        ; implicit-def: $vgpr176
.LBB4_2784:                             ;   in Loop: Header=BB4_2570 Depth=4
	s_delay_alu instid0(SALU_CYCLE_1)
	s_and_b32 vcc_lo, exec_lo, s13
	s_cbranch_vccz .LBB4_2794
; %bb.2785:                             ;   in Loop: Header=BB4_2570 Depth=4
	v_and_b32_e32 v177, 0xff, v167
	s_mov_b32 s13, 0
	s_mov_b32 s38, exec_lo
                                        ; implicit-def: $sgpr37
	s_delay_alu instid0(VALU_DEP_1)
	v_cmpx_lt_i16_e64 0x7f, v177
	s_xor_b32 s38, exec_lo, s38
	s_cbranch_execnz .LBB4_3152
; %bb.2786:                             ;   in Loop: Header=BB4_2570 Depth=4
	s_or_saveexec_b32 s38, s38
	v_mov_b32_e32 v176, s37
	s_xor_b32 exec_lo, exec_lo, s38
	s_cbranch_execnz .LBB4_3155
.LBB4_2787:                             ;   in Loop: Header=BB4_2570 Depth=4
	s_or_b32 exec_lo, exec_lo, s38
	s_and_saveexec_b32 s37, s13
	s_cbranch_execz .LBB4_2789
.LBB4_2788:                             ;   in Loop: Header=BB4_2570 Depth=4
	v_lshrrev_b16 v179, 3, v167
	s_delay_alu instid0(VALU_DEP_1) | instskip(NEXT) | instid1(VALU_DEP_1)
	v_and_b32_e32 v179, 15, v179
	v_cmp_eq_u32_e32 vcc_lo, 0, v179
	v_and_b32_e32 v176, 7, v167
	s_delay_alu instid0(VALU_DEP_1) | instskip(NEXT) | instid1(VALU_DEP_1)
	v_clz_i32_u32_e32 v177, v176
	v_min_u32_e32 v177, 32, v177
	s_delay_alu instid0(VALU_DEP_1) | instskip(SKIP_1) | instid1(VALU_DEP_1)
	v_subrev_nc_u32_e32 v178, 28, v177
	v_sub_nc_u32_e32 v177, 29, v177
	v_dual_cndmask_b32 v177, v179, v177 :: v_dual_lshlrev_b32 v178, v178, v167
	v_lshlrev_b32_e32 v167, 24, v167
	s_delay_alu instid0(VALU_DEP_2) | instskip(NEXT) | instid1(VALU_DEP_3)
	v_and_b32_e32 v178, 7, v178
	v_lshl_add_u32 v177, v177, 23, 0x3b800000
	s_delay_alu instid0(VALU_DEP_2) | instskip(NEXT) | instid1(VALU_DEP_1)
	v_dual_cndmask_b32 v176, v176, v178 :: v_dual_and_b32 v167, 0x80000000, v167
	v_lshlrev_b32_e32 v176, 20, v176
	s_delay_alu instid0(VALU_DEP_1)
	v_or3_b32 v176, v167, v177, v176
.LBB4_2789:                             ;   in Loop: Header=BB4_2570 Depth=4
	s_or_b32 exec_lo, exec_lo, s37
	s_waitcnt vmcnt(8) lgkmcnt(8)
	v_and_b32_e32 v177, 0xff, v166
	s_mov_b32 s13, 0
	s_mov_b32 s38, exec_lo
                                        ; implicit-def: $sgpr37
	s_delay_alu instid0(VALU_DEP_1)
	v_cmpx_lt_i16_e64 0x7f, v177
	s_xor_b32 s38, exec_lo, s38
	s_cbranch_execnz .LBB4_3156
; %bb.2790:                             ;   in Loop: Header=BB4_2570 Depth=4
	s_or_saveexec_b32 s38, s38
	v_mov_b32_e32 v167, s37
	s_xor_b32 exec_lo, exec_lo, s38
	s_cbranch_execnz .LBB4_3159
.LBB4_2791:                             ;   in Loop: Header=BB4_2570 Depth=4
	s_or_b32 exec_lo, exec_lo, s38
	s_and_saveexec_b32 s37, s13
	s_cbranch_execz .LBB4_2793
.LBB4_2792:                             ;   in Loop: Header=BB4_2570 Depth=4
	v_and_b32_e32 v167, 7, v166
	v_lshrrev_b16 v179, 3, v166
	s_delay_alu instid0(VALU_DEP_2) | instskip(NEXT) | instid1(VALU_DEP_2)
	v_clz_i32_u32_e32 v177, v167
	v_and_b32_e32 v179, 15, v179
	s_delay_alu instid0(VALU_DEP_2) | instskip(NEXT) | instid1(VALU_DEP_2)
	v_min_u32_e32 v177, 32, v177
	v_cmp_eq_u32_e32 vcc_lo, 0, v179
	s_delay_alu instid0(VALU_DEP_2) | instskip(SKIP_1) | instid1(VALU_DEP_1)
	v_subrev_nc_u32_e32 v178, 28, v177
	v_sub_nc_u32_e32 v177, 29, v177
	v_dual_cndmask_b32 v177, v179, v177 :: v_dual_lshlrev_b32 v178, v178, v166
	v_lshlrev_b32_e32 v166, 24, v166
	s_delay_alu instid0(VALU_DEP_2) | instskip(NEXT) | instid1(VALU_DEP_3)
	v_and_b32_e32 v178, 7, v178
	v_lshl_add_u32 v177, v177, 23, 0x3b800000
	s_delay_alu instid0(VALU_DEP_3) | instskip(NEXT) | instid1(VALU_DEP_3)
	v_and_b32_e32 v166, 0x80000000, v166
	v_cndmask_b32_e32 v167, v167, v178, vcc_lo
	s_delay_alu instid0(VALU_DEP_1) | instskip(NEXT) | instid1(VALU_DEP_1)
	v_lshlrev_b32_e32 v167, 20, v167
	v_or3_b32 v167, v166, v177, v167
.LBB4_2793:                             ;   in Loop: Header=BB4_2570 Depth=4
	s_or_b32 exec_lo, exec_lo, s37
	s_delay_alu instid0(VALU_DEP_1) | instskip(NEXT) | instid1(VALU_DEP_1)
	v_dual_max_f32 v166, v167, v167 :: v_dual_max_f32 v167, v176, v176
	v_min_f32_e32 v176, v167, v166
.LBB4_2794:                             ;   in Loop: Header=BB4_2570 Depth=4
	s_waitcnt vmcnt(8) lgkmcnt(8)
	s_delay_alu instid0(VALU_DEP_1) | instskip(NEXT) | instid1(VALU_DEP_1)
	v_and_b32_e32 v166, 0x7f800000, v176
	v_cmp_ne_u32_e32 vcc_lo, 0x7f800000, v166
	v_mov_b32_e32 v166, 0x80
	s_and_saveexec_b32 s37, vcc_lo
	s_cbranch_execz .LBB4_2802
; %bb.2795:                             ;   in Loop: Header=BB4_2570 Depth=4
	v_mov_b32_e32 v166, 0
	s_mov_b32 s38, exec_lo
	v_cmpx_ne_u32_e32 0, v176
	s_cbranch_execz .LBB4_2801
; %bb.2796:                             ;   in Loop: Header=BB4_2570 Depth=4
	v_bfe_u32 v166, v176, 23, 8
	v_and_b32_e32 v167, 0x7fffff, v176
	s_delay_alu instid0(VALU_DEP_2) | instskip(SKIP_1) | instid1(VALU_DEP_3)
	v_sub_nc_u32_e32 v177, 0x78, v166
	v_cmp_gt_u32_e32 vcc_lo, 0x79, v166
	v_or_b32_e32 v178, 0x800000, v167
	s_delay_alu instid0(VALU_DEP_3) | instskip(SKIP_2) | instid1(VALU_DEP_3)
	v_cndmask_b32_e32 v177, 0, v177, vcc_lo
	v_cmp_eq_u32_e32 vcc_lo, 0, v166
	v_add_nc_u32_e32 v166, 0xffffff89, v166
	v_cndmask_b32_e64 v177, v177, 0x77, vcc_lo
	v_cndmask_b32_e32 v167, v178, v167, vcc_lo
	s_delay_alu instid0(VALU_DEP_3) | instskip(NEXT) | instid1(VALU_DEP_3)
	v_cndmask_b32_e64 v166, v166, 0xffffff8a, vcc_lo
	v_lshl_add_u32 v178, 0x100000, v177, -1
	s_delay_alu instid0(VALU_DEP_3) | instskip(SKIP_1) | instid1(VALU_DEP_4)
	v_lshrrev_b32_e32 v179, v177, v167
	v_lshlrev_b32_e64 v181, v177, 0x80000
	v_add_nc_u32_e32 v177, v177, v166
	s_delay_alu instid0(VALU_DEP_4) | instskip(NEXT) | instid1(VALU_DEP_4)
	v_and_b32_e32 v167, v178, v167
	v_bfe_u32 v180, v179, 20, 1
	s_delay_alu instid0(VALU_DEP_2) | instskip(NEXT) | instid1(VALU_DEP_2)
	v_cmp_eq_u32_e64 s13, v167, v181
	v_add_nc_u32_e32 v178, -1, v180
	s_delay_alu instid0(VALU_DEP_1) | instskip(SKIP_2) | instid1(VALU_DEP_2)
	v_cndmask_b32_e64 v167, 0, v178, s13
	v_lshrrev_b32_e32 v178, 23, v179
	s_mov_b32 s13, exec_lo
	v_add_nc_u32_e32 v167, v167, v179
	s_delay_alu instid0(VALU_DEP_2) | instskip(NEXT) | instid1(VALU_DEP_2)
	v_xor_b32_e32 v178, 1, v178
	v_and_b32_e32 v166, 0xfffff, v167
	s_delay_alu instid0(VALU_DEP_1) | instskip(NEXT) | instid1(VALU_DEP_3)
	v_add_nc_u32_e32 v167, v166, v179
                                        ; implicit-def: $vgpr166
	v_cmpx_ne_u32_e64 v177, v178
	s_xor_b32 s13, exec_lo, s13
; %bb.2797:                             ;   in Loop: Header=BB4_2570 Depth=4
	s_delay_alu instid0(VALU_DEP_2) | instskip(SKIP_2) | instid1(VALU_DEP_2)
	v_cmp_lt_u32_e32 vcc_lo, 0xffffff, v167
	v_sub_nc_u32_e32 v166, v177, v178
	v_cndmask_b32_e64 v177, 0, 1, vcc_lo
	v_add_co_ci_u32_e32 v166, vcc_lo, 0, v166, vcc_lo
	s_delay_alu instid0(VALU_DEP_2)
	v_lshrrev_b32_e32 v167, v177, v167
; %bb.2798:                             ;   in Loop: Header=BB4_2570 Depth=4
	s_and_not1_saveexec_b32 s13, s13
; %bb.2799:                             ;   in Loop: Header=BB4_2570 Depth=4
	s_delay_alu instid0(VALU_DEP_1)
	v_bfe_u32 v166, v167, 23, 1
; %bb.2800:                             ;   in Loop: Header=BB4_2570 Depth=4
	s_or_b32 exec_lo, exec_lo, s13
	v_lshrrev_b32_e32 v167, 20, v167
	s_delay_alu instid0(VALU_DEP_2) | instskip(SKIP_2) | instid1(VALU_DEP_2)
	v_cmp_gt_i32_e32 vcc_lo, 16, v166
	v_lshrrev_b32_e32 v176, 24, v176
	v_min_i32_e32 v177, 15, v166
	v_dual_cndmask_b32 v167, 7, v167 :: v_dual_and_b32 v176, 0x80, v176
	s_delay_alu instid0(VALU_DEP_1) | instskip(SKIP_1) | instid1(VALU_DEP_2)
	v_or_b32_e32 v166, v166, v167
	v_and_b32_e32 v178, 7, v167
	v_cmp_ne_u32_e32 vcc_lo, 0, v166
	v_lshlrev_b32_e32 v177, 3, v177
	s_delay_alu instid0(VALU_DEP_1) | instskip(NEXT) | instid1(VALU_DEP_1)
	v_or3_b32 v167, v177, v176, v178
	v_cndmask_b32_e32 v166, 0, v167, vcc_lo
.LBB4_2801:                             ;   in Loop: Header=BB4_2570 Depth=4
	s_or_b32 exec_lo, exec_lo, s38
.LBB4_2802:                             ;   in Loop: Header=BB4_2570 Depth=4
	s_delay_alu instid0(SALU_CYCLE_1) | instskip(NEXT) | instid1(SALU_CYCLE_1)
	s_or_b32 exec_lo, exec_lo, s37
	s_and_not1_b32 vcc_lo, exec_lo, s35
	s_cbranch_vccnz .LBB4_2812
; %bb.2803:                             ;   in Loop: Header=BB4_2570 Depth=4
	v_and_b32_e32 v176, 0xff, v165
	s_mov_b32 s13, 0
	s_mov_b32 s38, exec_lo
                                        ; implicit-def: $sgpr37
	s_delay_alu instid0(VALU_DEP_1)
	v_cmpx_lt_i16_e64 0x7f, v176
	s_xor_b32 s38, exec_lo, s38
	s_cbranch_execnz .LBB4_3160
; %bb.2804:                             ;   in Loop: Header=BB4_2570 Depth=4
	s_or_saveexec_b32 s38, s38
	v_mov_b32_e32 v167, s37
	s_xor_b32 exec_lo, exec_lo, s38
	s_cbranch_execnz .LBB4_3163
.LBB4_2805:                             ;   in Loop: Header=BB4_2570 Depth=4
	s_or_b32 exec_lo, exec_lo, s38
	s_and_saveexec_b32 s37, s13
	s_cbranch_execz .LBB4_2807
.LBB4_2806:                             ;   in Loop: Header=BB4_2570 Depth=4
	v_lshrrev_b16 v178, 3, v165
	v_lshlrev_b32_e32 v179, 24, v165
	s_delay_alu instid0(VALU_DEP_2) | instskip(NEXT) | instid1(VALU_DEP_1)
	v_and_b32_e32 v178, 15, v178
	v_cmp_eq_u32_e32 vcc_lo, 0, v178
	v_and_b32_e32 v167, 7, v165
	s_delay_alu instid0(VALU_DEP_1) | instskip(NEXT) | instid1(VALU_DEP_1)
	v_clz_i32_u32_e32 v176, v167
	v_min_u32_e32 v176, 32, v176
	s_delay_alu instid0(VALU_DEP_1) | instskip(SKIP_1) | instid1(VALU_DEP_1)
	v_subrev_nc_u32_e32 v177, 28, v176
	v_sub_nc_u32_e32 v176, 29, v176
	v_dual_cndmask_b32 v176, v178, v176 :: v_dual_lshlrev_b32 v177, v177, v165
	s_delay_alu instid0(VALU_DEP_1) | instskip(NEXT) | instid1(VALU_DEP_2)
	v_and_b32_e32 v177, 7, v177
	v_lshl_add_u32 v176, v176, 23, 0x3b800000
	s_delay_alu instid0(VALU_DEP_2) | instskip(SKIP_1) | instid1(VALU_DEP_2)
	v_cndmask_b32_e32 v167, v167, v177, vcc_lo
	v_and_b32_e32 v177, 0x80000000, v179
	v_lshlrev_b32_e32 v167, 20, v167
	s_delay_alu instid0(VALU_DEP_1)
	v_or3_b32 v167, v177, v176, v167
.LBB4_2807:                             ;   in Loop: Header=BB4_2570 Depth=4
	s_or_b32 exec_lo, exec_lo, s37
	s_waitcnt vmcnt(7) lgkmcnt(7)
	v_and_b32_e32 v177, 0xff, v164
	s_mov_b32 s13, 0
	s_mov_b32 s38, exec_lo
                                        ; implicit-def: $sgpr37
	s_delay_alu instid0(VALU_DEP_1)
	v_cmpx_lt_i16_e64 0x7f, v177
	s_xor_b32 s38, exec_lo, s38
	s_cbranch_execnz .LBB4_3164
; %bb.2808:                             ;   in Loop: Header=BB4_2570 Depth=4
	s_or_saveexec_b32 s38, s38
	v_mov_b32_e32 v176, s37
	s_xor_b32 exec_lo, exec_lo, s38
	s_cbranch_execnz .LBB4_3167
.LBB4_2809:                             ;   in Loop: Header=BB4_2570 Depth=4
	s_or_b32 exec_lo, exec_lo, s38
	s_and_saveexec_b32 s37, s13
	s_cbranch_execz .LBB4_2811
.LBB4_2810:                             ;   in Loop: Header=BB4_2570 Depth=4
	v_lshrrev_b16 v179, 3, v164
	v_lshlrev_b32_e32 v180, 24, v164
	s_delay_alu instid0(VALU_DEP_2) | instskip(NEXT) | instid1(VALU_DEP_1)
	v_and_b32_e32 v179, 15, v179
	v_cmp_eq_u32_e32 vcc_lo, 0, v179
	v_and_b32_e32 v176, 7, v164
	s_delay_alu instid0(VALU_DEP_1) | instskip(NEXT) | instid1(VALU_DEP_1)
	v_clz_i32_u32_e32 v177, v176
	v_min_u32_e32 v177, 32, v177
	s_delay_alu instid0(VALU_DEP_1) | instskip(SKIP_1) | instid1(VALU_DEP_1)
	v_subrev_nc_u32_e32 v178, 28, v177
	v_sub_nc_u32_e32 v177, 29, v177
	v_dual_cndmask_b32 v177, v179, v177 :: v_dual_lshlrev_b32 v178, v178, v164
	s_delay_alu instid0(VALU_DEP_1) | instskip(NEXT) | instid1(VALU_DEP_2)
	v_and_b32_e32 v178, 7, v178
	v_lshl_add_u32 v177, v177, 23, 0x3b800000
	s_delay_alu instid0(VALU_DEP_2) | instskip(SKIP_1) | instid1(VALU_DEP_2)
	v_cndmask_b32_e32 v176, v176, v178, vcc_lo
	v_and_b32_e32 v178, 0x80000000, v180
	v_lshlrev_b32_e32 v176, 20, v176
	s_delay_alu instid0(VALU_DEP_1)
	v_or3_b32 v176, v178, v177, v176
.LBB4_2811:                             ;   in Loop: Header=BB4_2570 Depth=4
	s_or_b32 exec_lo, exec_lo, s37
	s_delay_alu instid0(VALU_DEP_1) | instskip(SKIP_1) | instid1(VALU_DEP_1)
	v_dual_max_f32 v176, v176, v176 :: v_dual_max_f32 v167, v167, v167
	s_mov_b32 s13, 0
	v_max_f32_e32 v167, v167, v176
	s_branch .LBB4_2813
.LBB4_2812:                             ;   in Loop: Header=BB4_2570 Depth=4
	s_mov_b32 s13, -1
                                        ; implicit-def: $vgpr167
.LBB4_2813:                             ;   in Loop: Header=BB4_2570 Depth=4
	s_delay_alu instid0(SALU_CYCLE_1)
	s_and_b32 vcc_lo, exec_lo, s13
	s_cbranch_vccz .LBB4_2823
; %bb.2814:                             ;   in Loop: Header=BB4_2570 Depth=4
	v_and_b32_e32 v176, 0xff, v165
	s_mov_b32 s13, 0
	s_mov_b32 s38, exec_lo
                                        ; implicit-def: $sgpr37
	s_delay_alu instid0(VALU_DEP_1)
	v_cmpx_lt_i16_e64 0x7f, v176
	s_xor_b32 s38, exec_lo, s38
	s_cbranch_execnz .LBB4_3168
; %bb.2815:                             ;   in Loop: Header=BB4_2570 Depth=4
	s_or_saveexec_b32 s38, s38
	v_mov_b32_e32 v167, s37
	s_xor_b32 exec_lo, exec_lo, s38
	s_cbranch_execnz .LBB4_3171
.LBB4_2816:                             ;   in Loop: Header=BB4_2570 Depth=4
	s_or_b32 exec_lo, exec_lo, s38
	s_and_saveexec_b32 s37, s13
	s_cbranch_execz .LBB4_2818
.LBB4_2817:                             ;   in Loop: Header=BB4_2570 Depth=4
	v_lshrrev_b16 v178, 3, v165
	s_delay_alu instid0(VALU_DEP_1) | instskip(NEXT) | instid1(VALU_DEP_1)
	v_and_b32_e32 v178, 15, v178
	v_cmp_eq_u32_e32 vcc_lo, 0, v178
	v_and_b32_e32 v167, 7, v165
	s_delay_alu instid0(VALU_DEP_1) | instskip(NEXT) | instid1(VALU_DEP_1)
	v_clz_i32_u32_e32 v176, v167
	v_min_u32_e32 v176, 32, v176
	s_delay_alu instid0(VALU_DEP_1) | instskip(SKIP_1) | instid1(VALU_DEP_1)
	v_subrev_nc_u32_e32 v177, 28, v176
	v_sub_nc_u32_e32 v176, 29, v176
	v_dual_cndmask_b32 v176, v178, v176 :: v_dual_lshlrev_b32 v177, v177, v165
	v_lshlrev_b32_e32 v165, 24, v165
	s_delay_alu instid0(VALU_DEP_2) | instskip(NEXT) | instid1(VALU_DEP_3)
	v_and_b32_e32 v177, 7, v177
	v_lshl_add_u32 v176, v176, 23, 0x3b800000
	s_delay_alu instid0(VALU_DEP_3) | instskip(NEXT) | instid1(VALU_DEP_3)
	v_and_b32_e32 v165, 0x80000000, v165
	v_cndmask_b32_e32 v167, v167, v177, vcc_lo
	s_delay_alu instid0(VALU_DEP_1) | instskip(NEXT) | instid1(VALU_DEP_1)
	v_lshlrev_b32_e32 v167, 20, v167
	v_or3_b32 v167, v165, v176, v167
.LBB4_2818:                             ;   in Loop: Header=BB4_2570 Depth=4
	s_or_b32 exec_lo, exec_lo, s37
	s_waitcnt vmcnt(7) lgkmcnt(7)
	v_and_b32_e32 v176, 0xff, v164
	s_mov_b32 s13, 0
	s_mov_b32 s38, exec_lo
                                        ; implicit-def: $sgpr37
	s_delay_alu instid0(VALU_DEP_1)
	v_cmpx_lt_i16_e64 0x7f, v176
	s_xor_b32 s38, exec_lo, s38
	s_cbranch_execnz .LBB4_3172
; %bb.2819:                             ;   in Loop: Header=BB4_2570 Depth=4
	s_or_saveexec_b32 s38, s38
	v_mov_b32_e32 v165, s37
	s_xor_b32 exec_lo, exec_lo, s38
	s_cbranch_execnz .LBB4_3175
.LBB4_2820:                             ;   in Loop: Header=BB4_2570 Depth=4
	s_or_b32 exec_lo, exec_lo, s38
	s_and_saveexec_b32 s37, s13
	s_cbranch_execz .LBB4_2822
.LBB4_2821:                             ;   in Loop: Header=BB4_2570 Depth=4
	v_and_b32_e32 v165, 7, v164
	v_lshrrev_b16 v178, 3, v164
	s_delay_alu instid0(VALU_DEP_2) | instskip(NEXT) | instid1(VALU_DEP_1)
	v_clz_i32_u32_e32 v176, v165
	v_min_u32_e32 v176, 32, v176
	s_delay_alu instid0(VALU_DEP_1) | instskip(SKIP_1) | instid1(VALU_DEP_2)
	v_subrev_nc_u32_e32 v177, 28, v176
	v_sub_nc_u32_e32 v176, 29, v176
	v_lshlrev_b32_e32 v177, v177, v164
	v_lshlrev_b32_e32 v164, 24, v164
	s_delay_alu instid0(VALU_DEP_2) | instskip(SKIP_1) | instid1(VALU_DEP_3)
	v_and_b32_e32 v177, 7, v177
	v_and_b32_e32 v178, 15, v178
	;; [unrolled: 1-line block ×3, first 2 shown]
	s_delay_alu instid0(VALU_DEP_2) | instskip(NEXT) | instid1(VALU_DEP_4)
	v_cmp_eq_u32_e32 vcc_lo, 0, v178
	v_dual_cndmask_b32 v165, v165, v177 :: v_dual_cndmask_b32 v176, v178, v176
	s_delay_alu instid0(VALU_DEP_1) | instskip(NEXT) | instid1(VALU_DEP_2)
	v_lshlrev_b32_e32 v165, 20, v165
	v_lshl_add_u32 v176, v176, 23, 0x3b800000
	s_delay_alu instid0(VALU_DEP_1)
	v_or3_b32 v165, v164, v176, v165
.LBB4_2822:                             ;   in Loop: Header=BB4_2570 Depth=4
	s_or_b32 exec_lo, exec_lo, s37
	s_delay_alu instid0(VALU_DEP_1) | instskip(NEXT) | instid1(VALU_DEP_1)
	v_dual_max_f32 v164, v165, v165 :: v_dual_max_f32 v165, v167, v167
	v_min_f32_e32 v167, v165, v164
.LBB4_2823:                             ;   in Loop: Header=BB4_2570 Depth=4
	s_waitcnt vmcnt(7) lgkmcnt(7)
	s_delay_alu instid0(VALU_DEP_1) | instskip(NEXT) | instid1(VALU_DEP_1)
	v_and_b32_e32 v164, 0x7f800000, v167
	v_cmp_ne_u32_e32 vcc_lo, 0x7f800000, v164
	v_mov_b32_e32 v164, 0x80
	s_and_saveexec_b32 s37, vcc_lo
	s_cbranch_execz .LBB4_2831
; %bb.2824:                             ;   in Loop: Header=BB4_2570 Depth=4
	v_mov_b32_e32 v164, 0
	s_mov_b32 s38, exec_lo
	v_cmpx_ne_u32_e32 0, v167
	s_cbranch_execz .LBB4_2830
; %bb.2825:                             ;   in Loop: Header=BB4_2570 Depth=4
	v_bfe_u32 v164, v167, 23, 8
	s_delay_alu instid0(VALU_DEP_1) | instskip(SKIP_1) | instid1(VALU_DEP_2)
	v_sub_nc_u32_e32 v176, 0x78, v164
	v_cmp_gt_u32_e32 vcc_lo, 0x79, v164
	v_dual_cndmask_b32 v176, 0, v176 :: v_dual_and_b32 v165, 0x7fffff, v167
	s_delay_alu instid0(VALU_DEP_1) | instskip(SKIP_2) | instid1(VALU_DEP_4)
	v_or_b32_e32 v177, 0x800000, v165
	v_cmp_eq_u32_e32 vcc_lo, 0, v164
	v_add_nc_u32_e32 v164, 0xffffff89, v164
	v_cndmask_b32_e64 v176, v176, 0x77, vcc_lo
	s_delay_alu instid0(VALU_DEP_4) | instskip(NEXT) | instid1(VALU_DEP_3)
	v_cndmask_b32_e32 v165, v177, v165, vcc_lo
	v_cndmask_b32_e64 v164, v164, 0xffffff8a, vcc_lo
	s_delay_alu instid0(VALU_DEP_3) | instskip(NEXT) | instid1(VALU_DEP_3)
	v_lshl_add_u32 v177, 0x100000, v176, -1
	v_lshrrev_b32_e32 v178, v176, v165
	v_lshlrev_b32_e64 v180, v176, 0x80000
	s_delay_alu instid0(VALU_DEP_4) | instskip(NEXT) | instid1(VALU_DEP_4)
	v_add_nc_u32_e32 v176, v176, v164
	v_and_b32_e32 v165, v177, v165
	s_delay_alu instid0(VALU_DEP_4) | instskip(NEXT) | instid1(VALU_DEP_2)
	v_bfe_u32 v179, v178, 20, 1
	v_cmp_eq_u32_e64 s13, v165, v180
	s_delay_alu instid0(VALU_DEP_2) | instskip(NEXT) | instid1(VALU_DEP_1)
	v_add_nc_u32_e32 v177, -1, v179
	v_cndmask_b32_e64 v165, 0, v177, s13
	v_lshrrev_b32_e32 v177, 23, v178
	s_mov_b32 s13, exec_lo
	s_delay_alu instid0(VALU_DEP_2) | instskip(NEXT) | instid1(VALU_DEP_2)
	v_add_nc_u32_e32 v165, v165, v178
	v_xor_b32_e32 v177, 1, v177
	s_delay_alu instid0(VALU_DEP_2) | instskip(NEXT) | instid1(VALU_DEP_1)
	v_and_b32_e32 v164, 0xfffff, v165
	v_add_nc_u32_e32 v165, v164, v178
                                        ; implicit-def: $vgpr164
	s_delay_alu instid0(VALU_DEP_3)
	v_cmpx_ne_u32_e64 v176, v177
	s_xor_b32 s13, exec_lo, s13
; %bb.2826:                             ;   in Loop: Header=BB4_2570 Depth=4
	s_delay_alu instid0(VALU_DEP_2) | instskip(SKIP_2) | instid1(VALU_DEP_2)
	v_cmp_lt_u32_e32 vcc_lo, 0xffffff, v165
	v_sub_nc_u32_e32 v164, v176, v177
	v_cndmask_b32_e64 v176, 0, 1, vcc_lo
	v_add_co_ci_u32_e32 v164, vcc_lo, 0, v164, vcc_lo
	s_delay_alu instid0(VALU_DEP_2)
	v_lshrrev_b32_e32 v165, v176, v165
; %bb.2827:                             ;   in Loop: Header=BB4_2570 Depth=4
	s_and_not1_saveexec_b32 s13, s13
; %bb.2828:                             ;   in Loop: Header=BB4_2570 Depth=4
	s_delay_alu instid0(VALU_DEP_1)
	v_bfe_u32 v164, v165, 23, 1
; %bb.2829:                             ;   in Loop: Header=BB4_2570 Depth=4
	s_or_b32 exec_lo, exec_lo, s13
	v_lshrrev_b32_e32 v165, 20, v165
	s_delay_alu instid0(VALU_DEP_2) | instskip(SKIP_2) | instid1(VALU_DEP_2)
	v_cmp_gt_i32_e32 vcc_lo, 16, v164
	v_min_i32_e32 v176, 15, v164
	v_lshrrev_b32_e32 v167, 24, v167
	v_dual_cndmask_b32 v165, 7, v165 :: v_dual_lshlrev_b32 v176, 3, v176
	s_delay_alu instid0(VALU_DEP_1) | instskip(SKIP_1) | instid1(VALU_DEP_2)
	v_or_b32_e32 v164, v164, v165
	v_and_b32_e32 v177, 7, v165
	v_cmp_ne_u32_e32 vcc_lo, 0, v164
	v_and_b32_e32 v167, 0x80, v167
	s_delay_alu instid0(VALU_DEP_1) | instskip(NEXT) | instid1(VALU_DEP_1)
	v_or3_b32 v165, v176, v167, v177
	v_cndmask_b32_e32 v164, 0, v165, vcc_lo
.LBB4_2830:                             ;   in Loop: Header=BB4_2570 Depth=4
	s_or_b32 exec_lo, exec_lo, s38
.LBB4_2831:                             ;   in Loop: Header=BB4_2570 Depth=4
	s_delay_alu instid0(SALU_CYCLE_1) | instskip(NEXT) | instid1(SALU_CYCLE_1)
	s_or_b32 exec_lo, exec_lo, s37
	s_and_not1_b32 vcc_lo, exec_lo, s35
	s_cbranch_vccnz .LBB4_2841
; %bb.2832:                             ;   in Loop: Header=BB4_2570 Depth=4
	v_and_b32_e32 v167, 0xff, v162
	s_mov_b32 s13, 0
	s_mov_b32 s38, exec_lo
                                        ; implicit-def: $sgpr37
	s_delay_alu instid0(VALU_DEP_1)
	v_cmpx_lt_i16_e64 0x7f, v167
	s_xor_b32 s38, exec_lo, s38
	s_cbranch_execnz .LBB4_3176
; %bb.2833:                             ;   in Loop: Header=BB4_2570 Depth=4
	s_or_saveexec_b32 s38, s38
	v_mov_b32_e32 v165, s37
	s_xor_b32 exec_lo, exec_lo, s38
	s_cbranch_execnz .LBB4_3179
.LBB4_2834:                             ;   in Loop: Header=BB4_2570 Depth=4
	s_or_b32 exec_lo, exec_lo, s38
	s_and_saveexec_b32 s37, s13
	s_cbranch_execz .LBB4_2836
.LBB4_2835:                             ;   in Loop: Header=BB4_2570 Depth=4
	v_and_b32_e32 v165, 7, v162
	v_lshrrev_b16 v177, 3, v162
	s_delay_alu instid0(VALU_DEP_2) | instskip(NEXT) | instid1(VALU_DEP_2)
	v_clz_i32_u32_e32 v167, v165
	v_and_b32_e32 v177, 15, v177
	s_delay_alu instid0(VALU_DEP_2) | instskip(NEXT) | instid1(VALU_DEP_2)
	v_min_u32_e32 v167, 32, v167
	v_cmp_eq_u32_e32 vcc_lo, 0, v177
	s_delay_alu instid0(VALU_DEP_2) | instskip(SKIP_1) | instid1(VALU_DEP_1)
	v_subrev_nc_u32_e32 v176, 28, v167
	v_sub_nc_u32_e32 v167, 29, v167
	v_dual_cndmask_b32 v167, v177, v167 :: v_dual_lshlrev_b32 v176, v176, v162
	s_delay_alu instid0(VALU_DEP_1) | instskip(SKIP_1) | instid1(VALU_DEP_3)
	v_and_b32_e32 v176, 7, v176
	v_lshlrev_b32_e32 v178, 24, v162
	v_lshl_add_u32 v167, v167, 23, 0x3b800000
	s_delay_alu instid0(VALU_DEP_2) | instskip(NEXT) | instid1(VALU_DEP_1)
	v_dual_cndmask_b32 v165, v165, v176 :: v_dual_and_b32 v176, 0x80000000, v178
	v_lshlrev_b32_e32 v165, 20, v165
	s_delay_alu instid0(VALU_DEP_1)
	v_or3_b32 v165, v176, v167, v165
.LBB4_2836:                             ;   in Loop: Header=BB4_2570 Depth=4
	s_or_b32 exec_lo, exec_lo, s37
	s_waitcnt vmcnt(6) lgkmcnt(6)
	v_and_b32_e32 v176, 0xff, v161
	s_mov_b32 s13, 0
	s_mov_b32 s38, exec_lo
                                        ; implicit-def: $sgpr37
	s_delay_alu instid0(VALU_DEP_1)
	v_cmpx_lt_i16_e64 0x7f, v176
	s_xor_b32 s38, exec_lo, s38
	s_cbranch_execnz .LBB4_3180
; %bb.2837:                             ;   in Loop: Header=BB4_2570 Depth=4
	s_or_saveexec_b32 s38, s38
	v_mov_b32_e32 v167, s37
	s_xor_b32 exec_lo, exec_lo, s38
	s_cbranch_execnz .LBB4_3183
.LBB4_2838:                             ;   in Loop: Header=BB4_2570 Depth=4
	s_or_b32 exec_lo, exec_lo, s38
	s_and_saveexec_b32 s37, s13
	s_cbranch_execz .LBB4_2840
.LBB4_2839:                             ;   in Loop: Header=BB4_2570 Depth=4
	v_lshrrev_b16 v178, 3, v161
	v_lshlrev_b32_e32 v179, 24, v161
	s_delay_alu instid0(VALU_DEP_2) | instskip(NEXT) | instid1(VALU_DEP_1)
	v_and_b32_e32 v178, 15, v178
	v_cmp_eq_u32_e32 vcc_lo, 0, v178
	v_and_b32_e32 v167, 7, v161
	s_delay_alu instid0(VALU_DEP_1) | instskip(NEXT) | instid1(VALU_DEP_1)
	v_clz_i32_u32_e32 v176, v167
	v_min_u32_e32 v176, 32, v176
	s_delay_alu instid0(VALU_DEP_1) | instskip(SKIP_1) | instid1(VALU_DEP_1)
	v_subrev_nc_u32_e32 v177, 28, v176
	v_sub_nc_u32_e32 v176, 29, v176
	v_dual_cndmask_b32 v176, v178, v176 :: v_dual_lshlrev_b32 v177, v177, v161
	s_delay_alu instid0(VALU_DEP_1) | instskip(NEXT) | instid1(VALU_DEP_2)
	v_and_b32_e32 v177, 7, v177
	v_lshl_add_u32 v176, v176, 23, 0x3b800000
	s_delay_alu instid0(VALU_DEP_2) | instskip(SKIP_1) | instid1(VALU_DEP_2)
	v_cndmask_b32_e32 v167, v167, v177, vcc_lo
	v_and_b32_e32 v177, 0x80000000, v179
	v_lshlrev_b32_e32 v167, 20, v167
	s_delay_alu instid0(VALU_DEP_1)
	v_or3_b32 v167, v177, v176, v167
.LBB4_2840:                             ;   in Loop: Header=BB4_2570 Depth=4
	s_or_b32 exec_lo, exec_lo, s37
	s_delay_alu instid0(VALU_DEP_1) | instskip(SKIP_2) | instid1(VALU_DEP_1)
	v_max_f32_e32 v167, v167, v167
	v_max_f32_e32 v165, v165, v165
	s_mov_b32 s13, 0
	v_max_f32_e32 v165, v165, v167
	s_branch .LBB4_2842
.LBB4_2841:                             ;   in Loop: Header=BB4_2570 Depth=4
	s_mov_b32 s13, -1
                                        ; implicit-def: $vgpr165
.LBB4_2842:                             ;   in Loop: Header=BB4_2570 Depth=4
	s_delay_alu instid0(SALU_CYCLE_1)
	s_and_b32 vcc_lo, exec_lo, s13
	s_cbranch_vccz .LBB4_2852
; %bb.2843:                             ;   in Loop: Header=BB4_2570 Depth=4
	v_and_b32_e32 v167, 0xff, v162
	s_mov_b32 s13, 0
	s_mov_b32 s38, exec_lo
                                        ; implicit-def: $sgpr37
	s_delay_alu instid0(VALU_DEP_1)
	v_cmpx_lt_i16_e64 0x7f, v167
	s_xor_b32 s38, exec_lo, s38
	s_cbranch_execnz .LBB4_3184
; %bb.2844:                             ;   in Loop: Header=BB4_2570 Depth=4
	s_or_saveexec_b32 s38, s38
	v_mov_b32_e32 v165, s37
	s_xor_b32 exec_lo, exec_lo, s38
	s_cbranch_execnz .LBB4_3187
.LBB4_2845:                             ;   in Loop: Header=BB4_2570 Depth=4
	s_or_b32 exec_lo, exec_lo, s38
	s_and_saveexec_b32 s37, s13
	s_cbranch_execz .LBB4_2847
.LBB4_2846:                             ;   in Loop: Header=BB4_2570 Depth=4
	v_and_b32_e32 v165, 7, v162
	v_lshrrev_b16 v177, 3, v162
	s_delay_alu instid0(VALU_DEP_2) | instskip(NEXT) | instid1(VALU_DEP_2)
	v_clz_i32_u32_e32 v167, v165
	v_and_b32_e32 v177, 15, v177
	s_delay_alu instid0(VALU_DEP_2) | instskip(NEXT) | instid1(VALU_DEP_2)
	v_min_u32_e32 v167, 32, v167
	v_cmp_eq_u32_e32 vcc_lo, 0, v177
	s_delay_alu instid0(VALU_DEP_2) | instskip(SKIP_1) | instid1(VALU_DEP_1)
	v_subrev_nc_u32_e32 v176, 28, v167
	v_sub_nc_u32_e32 v167, 29, v167
	v_dual_cndmask_b32 v167, v177, v167 :: v_dual_lshlrev_b32 v176, v176, v162
	s_delay_alu instid0(VALU_DEP_1) | instskip(SKIP_1) | instid1(VALU_DEP_3)
	v_and_b32_e32 v176, 7, v176
	v_lshlrev_b32_e32 v162, 24, v162
	v_lshl_add_u32 v167, v167, 23, 0x3b800000
	s_delay_alu instid0(VALU_DEP_2) | instskip(NEXT) | instid1(VALU_DEP_1)
	v_dual_cndmask_b32 v165, v165, v176 :: v_dual_and_b32 v162, 0x80000000, v162
	v_lshlrev_b32_e32 v165, 20, v165
	s_delay_alu instid0(VALU_DEP_1)
	v_or3_b32 v165, v162, v167, v165
.LBB4_2847:                             ;   in Loop: Header=BB4_2570 Depth=4
	s_or_b32 exec_lo, exec_lo, s37
	s_waitcnt vmcnt(6) lgkmcnt(6)
	v_and_b32_e32 v167, 0xff, v161
	s_mov_b32 s13, 0
	s_mov_b32 s38, exec_lo
                                        ; implicit-def: $sgpr37
	s_delay_alu instid0(VALU_DEP_1)
	v_cmpx_lt_i16_e64 0x7f, v167
	s_xor_b32 s38, exec_lo, s38
	s_cbranch_execnz .LBB4_3188
; %bb.2848:                             ;   in Loop: Header=BB4_2570 Depth=4
	s_or_saveexec_b32 s38, s38
	v_mov_b32_e32 v162, s37
	s_xor_b32 exec_lo, exec_lo, s38
	s_cbranch_execnz .LBB4_3191
.LBB4_2849:                             ;   in Loop: Header=BB4_2570 Depth=4
	s_or_b32 exec_lo, exec_lo, s38
	s_and_saveexec_b32 s37, s13
	s_cbranch_execz .LBB4_2851
.LBB4_2850:                             ;   in Loop: Header=BB4_2570 Depth=4
	v_lshrrev_b16 v177, 3, v161
	s_delay_alu instid0(VALU_DEP_1) | instskip(NEXT) | instid1(VALU_DEP_1)
	v_and_b32_e32 v177, 15, v177
	v_cmp_eq_u32_e32 vcc_lo, 0, v177
	v_and_b32_e32 v162, 7, v161
	s_delay_alu instid0(VALU_DEP_1) | instskip(NEXT) | instid1(VALU_DEP_1)
	v_clz_i32_u32_e32 v167, v162
	v_min_u32_e32 v167, 32, v167
	s_delay_alu instid0(VALU_DEP_1) | instskip(SKIP_1) | instid1(VALU_DEP_1)
	v_subrev_nc_u32_e32 v176, 28, v167
	v_sub_nc_u32_e32 v167, 29, v167
	v_dual_cndmask_b32 v167, v177, v167 :: v_dual_lshlrev_b32 v176, v176, v161
	v_lshlrev_b32_e32 v161, 24, v161
	s_delay_alu instid0(VALU_DEP_2) | instskip(NEXT) | instid1(VALU_DEP_3)
	v_and_b32_e32 v176, 7, v176
	v_lshl_add_u32 v167, v167, 23, 0x3b800000
	s_delay_alu instid0(VALU_DEP_2) | instskip(NEXT) | instid1(VALU_DEP_1)
	v_dual_cndmask_b32 v162, v162, v176 :: v_dual_and_b32 v161, 0x80000000, v161
	v_lshlrev_b32_e32 v162, 20, v162
	s_delay_alu instid0(VALU_DEP_1)
	v_or3_b32 v162, v161, v167, v162
.LBB4_2851:                             ;   in Loop: Header=BB4_2570 Depth=4
	s_or_b32 exec_lo, exec_lo, s37
	s_delay_alu instid0(VALU_DEP_1) | instskip(NEXT) | instid1(VALU_DEP_1)
	v_dual_max_f32 v161, v162, v162 :: v_dual_max_f32 v162, v165, v165
	v_min_f32_e32 v165, v162, v161
.LBB4_2852:                             ;   in Loop: Header=BB4_2570 Depth=4
	s_waitcnt vmcnt(6) lgkmcnt(6)
	s_delay_alu instid0(VALU_DEP_1) | instskip(NEXT) | instid1(VALU_DEP_1)
	v_and_b32_e32 v161, 0x7f800000, v165
	v_cmp_ne_u32_e32 vcc_lo, 0x7f800000, v161
	v_mov_b32_e32 v161, 0x80
	s_and_saveexec_b32 s37, vcc_lo
	s_cbranch_execz .LBB4_2860
; %bb.2853:                             ;   in Loop: Header=BB4_2570 Depth=4
	v_mov_b32_e32 v161, 0
	s_mov_b32 s38, exec_lo
	v_cmpx_ne_u32_e32 0, v165
	s_cbranch_execz .LBB4_2859
; %bb.2854:                             ;   in Loop: Header=BB4_2570 Depth=4
	v_bfe_u32 v161, v165, 23, 8
	s_delay_alu instid0(VALU_DEP_1) | instskip(SKIP_1) | instid1(VALU_DEP_2)
	v_sub_nc_u32_e32 v167, 0x78, v161
	v_cmp_gt_u32_e32 vcc_lo, 0x79, v161
	v_dual_cndmask_b32 v167, 0, v167 :: v_dual_and_b32 v162, 0x7fffff, v165
	s_delay_alu instid0(VALU_DEP_1) | instskip(SKIP_2) | instid1(VALU_DEP_4)
	v_or_b32_e32 v176, 0x800000, v162
	v_cmp_eq_u32_e32 vcc_lo, 0, v161
	v_add_nc_u32_e32 v161, 0xffffff89, v161
	v_cndmask_b32_e64 v167, v167, 0x77, vcc_lo
	s_delay_alu instid0(VALU_DEP_4) | instskip(NEXT) | instid1(VALU_DEP_3)
	v_cndmask_b32_e32 v162, v176, v162, vcc_lo
	v_cndmask_b32_e64 v161, v161, 0xffffff8a, vcc_lo
	s_delay_alu instid0(VALU_DEP_3) | instskip(NEXT) | instid1(VALU_DEP_3)
	v_lshl_add_u32 v176, 0x100000, v167, -1
	v_lshrrev_b32_e32 v177, v167, v162
	v_lshlrev_b32_e64 v179, v167, 0x80000
	s_delay_alu instid0(VALU_DEP_4) | instskip(NEXT) | instid1(VALU_DEP_4)
	v_add_nc_u32_e32 v167, v167, v161
	v_and_b32_e32 v162, v176, v162
	s_delay_alu instid0(VALU_DEP_4) | instskip(NEXT) | instid1(VALU_DEP_2)
	v_bfe_u32 v178, v177, 20, 1
	v_cmp_eq_u32_e64 s13, v162, v179
	s_delay_alu instid0(VALU_DEP_2) | instskip(NEXT) | instid1(VALU_DEP_1)
	v_add_nc_u32_e32 v176, -1, v178
	v_cndmask_b32_e64 v162, 0, v176, s13
	v_lshrrev_b32_e32 v176, 23, v177
	s_mov_b32 s13, exec_lo
	s_delay_alu instid0(VALU_DEP_2) | instskip(NEXT) | instid1(VALU_DEP_2)
	v_add_nc_u32_e32 v162, v162, v177
	v_xor_b32_e32 v176, 1, v176
	s_delay_alu instid0(VALU_DEP_2) | instskip(NEXT) | instid1(VALU_DEP_1)
	v_and_b32_e32 v161, 0xfffff, v162
	v_add_nc_u32_e32 v162, v161, v177
                                        ; implicit-def: $vgpr161
	s_delay_alu instid0(VALU_DEP_3)
	v_cmpx_ne_u32_e64 v167, v176
	s_xor_b32 s13, exec_lo, s13
; %bb.2855:                             ;   in Loop: Header=BB4_2570 Depth=4
	s_delay_alu instid0(VALU_DEP_2) | instskip(SKIP_2) | instid1(VALU_DEP_2)
	v_cmp_lt_u32_e32 vcc_lo, 0xffffff, v162
	v_sub_nc_u32_e32 v161, v167, v176
	v_cndmask_b32_e64 v167, 0, 1, vcc_lo
	v_add_co_ci_u32_e32 v161, vcc_lo, 0, v161, vcc_lo
	s_delay_alu instid0(VALU_DEP_2)
	v_lshrrev_b32_e32 v162, v167, v162
; %bb.2856:                             ;   in Loop: Header=BB4_2570 Depth=4
	s_and_not1_saveexec_b32 s13, s13
; %bb.2857:                             ;   in Loop: Header=BB4_2570 Depth=4
	s_delay_alu instid0(VALU_DEP_1)
	v_bfe_u32 v161, v162, 23, 1
; %bb.2858:                             ;   in Loop: Header=BB4_2570 Depth=4
	s_or_b32 exec_lo, exec_lo, s13
	v_lshrrev_b32_e32 v162, 20, v162
	s_delay_alu instid0(VALU_DEP_2) | instskip(SKIP_2) | instid1(VALU_DEP_2)
	v_cmp_gt_i32_e32 vcc_lo, 16, v161
	v_lshrrev_b32_e32 v165, 24, v165
	v_min_i32_e32 v167, 15, v161
	v_dual_cndmask_b32 v162, 7, v162 :: v_dual_and_b32 v165, 0x80, v165
	s_delay_alu instid0(VALU_DEP_2) | instskip(NEXT) | instid1(VALU_DEP_2)
	v_lshlrev_b32_e32 v167, 3, v167
	v_and_b32_e32 v176, 7, v162
	v_or_b32_e32 v161, v161, v162
	s_delay_alu instid0(VALU_DEP_2) | instskip(NEXT) | instid1(VALU_DEP_2)
	v_or3_b32 v162, v167, v165, v176
	v_cmp_ne_u32_e32 vcc_lo, 0, v161
	s_delay_alu instid0(VALU_DEP_2)
	v_cndmask_b32_e32 v161, 0, v162, vcc_lo
.LBB4_2859:                             ;   in Loop: Header=BB4_2570 Depth=4
	s_or_b32 exec_lo, exec_lo, s38
.LBB4_2860:                             ;   in Loop: Header=BB4_2570 Depth=4
	s_delay_alu instid0(SALU_CYCLE_1) | instskip(NEXT) | instid1(SALU_CYCLE_1)
	s_or_b32 exec_lo, exec_lo, s37
	s_and_not1_b32 vcc_lo, exec_lo, s35
	s_cbranch_vccnz .LBB4_2870
; %bb.2861:                             ;   in Loop: Header=BB4_2570 Depth=4
	v_and_b32_e32 v165, 0xff, v151
	s_mov_b32 s13, 0
	s_mov_b32 s38, exec_lo
                                        ; implicit-def: $sgpr37
	s_delay_alu instid0(VALU_DEP_1)
	v_cmpx_lt_i16_e64 0x7f, v165
	s_xor_b32 s38, exec_lo, s38
	s_cbranch_execnz .LBB4_3192
; %bb.2862:                             ;   in Loop: Header=BB4_2570 Depth=4
	s_or_saveexec_b32 s38, s38
	v_mov_b32_e32 v162, s37
	s_xor_b32 exec_lo, exec_lo, s38
	s_cbranch_execnz .LBB4_3195
.LBB4_2863:                             ;   in Loop: Header=BB4_2570 Depth=4
	s_or_b32 exec_lo, exec_lo, s38
	s_and_saveexec_b32 s37, s13
	s_cbranch_execz .LBB4_2865
.LBB4_2864:                             ;   in Loop: Header=BB4_2570 Depth=4
	v_lshrrev_b16 v176, 3, v151
	v_lshlrev_b32_e32 v177, 24, v151
	s_delay_alu instid0(VALU_DEP_2) | instskip(NEXT) | instid1(VALU_DEP_1)
	v_and_b32_e32 v176, 15, v176
	v_cmp_eq_u32_e32 vcc_lo, 0, v176
	v_and_b32_e32 v162, 7, v151
	s_delay_alu instid0(VALU_DEP_1) | instskip(NEXT) | instid1(VALU_DEP_1)
	v_clz_i32_u32_e32 v165, v162
	v_min_u32_e32 v165, 32, v165
	s_delay_alu instid0(VALU_DEP_1) | instskip(SKIP_1) | instid1(VALU_DEP_2)
	v_subrev_nc_u32_e32 v167, 28, v165
	v_sub_nc_u32_e32 v165, 29, v165
	v_lshlrev_b32_e32 v167, v167, v151
	s_delay_alu instid0(VALU_DEP_2) | instskip(NEXT) | instid1(VALU_DEP_2)
	v_cndmask_b32_e32 v165, v176, v165, vcc_lo
	v_and_b32_e32 v167, 7, v167
	s_delay_alu instid0(VALU_DEP_2) | instskip(NEXT) | instid1(VALU_DEP_2)
	v_lshl_add_u32 v165, v165, 23, 0x3b800000
	v_dual_cndmask_b32 v162, v162, v167 :: v_dual_and_b32 v167, 0x80000000, v177
	s_delay_alu instid0(VALU_DEP_1) | instskip(NEXT) | instid1(VALU_DEP_1)
	v_lshlrev_b32_e32 v162, 20, v162
	v_or3_b32 v162, v167, v165, v162
.LBB4_2865:                             ;   in Loop: Header=BB4_2570 Depth=4
	s_or_b32 exec_lo, exec_lo, s37
	s_waitcnt vmcnt(5) lgkmcnt(5)
	v_and_b32_e32 v167, 0xff, v150
	s_mov_b32 s13, 0
	s_mov_b32 s38, exec_lo
                                        ; implicit-def: $sgpr37
	s_delay_alu instid0(VALU_DEP_1)
	v_cmpx_lt_i16_e64 0x7f, v167
	s_xor_b32 s38, exec_lo, s38
	s_cbranch_execnz .LBB4_3196
; %bb.2866:                             ;   in Loop: Header=BB4_2570 Depth=4
	s_or_saveexec_b32 s38, s38
	v_mov_b32_e32 v165, s37
	s_xor_b32 exec_lo, exec_lo, s38
	s_cbranch_execnz .LBB4_3199
.LBB4_2867:                             ;   in Loop: Header=BB4_2570 Depth=4
	s_or_b32 exec_lo, exec_lo, s38
	s_and_saveexec_b32 s37, s13
	s_cbranch_execz .LBB4_2869
.LBB4_2868:                             ;   in Loop: Header=BB4_2570 Depth=4
	v_and_b32_e32 v165, 7, v150
	v_lshrrev_b16 v177, 3, v150
	s_delay_alu instid0(VALU_DEP_2) | instskip(NEXT) | instid1(VALU_DEP_2)
	v_clz_i32_u32_e32 v167, v165
	v_and_b32_e32 v177, 15, v177
	s_delay_alu instid0(VALU_DEP_2) | instskip(NEXT) | instid1(VALU_DEP_2)
	v_min_u32_e32 v167, 32, v167
	v_cmp_eq_u32_e32 vcc_lo, 0, v177
	s_delay_alu instid0(VALU_DEP_2) | instskip(SKIP_1) | instid1(VALU_DEP_1)
	v_subrev_nc_u32_e32 v176, 28, v167
	v_sub_nc_u32_e32 v167, 29, v167
	v_dual_cndmask_b32 v167, v177, v167 :: v_dual_lshlrev_b32 v176, v176, v150
	s_delay_alu instid0(VALU_DEP_1) | instskip(SKIP_1) | instid1(VALU_DEP_3)
	v_and_b32_e32 v176, 7, v176
	v_lshlrev_b32_e32 v178, 24, v150
	v_lshl_add_u32 v167, v167, 23, 0x3b800000
	s_delay_alu instid0(VALU_DEP_2) | instskip(NEXT) | instid1(VALU_DEP_1)
	v_dual_cndmask_b32 v165, v165, v176 :: v_dual_and_b32 v176, 0x80000000, v178
	v_lshlrev_b32_e32 v165, 20, v165
	s_delay_alu instid0(VALU_DEP_1)
	v_or3_b32 v165, v176, v167, v165
.LBB4_2869:                             ;   in Loop: Header=BB4_2570 Depth=4
	s_or_b32 exec_lo, exec_lo, s37
	s_delay_alu instid0(VALU_DEP_1) | instskip(SKIP_1) | instid1(VALU_DEP_1)
	v_dual_max_f32 v165, v165, v165 :: v_dual_max_f32 v162, v162, v162
	s_mov_b32 s13, 0
	v_max_f32_e32 v162, v162, v165
	s_branch .LBB4_2871
.LBB4_2870:                             ;   in Loop: Header=BB4_2570 Depth=4
	s_mov_b32 s13, -1
                                        ; implicit-def: $vgpr162
.LBB4_2871:                             ;   in Loop: Header=BB4_2570 Depth=4
	s_delay_alu instid0(SALU_CYCLE_1)
	s_and_b32 vcc_lo, exec_lo, s13
	s_cbranch_vccz .LBB4_2881
; %bb.2872:                             ;   in Loop: Header=BB4_2570 Depth=4
	v_and_b32_e32 v165, 0xff, v151
	s_mov_b32 s13, 0
	s_mov_b32 s38, exec_lo
                                        ; implicit-def: $sgpr37
	s_delay_alu instid0(VALU_DEP_1)
	v_cmpx_lt_i16_e64 0x7f, v165
	s_xor_b32 s38, exec_lo, s38
	s_cbranch_execnz .LBB4_3200
; %bb.2873:                             ;   in Loop: Header=BB4_2570 Depth=4
	s_or_saveexec_b32 s38, s38
	v_mov_b32_e32 v162, s37
	s_xor_b32 exec_lo, exec_lo, s38
	s_cbranch_execnz .LBB4_3203
.LBB4_2874:                             ;   in Loop: Header=BB4_2570 Depth=4
	s_or_b32 exec_lo, exec_lo, s38
	s_and_saveexec_b32 s37, s13
	s_cbranch_execz .LBB4_2876
.LBB4_2875:                             ;   in Loop: Header=BB4_2570 Depth=4
	v_lshrrev_b16 v176, 3, v151
	s_delay_alu instid0(VALU_DEP_1) | instskip(NEXT) | instid1(VALU_DEP_1)
	v_and_b32_e32 v176, 15, v176
	v_cmp_eq_u32_e32 vcc_lo, 0, v176
	v_and_b32_e32 v162, 7, v151
	s_delay_alu instid0(VALU_DEP_1) | instskip(NEXT) | instid1(VALU_DEP_1)
	v_clz_i32_u32_e32 v165, v162
	v_min_u32_e32 v165, 32, v165
	s_delay_alu instid0(VALU_DEP_1) | instskip(SKIP_1) | instid1(VALU_DEP_2)
	v_subrev_nc_u32_e32 v167, 28, v165
	v_sub_nc_u32_e32 v165, 29, v165
	v_lshlrev_b32_e32 v167, v167, v151
	s_delay_alu instid0(VALU_DEP_2) | instskip(SKIP_1) | instid1(VALU_DEP_3)
	v_cndmask_b32_e32 v165, v176, v165, vcc_lo
	v_lshlrev_b32_e32 v151, 24, v151
	v_and_b32_e32 v167, 7, v167
	s_delay_alu instid0(VALU_DEP_3) | instskip(NEXT) | instid1(VALU_DEP_3)
	v_lshl_add_u32 v165, v165, 23, 0x3b800000
	v_and_b32_e32 v151, 0x80000000, v151
	s_delay_alu instid0(VALU_DEP_3) | instskip(NEXT) | instid1(VALU_DEP_1)
	v_cndmask_b32_e32 v162, v162, v167, vcc_lo
	v_lshlrev_b32_e32 v162, 20, v162
	s_delay_alu instid0(VALU_DEP_1)
	v_or3_b32 v162, v151, v165, v162
.LBB4_2876:                             ;   in Loop: Header=BB4_2570 Depth=4
	s_or_b32 exec_lo, exec_lo, s37
	s_waitcnt vmcnt(5) lgkmcnt(5)
	v_and_b32_e32 v165, 0xff, v150
	s_mov_b32 s13, 0
	s_mov_b32 s38, exec_lo
                                        ; implicit-def: $sgpr37
	s_delay_alu instid0(VALU_DEP_1)
	v_cmpx_lt_i16_e64 0x7f, v165
	s_xor_b32 s38, exec_lo, s38
	s_cbranch_execnz .LBB4_3204
; %bb.2877:                             ;   in Loop: Header=BB4_2570 Depth=4
	s_or_saveexec_b32 s38, s38
	v_mov_b32_e32 v151, s37
	s_xor_b32 exec_lo, exec_lo, s38
	s_cbranch_execnz .LBB4_3207
.LBB4_2878:                             ;   in Loop: Header=BB4_2570 Depth=4
	s_or_b32 exec_lo, exec_lo, s38
	s_and_saveexec_b32 s37, s13
	s_cbranch_execz .LBB4_2880
.LBB4_2879:                             ;   in Loop: Header=BB4_2570 Depth=4
	v_and_b32_e32 v151, 7, v150
	v_lshrrev_b16 v176, 3, v150
	s_delay_alu instid0(VALU_DEP_2) | instskip(NEXT) | instid1(VALU_DEP_1)
	v_clz_i32_u32_e32 v165, v151
	v_min_u32_e32 v165, 32, v165
	s_delay_alu instid0(VALU_DEP_1) | instskip(SKIP_1) | instid1(VALU_DEP_2)
	v_subrev_nc_u32_e32 v167, 28, v165
	v_sub_nc_u32_e32 v165, 29, v165
	v_lshlrev_b32_e32 v167, v167, v150
	s_delay_alu instid0(VALU_DEP_1) | instskip(SKIP_1) | instid1(VALU_DEP_1)
	v_and_b32_e32 v167, 7, v167
	v_and_b32_e32 v176, 15, v176
	v_cmp_eq_u32_e32 vcc_lo, 0, v176
	s_delay_alu instid0(VALU_DEP_3) | instskip(SKIP_1) | instid1(VALU_DEP_2)
	v_dual_cndmask_b32 v151, v151, v167 :: v_dual_lshlrev_b32 v150, 24, v150
	v_cndmask_b32_e32 v165, v176, v165, vcc_lo
	v_lshlrev_b32_e32 v151, 20, v151
	s_delay_alu instid0(VALU_DEP_3) | instskip(NEXT) | instid1(VALU_DEP_3)
	v_and_b32_e32 v150, 0x80000000, v150
	v_lshl_add_u32 v165, v165, 23, 0x3b800000
	s_delay_alu instid0(VALU_DEP_1)
	v_or3_b32 v151, v150, v165, v151
.LBB4_2880:                             ;   in Loop: Header=BB4_2570 Depth=4
	s_or_b32 exec_lo, exec_lo, s37
	s_delay_alu instid0(VALU_DEP_1) | instskip(NEXT) | instid1(VALU_DEP_1)
	v_dual_max_f32 v150, v151, v151 :: v_dual_max_f32 v151, v162, v162
	v_min_f32_e32 v162, v151, v150
.LBB4_2881:                             ;   in Loop: Header=BB4_2570 Depth=4
	s_waitcnt vmcnt(5) lgkmcnt(5)
	s_delay_alu instid0(VALU_DEP_1) | instskip(NEXT) | instid1(VALU_DEP_1)
	v_and_b32_e32 v150, 0x7f800000, v162
	v_cmp_ne_u32_e32 vcc_lo, 0x7f800000, v150
	v_mov_b32_e32 v150, 0x80
	s_and_saveexec_b32 s37, vcc_lo
	s_cbranch_execz .LBB4_2889
; %bb.2882:                             ;   in Loop: Header=BB4_2570 Depth=4
	v_mov_b32_e32 v150, 0
	s_mov_b32 s38, exec_lo
	v_cmpx_ne_u32_e32 0, v162
	s_cbranch_execz .LBB4_2888
; %bb.2883:                             ;   in Loop: Header=BB4_2570 Depth=4
	v_bfe_u32 v150, v162, 23, 8
	v_and_b32_e32 v151, 0x7fffff, v162
	s_delay_alu instid0(VALU_DEP_2) | instskip(SKIP_1) | instid1(VALU_DEP_3)
	v_sub_nc_u32_e32 v165, 0x78, v150
	v_cmp_gt_u32_e32 vcc_lo, 0x79, v150
	v_or_b32_e32 v167, 0x800000, v151
	s_delay_alu instid0(VALU_DEP_3) | instskip(SKIP_2) | instid1(VALU_DEP_3)
	v_cndmask_b32_e32 v165, 0, v165, vcc_lo
	v_cmp_eq_u32_e32 vcc_lo, 0, v150
	v_add_nc_u32_e32 v150, 0xffffff89, v150
	v_cndmask_b32_e64 v165, v165, 0x77, vcc_lo
	v_cndmask_b32_e32 v151, v167, v151, vcc_lo
	s_delay_alu instid0(VALU_DEP_3) | instskip(NEXT) | instid1(VALU_DEP_3)
	v_cndmask_b32_e64 v150, v150, 0xffffff8a, vcc_lo
	v_lshl_add_u32 v167, 0x100000, v165, -1
	s_delay_alu instid0(VALU_DEP_3) | instskip(SKIP_1) | instid1(VALU_DEP_4)
	v_lshrrev_b32_e32 v176, v165, v151
	v_lshlrev_b32_e64 v178, v165, 0x80000
	v_add_nc_u32_e32 v165, v165, v150
	s_delay_alu instid0(VALU_DEP_4) | instskip(NEXT) | instid1(VALU_DEP_4)
	v_and_b32_e32 v151, v167, v151
	v_bfe_u32 v177, v176, 20, 1
	s_delay_alu instid0(VALU_DEP_2) | instskip(NEXT) | instid1(VALU_DEP_2)
	v_cmp_eq_u32_e64 s13, v151, v178
	v_add_nc_u32_e32 v167, -1, v177
	s_delay_alu instid0(VALU_DEP_1) | instskip(SKIP_2) | instid1(VALU_DEP_2)
	v_cndmask_b32_e64 v151, 0, v167, s13
	v_lshrrev_b32_e32 v167, 23, v176
	s_mov_b32 s13, exec_lo
	v_add_nc_u32_e32 v151, v151, v176
	s_delay_alu instid0(VALU_DEP_2) | instskip(NEXT) | instid1(VALU_DEP_2)
	v_xor_b32_e32 v167, 1, v167
	v_and_b32_e32 v150, 0xfffff, v151
	s_delay_alu instid0(VALU_DEP_1) | instskip(NEXT) | instid1(VALU_DEP_3)
	v_add_nc_u32_e32 v151, v150, v176
                                        ; implicit-def: $vgpr150
	v_cmpx_ne_u32_e64 v165, v167
	s_xor_b32 s13, exec_lo, s13
; %bb.2884:                             ;   in Loop: Header=BB4_2570 Depth=4
	s_delay_alu instid0(VALU_DEP_2) | instskip(SKIP_2) | instid1(VALU_DEP_2)
	v_cmp_lt_u32_e32 vcc_lo, 0xffffff, v151
	v_sub_nc_u32_e32 v150, v165, v167
	v_cndmask_b32_e64 v165, 0, 1, vcc_lo
	v_add_co_ci_u32_e32 v150, vcc_lo, 0, v150, vcc_lo
	s_delay_alu instid0(VALU_DEP_2)
	v_lshrrev_b32_e32 v151, v165, v151
; %bb.2885:                             ;   in Loop: Header=BB4_2570 Depth=4
	s_and_not1_saveexec_b32 s13, s13
; %bb.2886:                             ;   in Loop: Header=BB4_2570 Depth=4
	s_delay_alu instid0(VALU_DEP_1)
	v_bfe_u32 v150, v151, 23, 1
; %bb.2887:                             ;   in Loop: Header=BB4_2570 Depth=4
	s_or_b32 exec_lo, exec_lo, s13
	v_lshrrev_b32_e32 v151, 20, v151
	s_delay_alu instid0(VALU_DEP_2) | instskip(SKIP_2) | instid1(VALU_DEP_2)
	v_cmp_gt_i32_e32 vcc_lo, 16, v150
	v_lshrrev_b32_e32 v162, 24, v162
	v_min_i32_e32 v165, 15, v150
	v_dual_cndmask_b32 v151, 7, v151 :: v_dual_and_b32 v162, 0x80, v162
	s_delay_alu instid0(VALU_DEP_1) | instskip(SKIP_1) | instid1(VALU_DEP_2)
	v_or_b32_e32 v150, v150, v151
	v_and_b32_e32 v167, 7, v151
	v_cmp_ne_u32_e32 vcc_lo, 0, v150
	v_lshlrev_b32_e32 v165, 3, v165
	s_delay_alu instid0(VALU_DEP_1) | instskip(NEXT) | instid1(VALU_DEP_1)
	v_or3_b32 v151, v165, v162, v167
	v_cndmask_b32_e32 v150, 0, v151, vcc_lo
.LBB4_2888:                             ;   in Loop: Header=BB4_2570 Depth=4
	s_or_b32 exec_lo, exec_lo, s38
.LBB4_2889:                             ;   in Loop: Header=BB4_2570 Depth=4
	s_delay_alu instid0(SALU_CYCLE_1) | instskip(NEXT) | instid1(SALU_CYCLE_1)
	s_or_b32 exec_lo, exec_lo, s37
	s_and_not1_b32 vcc_lo, exec_lo, s35
	s_cbranch_vccnz .LBB4_2899
; %bb.2890:                             ;   in Loop: Header=BB4_2570 Depth=4
	v_and_b32_e32 v162, 0xff, v148
	s_mov_b32 s13, 0
	s_mov_b32 s38, exec_lo
                                        ; implicit-def: $sgpr37
	s_delay_alu instid0(VALU_DEP_1)
	v_cmpx_lt_i16_e64 0x7f, v162
	s_xor_b32 s38, exec_lo, s38
	s_cbranch_execnz .LBB4_3208
; %bb.2891:                             ;   in Loop: Header=BB4_2570 Depth=4
	s_or_saveexec_b32 s38, s38
	v_mov_b32_e32 v151, s37
	s_xor_b32 exec_lo, exec_lo, s38
	s_cbranch_execnz .LBB4_3211
.LBB4_2892:                             ;   in Loop: Header=BB4_2570 Depth=4
	s_or_b32 exec_lo, exec_lo, s38
	s_and_saveexec_b32 s37, s13
	s_cbranch_execz .LBB4_2894
.LBB4_2893:                             ;   in Loop: Header=BB4_2570 Depth=4
	v_lshrrev_b16 v167, 3, v148
	s_delay_alu instid0(VALU_DEP_1) | instskip(NEXT) | instid1(VALU_DEP_1)
	v_and_b32_e32 v167, 15, v167
	v_cmp_eq_u32_e32 vcc_lo, 0, v167
	v_and_b32_e32 v151, 7, v148
	s_delay_alu instid0(VALU_DEP_1) | instskip(NEXT) | instid1(VALU_DEP_1)
	v_clz_i32_u32_e32 v162, v151
	v_min_u32_e32 v162, 32, v162
	s_delay_alu instid0(VALU_DEP_1) | instskip(SKIP_1) | instid1(VALU_DEP_1)
	v_subrev_nc_u32_e32 v165, 28, v162
	v_sub_nc_u32_e32 v162, 29, v162
	v_dual_cndmask_b32 v162, v167, v162 :: v_dual_lshlrev_b32 v165, v165, v148
	s_delay_alu instid0(VALU_DEP_1) | instskip(SKIP_1) | instid1(VALU_DEP_3)
	v_and_b32_e32 v165, 7, v165
	v_lshlrev_b32_e32 v176, 24, v148
	v_lshl_add_u32 v162, v162, 23, 0x3b800000
	s_delay_alu instid0(VALU_DEP_3) | instskip(NEXT) | instid1(VALU_DEP_3)
	v_cndmask_b32_e32 v151, v151, v165, vcc_lo
	v_and_b32_e32 v165, 0x80000000, v176
	s_delay_alu instid0(VALU_DEP_2) | instskip(NEXT) | instid1(VALU_DEP_1)
	v_lshlrev_b32_e32 v151, 20, v151
	v_or3_b32 v151, v165, v162, v151
.LBB4_2894:                             ;   in Loop: Header=BB4_2570 Depth=4
	s_or_b32 exec_lo, exec_lo, s37
	s_waitcnt vmcnt(4) lgkmcnt(4)
	v_and_b32_e32 v165, 0xff, v147
	s_mov_b32 s13, 0
	s_mov_b32 s38, exec_lo
                                        ; implicit-def: $sgpr37
	s_delay_alu instid0(VALU_DEP_1)
	v_cmpx_lt_i16_e64 0x7f, v165
	s_xor_b32 s38, exec_lo, s38
	s_cbranch_execnz .LBB4_3212
; %bb.2895:                             ;   in Loop: Header=BB4_2570 Depth=4
	s_or_saveexec_b32 s38, s38
	v_mov_b32_e32 v162, s37
	s_xor_b32 exec_lo, exec_lo, s38
	s_cbranch_execnz .LBB4_3215
.LBB4_2896:                             ;   in Loop: Header=BB4_2570 Depth=4
	s_or_b32 exec_lo, exec_lo, s38
	s_and_saveexec_b32 s37, s13
	s_cbranch_execz .LBB4_2898
.LBB4_2897:                             ;   in Loop: Header=BB4_2570 Depth=4
	v_lshrrev_b16 v176, 3, v147
	v_lshlrev_b32_e32 v177, 24, v147
	s_delay_alu instid0(VALU_DEP_2) | instskip(NEXT) | instid1(VALU_DEP_1)
	v_and_b32_e32 v176, 15, v176
	v_cmp_eq_u32_e32 vcc_lo, 0, v176
	v_and_b32_e32 v162, 7, v147
	s_delay_alu instid0(VALU_DEP_1) | instskip(NEXT) | instid1(VALU_DEP_1)
	v_clz_i32_u32_e32 v165, v162
	v_min_u32_e32 v165, 32, v165
	s_delay_alu instid0(VALU_DEP_1) | instskip(SKIP_1) | instid1(VALU_DEP_2)
	v_subrev_nc_u32_e32 v167, 28, v165
	v_sub_nc_u32_e32 v165, 29, v165
	v_lshlrev_b32_e32 v167, v167, v147
	s_delay_alu instid0(VALU_DEP_2) | instskip(NEXT) | instid1(VALU_DEP_2)
	v_cndmask_b32_e32 v165, v176, v165, vcc_lo
	v_and_b32_e32 v167, 7, v167
	s_delay_alu instid0(VALU_DEP_2) | instskip(NEXT) | instid1(VALU_DEP_2)
	v_lshl_add_u32 v165, v165, 23, 0x3b800000
	v_dual_cndmask_b32 v162, v162, v167 :: v_dual_and_b32 v167, 0x80000000, v177
	s_delay_alu instid0(VALU_DEP_1) | instskip(NEXT) | instid1(VALU_DEP_1)
	v_lshlrev_b32_e32 v162, 20, v162
	v_or3_b32 v162, v167, v165, v162
.LBB4_2898:                             ;   in Loop: Header=BB4_2570 Depth=4
	s_or_b32 exec_lo, exec_lo, s37
	s_delay_alu instid0(VALU_DEP_1) | instskip(SKIP_1) | instid1(VALU_DEP_1)
	v_dual_max_f32 v162, v162, v162 :: v_dual_max_f32 v151, v151, v151
	s_mov_b32 s13, 0
	v_max_f32_e32 v151, v151, v162
	s_branch .LBB4_2900
.LBB4_2899:                             ;   in Loop: Header=BB4_2570 Depth=4
	s_mov_b32 s13, -1
                                        ; implicit-def: $vgpr151
.LBB4_2900:                             ;   in Loop: Header=BB4_2570 Depth=4
	s_delay_alu instid0(SALU_CYCLE_1)
	s_and_b32 vcc_lo, exec_lo, s13
	s_cbranch_vccz .LBB4_2910
; %bb.2901:                             ;   in Loop: Header=BB4_2570 Depth=4
	v_and_b32_e32 v162, 0xff, v148
	s_mov_b32 s13, 0
	s_mov_b32 s38, exec_lo
                                        ; implicit-def: $sgpr37
	s_delay_alu instid0(VALU_DEP_1)
	v_cmpx_lt_i16_e64 0x7f, v162
	s_xor_b32 s38, exec_lo, s38
	s_cbranch_execnz .LBB4_3216
; %bb.2902:                             ;   in Loop: Header=BB4_2570 Depth=4
	s_or_saveexec_b32 s38, s38
	v_mov_b32_e32 v151, s37
	s_xor_b32 exec_lo, exec_lo, s38
	s_cbranch_execnz .LBB4_3219
.LBB4_2903:                             ;   in Loop: Header=BB4_2570 Depth=4
	s_or_b32 exec_lo, exec_lo, s38
	s_and_saveexec_b32 s37, s13
	s_cbranch_execz .LBB4_2905
.LBB4_2904:                             ;   in Loop: Header=BB4_2570 Depth=4
	v_lshrrev_b16 v167, 3, v148
	s_delay_alu instid0(VALU_DEP_1) | instskip(NEXT) | instid1(VALU_DEP_1)
	v_and_b32_e32 v167, 15, v167
	v_cmp_eq_u32_e32 vcc_lo, 0, v167
	v_and_b32_e32 v151, 7, v148
	s_delay_alu instid0(VALU_DEP_1) | instskip(NEXT) | instid1(VALU_DEP_1)
	v_clz_i32_u32_e32 v162, v151
	v_min_u32_e32 v162, 32, v162
	s_delay_alu instid0(VALU_DEP_1) | instskip(SKIP_1) | instid1(VALU_DEP_1)
	v_subrev_nc_u32_e32 v165, 28, v162
	v_sub_nc_u32_e32 v162, 29, v162
	v_dual_cndmask_b32 v162, v167, v162 :: v_dual_lshlrev_b32 v165, v165, v148
	s_delay_alu instid0(VALU_DEP_1) | instskip(SKIP_1) | instid1(VALU_DEP_3)
	v_and_b32_e32 v165, 7, v165
	v_lshlrev_b32_e32 v148, 24, v148
	v_lshl_add_u32 v162, v162, 23, 0x3b800000
	s_delay_alu instid0(VALU_DEP_2) | instskip(NEXT) | instid1(VALU_DEP_1)
	v_dual_cndmask_b32 v151, v151, v165 :: v_dual_and_b32 v148, 0x80000000, v148
	v_lshlrev_b32_e32 v151, 20, v151
	s_delay_alu instid0(VALU_DEP_1)
	v_or3_b32 v151, v148, v162, v151
.LBB4_2905:                             ;   in Loop: Header=BB4_2570 Depth=4
	s_or_b32 exec_lo, exec_lo, s37
	s_waitcnt vmcnt(4) lgkmcnt(4)
	v_and_b32_e32 v162, 0xff, v147
	s_mov_b32 s13, 0
	s_mov_b32 s38, exec_lo
                                        ; implicit-def: $sgpr37
	s_delay_alu instid0(VALU_DEP_1)
	v_cmpx_lt_i16_e64 0x7f, v162
	s_xor_b32 s38, exec_lo, s38
	s_cbranch_execnz .LBB4_3220
; %bb.2906:                             ;   in Loop: Header=BB4_2570 Depth=4
	s_or_saveexec_b32 s38, s38
	v_mov_b32_e32 v148, s37
	s_xor_b32 exec_lo, exec_lo, s38
	s_cbranch_execnz .LBB4_3223
.LBB4_2907:                             ;   in Loop: Header=BB4_2570 Depth=4
	s_or_b32 exec_lo, exec_lo, s38
	s_and_saveexec_b32 s37, s13
	s_cbranch_execz .LBB4_2909
.LBB4_2908:                             ;   in Loop: Header=BB4_2570 Depth=4
	v_and_b32_e32 v148, 7, v147
	v_lshrrev_b16 v167, 3, v147
	s_delay_alu instid0(VALU_DEP_2) | instskip(NEXT) | instid1(VALU_DEP_2)
	v_clz_i32_u32_e32 v162, v148
	v_and_b32_e32 v167, 15, v167
	s_delay_alu instid0(VALU_DEP_2) | instskip(NEXT) | instid1(VALU_DEP_2)
	v_min_u32_e32 v162, 32, v162
	v_cmp_eq_u32_e32 vcc_lo, 0, v167
	s_delay_alu instid0(VALU_DEP_2) | instskip(SKIP_1) | instid1(VALU_DEP_1)
	v_subrev_nc_u32_e32 v165, 28, v162
	v_sub_nc_u32_e32 v162, 29, v162
	v_dual_cndmask_b32 v162, v167, v162 :: v_dual_lshlrev_b32 v165, v165, v147
	v_lshlrev_b32_e32 v147, 24, v147
	s_delay_alu instid0(VALU_DEP_2) | instskip(NEXT) | instid1(VALU_DEP_3)
	v_and_b32_e32 v165, 7, v165
	v_lshl_add_u32 v162, v162, 23, 0x3b800000
	s_delay_alu instid0(VALU_DEP_2) | instskip(NEXT) | instid1(VALU_DEP_1)
	v_dual_cndmask_b32 v148, v148, v165 :: v_dual_and_b32 v147, 0x80000000, v147
	v_lshlrev_b32_e32 v148, 20, v148
	s_delay_alu instid0(VALU_DEP_1)
	v_or3_b32 v148, v147, v162, v148
.LBB4_2909:                             ;   in Loop: Header=BB4_2570 Depth=4
	s_or_b32 exec_lo, exec_lo, s37
	s_delay_alu instid0(VALU_DEP_1) | instskip(NEXT) | instid1(VALU_DEP_1)
	v_dual_max_f32 v147, v148, v148 :: v_dual_max_f32 v148, v151, v151
	v_min_f32_e32 v151, v148, v147
.LBB4_2910:                             ;   in Loop: Header=BB4_2570 Depth=4
	s_waitcnt vmcnt(4) lgkmcnt(4)
	s_delay_alu instid0(VALU_DEP_1) | instskip(NEXT) | instid1(VALU_DEP_1)
	v_and_b32_e32 v147, 0x7f800000, v151
	v_cmp_ne_u32_e32 vcc_lo, 0x7f800000, v147
	v_mov_b32_e32 v147, 0x80
	s_and_saveexec_b32 s37, vcc_lo
	s_cbranch_execz .LBB4_2918
; %bb.2911:                             ;   in Loop: Header=BB4_2570 Depth=4
	v_mov_b32_e32 v147, 0
	s_mov_b32 s38, exec_lo
	v_cmpx_ne_u32_e32 0, v151
	s_cbranch_execz .LBB4_2917
; %bb.2912:                             ;   in Loop: Header=BB4_2570 Depth=4
	v_bfe_u32 v147, v151, 23, 8
	v_and_b32_e32 v148, 0x7fffff, v151
	s_delay_alu instid0(VALU_DEP_2) | instskip(SKIP_1) | instid1(VALU_DEP_3)
	v_sub_nc_u32_e32 v162, 0x78, v147
	v_cmp_gt_u32_e32 vcc_lo, 0x79, v147
	v_or_b32_e32 v165, 0x800000, v148
	s_delay_alu instid0(VALU_DEP_3) | instskip(SKIP_2) | instid1(VALU_DEP_3)
	v_cndmask_b32_e32 v162, 0, v162, vcc_lo
	v_cmp_eq_u32_e32 vcc_lo, 0, v147
	v_add_nc_u32_e32 v147, 0xffffff89, v147
	v_cndmask_b32_e64 v162, v162, 0x77, vcc_lo
	v_cndmask_b32_e32 v148, v165, v148, vcc_lo
	s_delay_alu instid0(VALU_DEP_3) | instskip(NEXT) | instid1(VALU_DEP_3)
	v_cndmask_b32_e64 v147, v147, 0xffffff8a, vcc_lo
	v_lshl_add_u32 v165, 0x100000, v162, -1
	s_delay_alu instid0(VALU_DEP_3) | instskip(SKIP_1) | instid1(VALU_DEP_4)
	v_lshrrev_b32_e32 v167, v162, v148
	v_lshlrev_b32_e64 v177, v162, 0x80000
	v_add_nc_u32_e32 v162, v162, v147
	s_delay_alu instid0(VALU_DEP_4) | instskip(NEXT) | instid1(VALU_DEP_4)
	v_and_b32_e32 v148, v165, v148
	v_bfe_u32 v176, v167, 20, 1
	s_delay_alu instid0(VALU_DEP_2) | instskip(NEXT) | instid1(VALU_DEP_2)
	v_cmp_eq_u32_e64 s13, v148, v177
	v_add_nc_u32_e32 v165, -1, v176
	s_delay_alu instid0(VALU_DEP_1) | instskip(SKIP_2) | instid1(VALU_DEP_2)
	v_cndmask_b32_e64 v148, 0, v165, s13
	v_lshrrev_b32_e32 v165, 23, v167
	s_mov_b32 s13, exec_lo
	v_add_nc_u32_e32 v148, v148, v167
	s_delay_alu instid0(VALU_DEP_2) | instskip(NEXT) | instid1(VALU_DEP_2)
	v_xor_b32_e32 v165, 1, v165
	v_and_b32_e32 v147, 0xfffff, v148
	s_delay_alu instid0(VALU_DEP_1) | instskip(NEXT) | instid1(VALU_DEP_3)
	v_add_nc_u32_e32 v148, v147, v167
                                        ; implicit-def: $vgpr147
	v_cmpx_ne_u32_e64 v162, v165
	s_xor_b32 s13, exec_lo, s13
; %bb.2913:                             ;   in Loop: Header=BB4_2570 Depth=4
	s_delay_alu instid0(VALU_DEP_2) | instskip(SKIP_2) | instid1(VALU_DEP_2)
	v_cmp_lt_u32_e32 vcc_lo, 0xffffff, v148
	v_sub_nc_u32_e32 v147, v162, v165
	v_cndmask_b32_e64 v162, 0, 1, vcc_lo
	v_add_co_ci_u32_e32 v147, vcc_lo, 0, v147, vcc_lo
	s_delay_alu instid0(VALU_DEP_2)
	v_lshrrev_b32_e32 v148, v162, v148
; %bb.2914:                             ;   in Loop: Header=BB4_2570 Depth=4
	s_and_not1_saveexec_b32 s13, s13
; %bb.2915:                             ;   in Loop: Header=BB4_2570 Depth=4
	s_delay_alu instid0(VALU_DEP_1)
	v_bfe_u32 v147, v148, 23, 1
; %bb.2916:                             ;   in Loop: Header=BB4_2570 Depth=4
	s_or_b32 exec_lo, exec_lo, s13
	v_lshrrev_b32_e32 v148, 20, v148
	s_delay_alu instid0(VALU_DEP_2) | instskip(SKIP_2) | instid1(VALU_DEP_2)
	v_cmp_gt_i32_e32 vcc_lo, 16, v147
	v_lshrrev_b32_e32 v151, 24, v151
	v_min_i32_e32 v162, 15, v147
	v_dual_cndmask_b32 v148, 7, v148 :: v_dual_and_b32 v151, 0x80, v151
	s_delay_alu instid0(VALU_DEP_1) | instskip(SKIP_1) | instid1(VALU_DEP_2)
	v_or_b32_e32 v147, v147, v148
	v_and_b32_e32 v165, 7, v148
	v_cmp_ne_u32_e32 vcc_lo, 0, v147
	v_lshlrev_b32_e32 v162, 3, v162
	s_delay_alu instid0(VALU_DEP_1) | instskip(NEXT) | instid1(VALU_DEP_1)
	v_or3_b32 v148, v162, v151, v165
	v_cndmask_b32_e32 v147, 0, v148, vcc_lo
.LBB4_2917:                             ;   in Loop: Header=BB4_2570 Depth=4
	s_or_b32 exec_lo, exec_lo, s38
.LBB4_2918:                             ;   in Loop: Header=BB4_2570 Depth=4
	s_delay_alu instid0(SALU_CYCLE_1) | instskip(NEXT) | instid1(SALU_CYCLE_1)
	s_or_b32 exec_lo, exec_lo, s37
	s_and_not1_b32 vcc_lo, exec_lo, s35
	s_cbranch_vccnz .LBB4_2928
; %bb.2919:                             ;   in Loop: Header=BB4_2570 Depth=4
	v_and_b32_e32 v151, 0xff, v84
	s_mov_b32 s13, 0
	s_mov_b32 s38, exec_lo
                                        ; implicit-def: $sgpr37
	s_delay_alu instid0(VALU_DEP_1)
	v_cmpx_lt_i16_e64 0x7f, v151
	s_xor_b32 s38, exec_lo, s38
	s_cbranch_execnz .LBB4_3224
; %bb.2920:                             ;   in Loop: Header=BB4_2570 Depth=4
	s_or_saveexec_b32 s38, s38
	v_mov_b32_e32 v148, s37
	s_xor_b32 exec_lo, exec_lo, s38
	s_cbranch_execnz .LBB4_3227
.LBB4_2921:                             ;   in Loop: Header=BB4_2570 Depth=4
	s_or_b32 exec_lo, exec_lo, s38
	s_and_saveexec_b32 s37, s13
	s_cbranch_execz .LBB4_2923
.LBB4_2922:                             ;   in Loop: Header=BB4_2570 Depth=4
	v_lshrrev_b16 v165, 3, v84
	v_lshlrev_b32_e32 v167, 24, v84
	s_delay_alu instid0(VALU_DEP_2) | instskip(NEXT) | instid1(VALU_DEP_1)
	v_and_b32_e32 v165, 15, v165
	v_cmp_eq_u32_e32 vcc_lo, 0, v165
	v_and_b32_e32 v148, 7, v84
	s_delay_alu instid0(VALU_DEP_1) | instskip(NEXT) | instid1(VALU_DEP_1)
	v_clz_i32_u32_e32 v151, v148
	v_min_u32_e32 v151, 32, v151
	s_delay_alu instid0(VALU_DEP_1) | instskip(SKIP_1) | instid1(VALU_DEP_1)
	v_subrev_nc_u32_e32 v162, 28, v151
	v_sub_nc_u32_e32 v151, 29, v151
	v_dual_cndmask_b32 v151, v165, v151 :: v_dual_lshlrev_b32 v162, v162, v84
	s_delay_alu instid0(VALU_DEP_1) | instskip(NEXT) | instid1(VALU_DEP_2)
	v_and_b32_e32 v162, 7, v162
	v_lshl_add_u32 v151, v151, 23, 0x3b800000
	s_delay_alu instid0(VALU_DEP_2) | instskip(SKIP_1) | instid1(VALU_DEP_2)
	v_cndmask_b32_e32 v148, v148, v162, vcc_lo
	v_and_b32_e32 v162, 0x80000000, v167
	v_lshlrev_b32_e32 v148, 20, v148
	s_delay_alu instid0(VALU_DEP_1)
	v_or3_b32 v148, v162, v151, v148
.LBB4_2923:                             ;   in Loop: Header=BB4_2570 Depth=4
	s_or_b32 exec_lo, exec_lo, s37
	s_waitcnt vmcnt(3) lgkmcnt(3)
	v_and_b32_e32 v162, 0xff, v83
	s_mov_b32 s13, 0
	s_mov_b32 s38, exec_lo
                                        ; implicit-def: $sgpr37
	s_delay_alu instid0(VALU_DEP_1)
	v_cmpx_lt_i16_e64 0x7f, v162
	s_xor_b32 s38, exec_lo, s38
	s_cbranch_execnz .LBB4_3228
; %bb.2924:                             ;   in Loop: Header=BB4_2570 Depth=4
	s_or_saveexec_b32 s38, s38
	v_mov_b32_e32 v151, s37
	s_xor_b32 exec_lo, exec_lo, s38
	s_cbranch_execnz .LBB4_3231
.LBB4_2925:                             ;   in Loop: Header=BB4_2570 Depth=4
	s_or_b32 exec_lo, exec_lo, s38
	s_and_saveexec_b32 s37, s13
	s_cbranch_execz .LBB4_2927
.LBB4_2926:                             ;   in Loop: Header=BB4_2570 Depth=4
	v_lshrrev_b16 v167, 3, v83
	s_delay_alu instid0(VALU_DEP_1) | instskip(NEXT) | instid1(VALU_DEP_1)
	v_and_b32_e32 v167, 15, v167
	v_cmp_eq_u32_e32 vcc_lo, 0, v167
	v_and_b32_e32 v151, 7, v83
	s_delay_alu instid0(VALU_DEP_1) | instskip(NEXT) | instid1(VALU_DEP_1)
	v_clz_i32_u32_e32 v162, v151
	v_min_u32_e32 v162, 32, v162
	s_delay_alu instid0(VALU_DEP_1) | instskip(SKIP_1) | instid1(VALU_DEP_1)
	v_subrev_nc_u32_e32 v165, 28, v162
	v_sub_nc_u32_e32 v162, 29, v162
	v_dual_cndmask_b32 v162, v167, v162 :: v_dual_lshlrev_b32 v165, v165, v83
	s_delay_alu instid0(VALU_DEP_1) | instskip(SKIP_1) | instid1(VALU_DEP_3)
	v_and_b32_e32 v165, 7, v165
	v_lshlrev_b32_e32 v176, 24, v83
	v_lshl_add_u32 v162, v162, 23, 0x3b800000
	s_delay_alu instid0(VALU_DEP_3) | instskip(NEXT) | instid1(VALU_DEP_3)
	v_cndmask_b32_e32 v151, v151, v165, vcc_lo
	v_and_b32_e32 v165, 0x80000000, v176
	s_delay_alu instid0(VALU_DEP_2) | instskip(NEXT) | instid1(VALU_DEP_1)
	v_lshlrev_b32_e32 v151, 20, v151
	v_or3_b32 v151, v165, v162, v151
.LBB4_2927:                             ;   in Loop: Header=BB4_2570 Depth=4
	s_or_b32 exec_lo, exec_lo, s37
	s_delay_alu instid0(VALU_DEP_1) | instskip(SKIP_1) | instid1(VALU_DEP_1)
	v_dual_max_f32 v151, v151, v151 :: v_dual_max_f32 v148, v148, v148
	s_mov_b32 s13, 0
	v_max_f32_e32 v148, v148, v151
	s_branch .LBB4_2929
.LBB4_2928:                             ;   in Loop: Header=BB4_2570 Depth=4
	s_mov_b32 s13, -1
                                        ; implicit-def: $vgpr148
.LBB4_2929:                             ;   in Loop: Header=BB4_2570 Depth=4
	s_delay_alu instid0(SALU_CYCLE_1)
	s_and_b32 vcc_lo, exec_lo, s13
	s_cbranch_vccz .LBB4_2939
; %bb.2930:                             ;   in Loop: Header=BB4_2570 Depth=4
	v_and_b32_e32 v151, 0xff, v84
	s_mov_b32 s13, 0
	s_mov_b32 s38, exec_lo
                                        ; implicit-def: $sgpr37
	s_delay_alu instid0(VALU_DEP_1)
	v_cmpx_lt_i16_e64 0x7f, v151
	s_xor_b32 s38, exec_lo, s38
	s_cbranch_execnz .LBB4_3232
; %bb.2931:                             ;   in Loop: Header=BB4_2570 Depth=4
	s_or_saveexec_b32 s38, s38
	v_mov_b32_e32 v148, s37
	s_xor_b32 exec_lo, exec_lo, s38
	s_cbranch_execnz .LBB4_3235
.LBB4_2932:                             ;   in Loop: Header=BB4_2570 Depth=4
	s_or_b32 exec_lo, exec_lo, s38
	s_and_saveexec_b32 s37, s13
	s_cbranch_execz .LBB4_2934
.LBB4_2933:                             ;   in Loop: Header=BB4_2570 Depth=4
	v_lshrrev_b16 v165, 3, v84
	s_delay_alu instid0(VALU_DEP_1) | instskip(NEXT) | instid1(VALU_DEP_1)
	v_and_b32_e32 v165, 15, v165
	v_cmp_eq_u32_e32 vcc_lo, 0, v165
	v_and_b32_e32 v148, 7, v84
	s_delay_alu instid0(VALU_DEP_1) | instskip(NEXT) | instid1(VALU_DEP_1)
	v_clz_i32_u32_e32 v151, v148
	v_min_u32_e32 v151, 32, v151
	s_delay_alu instid0(VALU_DEP_1) | instskip(SKIP_1) | instid1(VALU_DEP_1)
	v_subrev_nc_u32_e32 v162, 28, v151
	v_sub_nc_u32_e32 v151, 29, v151
	v_dual_cndmask_b32 v151, v165, v151 :: v_dual_lshlrev_b32 v162, v162, v84
	v_lshlrev_b32_e32 v84, 24, v84
	s_delay_alu instid0(VALU_DEP_2) | instskip(NEXT) | instid1(VALU_DEP_3)
	v_and_b32_e32 v162, 7, v162
	v_lshl_add_u32 v151, v151, 23, 0x3b800000
	s_delay_alu instid0(VALU_DEP_3) | instskip(NEXT) | instid1(VALU_DEP_3)
	v_and_b32_e32 v84, 0x80000000, v84
	v_cndmask_b32_e32 v148, v148, v162, vcc_lo
	s_delay_alu instid0(VALU_DEP_1) | instskip(NEXT) | instid1(VALU_DEP_1)
	v_lshlrev_b32_e32 v148, 20, v148
	v_or3_b32 v148, v84, v151, v148
.LBB4_2934:                             ;   in Loop: Header=BB4_2570 Depth=4
	s_or_b32 exec_lo, exec_lo, s37
	s_waitcnt vmcnt(3) lgkmcnt(3)
	v_and_b32_e32 v151, 0xff, v83
	s_mov_b32 s13, 0
	s_mov_b32 s38, exec_lo
                                        ; implicit-def: $sgpr37
	s_delay_alu instid0(VALU_DEP_1)
	v_cmpx_lt_i16_e64 0x7f, v151
	s_xor_b32 s38, exec_lo, s38
	s_cbranch_execnz .LBB4_3236
; %bb.2935:                             ;   in Loop: Header=BB4_2570 Depth=4
	s_or_saveexec_b32 s38, s38
	v_mov_b32_e32 v84, s37
	s_xor_b32 exec_lo, exec_lo, s38
	s_cbranch_execnz .LBB4_3239
.LBB4_2936:                             ;   in Loop: Header=BB4_2570 Depth=4
	s_or_b32 exec_lo, exec_lo, s38
	s_and_saveexec_b32 s37, s13
	s_cbranch_execz .LBB4_2938
.LBB4_2937:                             ;   in Loop: Header=BB4_2570 Depth=4
	v_and_b32_e32 v84, 7, v83
	v_lshrrev_b16 v165, 3, v83
	s_delay_alu instid0(VALU_DEP_2) | instskip(NEXT) | instid1(VALU_DEP_1)
	v_clz_i32_u32_e32 v151, v84
	v_min_u32_e32 v151, 32, v151
	s_delay_alu instid0(VALU_DEP_1) | instskip(SKIP_1) | instid1(VALU_DEP_2)
	v_subrev_nc_u32_e32 v162, 28, v151
	v_sub_nc_u32_e32 v151, 29, v151
	v_lshlrev_b32_e32 v162, v162, v83
	v_lshlrev_b32_e32 v83, 24, v83
	s_delay_alu instid0(VALU_DEP_2) | instskip(SKIP_1) | instid1(VALU_DEP_3)
	v_and_b32_e32 v162, 7, v162
	v_and_b32_e32 v165, 15, v165
	;; [unrolled: 1-line block ×3, first 2 shown]
	s_delay_alu instid0(VALU_DEP_2) | instskip(NEXT) | instid1(VALU_DEP_4)
	v_cmp_eq_u32_e32 vcc_lo, 0, v165
	v_dual_cndmask_b32 v84, v84, v162 :: v_dual_cndmask_b32 v151, v165, v151
	s_delay_alu instid0(VALU_DEP_1) | instskip(NEXT) | instid1(VALU_DEP_2)
	v_lshlrev_b32_e32 v84, 20, v84
	v_lshl_add_u32 v151, v151, 23, 0x3b800000
	s_delay_alu instid0(VALU_DEP_1)
	v_or3_b32 v84, v83, v151, v84
.LBB4_2938:                             ;   in Loop: Header=BB4_2570 Depth=4
	s_or_b32 exec_lo, exec_lo, s37
	s_delay_alu instid0(VALU_DEP_1) | instskip(SKIP_1) | instid1(VALU_DEP_1)
	v_max_f32_e32 v83, v84, v84
	v_max_f32_e32 v84, v148, v148
	v_min_f32_e32 v148, v84, v83
.LBB4_2939:                             ;   in Loop: Header=BB4_2570 Depth=4
	s_waitcnt vmcnt(3) lgkmcnt(3)
	s_delay_alu instid0(VALU_DEP_1) | instskip(NEXT) | instid1(VALU_DEP_1)
	v_and_b32_e32 v83, 0x7f800000, v148
	v_cmp_ne_u32_e32 vcc_lo, 0x7f800000, v83
	v_mov_b32_e32 v83, 0x80
	s_and_saveexec_b32 s37, vcc_lo
	s_cbranch_execz .LBB4_2947
; %bb.2940:                             ;   in Loop: Header=BB4_2570 Depth=4
	v_mov_b32_e32 v83, 0
	s_mov_b32 s38, exec_lo
	v_cmpx_ne_u32_e32 0, v148
	s_cbranch_execz .LBB4_2946
; %bb.2941:                             ;   in Loop: Header=BB4_2570 Depth=4
	v_bfe_u32 v83, v148, 23, 8
	s_delay_alu instid0(VALU_DEP_1) | instskip(SKIP_1) | instid1(VALU_DEP_2)
	v_sub_nc_u32_e32 v151, 0x78, v83
	v_cmp_gt_u32_e32 vcc_lo, 0x79, v83
	v_dual_cndmask_b32 v151, 0, v151 :: v_dual_and_b32 v84, 0x7fffff, v148
	s_delay_alu instid0(VALU_DEP_1) | instskip(SKIP_2) | instid1(VALU_DEP_4)
	v_or_b32_e32 v162, 0x800000, v84
	v_cmp_eq_u32_e32 vcc_lo, 0, v83
	v_add_nc_u32_e32 v83, 0xffffff89, v83
	v_cndmask_b32_e64 v151, v151, 0x77, vcc_lo
	s_delay_alu instid0(VALU_DEP_4) | instskip(NEXT) | instid1(VALU_DEP_3)
	v_cndmask_b32_e32 v84, v162, v84, vcc_lo
	v_cndmask_b32_e64 v83, v83, 0xffffff8a, vcc_lo
	s_delay_alu instid0(VALU_DEP_3) | instskip(NEXT) | instid1(VALU_DEP_3)
	v_lshl_add_u32 v162, 0x100000, v151, -1
	v_lshrrev_b32_e32 v165, v151, v84
	v_lshlrev_b32_e64 v176, v151, 0x80000
	s_delay_alu instid0(VALU_DEP_4) | instskip(NEXT) | instid1(VALU_DEP_4)
	v_add_nc_u32_e32 v151, v151, v83
	v_and_b32_e32 v84, v162, v84
	s_delay_alu instid0(VALU_DEP_4) | instskip(NEXT) | instid1(VALU_DEP_2)
	v_bfe_u32 v167, v165, 20, 1
	v_cmp_eq_u32_e64 s13, v84, v176
	s_delay_alu instid0(VALU_DEP_2) | instskip(NEXT) | instid1(VALU_DEP_1)
	v_add_nc_u32_e32 v162, -1, v167
	v_cndmask_b32_e64 v84, 0, v162, s13
	v_lshrrev_b32_e32 v162, 23, v165
	s_mov_b32 s13, exec_lo
	s_delay_alu instid0(VALU_DEP_2) | instskip(NEXT) | instid1(VALU_DEP_2)
	v_add_nc_u32_e32 v84, v84, v165
	v_xor_b32_e32 v162, 1, v162
	s_delay_alu instid0(VALU_DEP_2) | instskip(NEXT) | instid1(VALU_DEP_1)
	v_and_b32_e32 v83, 0xfffff, v84
	v_add_nc_u32_e32 v84, v83, v165
                                        ; implicit-def: $vgpr83
	s_delay_alu instid0(VALU_DEP_3)
	v_cmpx_ne_u32_e64 v151, v162
	s_xor_b32 s13, exec_lo, s13
; %bb.2942:                             ;   in Loop: Header=BB4_2570 Depth=4
	s_delay_alu instid0(VALU_DEP_2) | instskip(SKIP_2) | instid1(VALU_DEP_2)
	v_cmp_lt_u32_e32 vcc_lo, 0xffffff, v84
	v_sub_nc_u32_e32 v83, v151, v162
	v_cndmask_b32_e64 v151, 0, 1, vcc_lo
	v_add_co_ci_u32_e32 v83, vcc_lo, 0, v83, vcc_lo
	s_delay_alu instid0(VALU_DEP_2)
	v_lshrrev_b32_e32 v84, v151, v84
; %bb.2943:                             ;   in Loop: Header=BB4_2570 Depth=4
	s_and_not1_saveexec_b32 s13, s13
; %bb.2944:                             ;   in Loop: Header=BB4_2570 Depth=4
	s_delay_alu instid0(VALU_DEP_1)
	v_bfe_u32 v83, v84, 23, 1
; %bb.2945:                             ;   in Loop: Header=BB4_2570 Depth=4
	s_or_b32 exec_lo, exec_lo, s13
	v_lshrrev_b32_e32 v84, 20, v84
	s_delay_alu instid0(VALU_DEP_2) | instskip(SKIP_2) | instid1(VALU_DEP_4)
	v_cmp_gt_i32_e32 vcc_lo, 16, v83
	v_lshrrev_b32_e32 v148, 24, v148
	v_min_i32_e32 v151, 15, v83
	v_cndmask_b32_e32 v84, 7, v84, vcc_lo
	s_delay_alu instid0(VALU_DEP_3) | instskip(NEXT) | instid1(VALU_DEP_3)
	v_and_b32_e32 v148, 0x80, v148
	v_lshlrev_b32_e32 v151, 3, v151
	s_delay_alu instid0(VALU_DEP_3) | instskip(SKIP_1) | instid1(VALU_DEP_2)
	v_and_b32_e32 v162, 7, v84
	v_or_b32_e32 v83, v83, v84
	v_or3_b32 v84, v151, v148, v162
	s_delay_alu instid0(VALU_DEP_2) | instskip(NEXT) | instid1(VALU_DEP_2)
	v_cmp_ne_u32_e32 vcc_lo, 0, v83
	v_cndmask_b32_e32 v83, 0, v84, vcc_lo
.LBB4_2946:                             ;   in Loop: Header=BB4_2570 Depth=4
	s_or_b32 exec_lo, exec_lo, s38
.LBB4_2947:                             ;   in Loop: Header=BB4_2570 Depth=4
	s_delay_alu instid0(SALU_CYCLE_1) | instskip(NEXT) | instid1(SALU_CYCLE_1)
	s_or_b32 exec_lo, exec_lo, s37
	s_and_not1_b32 vcc_lo, exec_lo, s35
	s_cbranch_vccnz .LBB4_2957
; %bb.2948:                             ;   in Loop: Header=BB4_2570 Depth=4
	v_and_b32_e32 v148, 0xff, v81
	s_mov_b32 s13, 0
	s_mov_b32 s38, exec_lo
                                        ; implicit-def: $sgpr37
	s_delay_alu instid0(VALU_DEP_1)
	v_cmpx_lt_i16_e64 0x7f, v148
	s_xor_b32 s38, exec_lo, s38
	s_cbranch_execnz .LBB4_3240
; %bb.2949:                             ;   in Loop: Header=BB4_2570 Depth=4
	s_or_saveexec_b32 s38, s38
	v_mov_b32_e32 v84, s37
	s_xor_b32 exec_lo, exec_lo, s38
	s_cbranch_execnz .LBB4_3243
.LBB4_2950:                             ;   in Loop: Header=BB4_2570 Depth=4
	s_or_b32 exec_lo, exec_lo, s38
	s_and_saveexec_b32 s37, s13
	s_cbranch_execz .LBB4_2952
.LBB4_2951:                             ;   in Loop: Header=BB4_2570 Depth=4
	v_and_b32_e32 v84, 7, v81
	v_lshrrev_b16 v162, 3, v81
	s_delay_alu instid0(VALU_DEP_2) | instskip(NEXT) | instid1(VALU_DEP_2)
	v_clz_i32_u32_e32 v148, v84
	v_and_b32_e32 v162, 15, v162
	s_delay_alu instid0(VALU_DEP_2) | instskip(NEXT) | instid1(VALU_DEP_2)
	v_min_u32_e32 v148, 32, v148
	v_cmp_eq_u32_e32 vcc_lo, 0, v162
	s_delay_alu instid0(VALU_DEP_2) | instskip(SKIP_1) | instid1(VALU_DEP_1)
	v_subrev_nc_u32_e32 v151, 28, v148
	v_sub_nc_u32_e32 v148, 29, v148
	v_dual_cndmask_b32 v148, v162, v148 :: v_dual_lshlrev_b32 v151, v151, v81
	s_delay_alu instid0(VALU_DEP_1) | instskip(SKIP_1) | instid1(VALU_DEP_3)
	v_and_b32_e32 v151, 7, v151
	v_lshlrev_b32_e32 v165, 24, v81
	v_lshl_add_u32 v148, v148, 23, 0x3b800000
	s_delay_alu instid0(VALU_DEP_2) | instskip(NEXT) | instid1(VALU_DEP_1)
	v_dual_cndmask_b32 v84, v84, v151 :: v_dual_and_b32 v151, 0x80000000, v165
	v_lshlrev_b32_e32 v84, 20, v84
	s_delay_alu instid0(VALU_DEP_1)
	v_or3_b32 v84, v151, v148, v84
.LBB4_2952:                             ;   in Loop: Header=BB4_2570 Depth=4
	s_or_b32 exec_lo, exec_lo, s37
	s_waitcnt vmcnt(2) lgkmcnt(2)
	v_and_b32_e32 v151, 0xff, v80
	s_mov_b32 s13, 0
	s_mov_b32 s38, exec_lo
                                        ; implicit-def: $sgpr37
	s_delay_alu instid0(VALU_DEP_1)
	v_cmpx_lt_i16_e64 0x7f, v151
	s_xor_b32 s38, exec_lo, s38
	s_cbranch_execnz .LBB4_3244
; %bb.2953:                             ;   in Loop: Header=BB4_2570 Depth=4
	s_or_saveexec_b32 s38, s38
	v_mov_b32_e32 v148, s37
	s_xor_b32 exec_lo, exec_lo, s38
	s_cbranch_execnz .LBB4_3247
.LBB4_2954:                             ;   in Loop: Header=BB4_2570 Depth=4
	s_or_b32 exec_lo, exec_lo, s38
	s_and_saveexec_b32 s37, s13
	s_cbranch_execz .LBB4_2956
.LBB4_2955:                             ;   in Loop: Header=BB4_2570 Depth=4
	v_lshrrev_b16 v165, 3, v80
	v_lshlrev_b32_e32 v167, 24, v80
	s_delay_alu instid0(VALU_DEP_2) | instskip(NEXT) | instid1(VALU_DEP_1)
	v_and_b32_e32 v165, 15, v165
	v_cmp_eq_u32_e32 vcc_lo, 0, v165
	v_and_b32_e32 v148, 7, v80
	s_delay_alu instid0(VALU_DEP_1) | instskip(NEXT) | instid1(VALU_DEP_1)
	v_clz_i32_u32_e32 v151, v148
	v_min_u32_e32 v151, 32, v151
	s_delay_alu instid0(VALU_DEP_1) | instskip(SKIP_1) | instid1(VALU_DEP_1)
	v_subrev_nc_u32_e32 v162, 28, v151
	v_sub_nc_u32_e32 v151, 29, v151
	v_dual_cndmask_b32 v151, v165, v151 :: v_dual_lshlrev_b32 v162, v162, v80
	s_delay_alu instid0(VALU_DEP_1) | instskip(NEXT) | instid1(VALU_DEP_2)
	v_and_b32_e32 v162, 7, v162
	v_lshl_add_u32 v151, v151, 23, 0x3b800000
	s_delay_alu instid0(VALU_DEP_2) | instskip(SKIP_1) | instid1(VALU_DEP_2)
	v_cndmask_b32_e32 v148, v148, v162, vcc_lo
	v_and_b32_e32 v162, 0x80000000, v167
	v_lshlrev_b32_e32 v148, 20, v148
	s_delay_alu instid0(VALU_DEP_1)
	v_or3_b32 v148, v162, v151, v148
.LBB4_2956:                             ;   in Loop: Header=BB4_2570 Depth=4
	s_or_b32 exec_lo, exec_lo, s37
	s_delay_alu instid0(VALU_DEP_1) | instskip(SKIP_2) | instid1(VALU_DEP_1)
	v_max_f32_e32 v148, v148, v148
	v_max_f32_e32 v84, v84, v84
	s_mov_b32 s13, 0
	v_max_f32_e32 v84, v84, v148
	s_branch .LBB4_2958
.LBB4_2957:                             ;   in Loop: Header=BB4_2570 Depth=4
	s_mov_b32 s13, -1
                                        ; implicit-def: $vgpr84
.LBB4_2958:                             ;   in Loop: Header=BB4_2570 Depth=4
	s_delay_alu instid0(SALU_CYCLE_1)
	s_and_b32 vcc_lo, exec_lo, s13
	s_cbranch_vccz .LBB4_2968
; %bb.2959:                             ;   in Loop: Header=BB4_2570 Depth=4
	v_and_b32_e32 v148, 0xff, v81
	s_mov_b32 s13, 0
	s_mov_b32 s38, exec_lo
                                        ; implicit-def: $sgpr37
	s_delay_alu instid0(VALU_DEP_1)
	v_cmpx_lt_i16_e64 0x7f, v148
	s_xor_b32 s38, exec_lo, s38
	s_cbranch_execnz .LBB4_3248
; %bb.2960:                             ;   in Loop: Header=BB4_2570 Depth=4
	s_or_saveexec_b32 s38, s38
	v_mov_b32_e32 v84, s37
	s_xor_b32 exec_lo, exec_lo, s38
	s_cbranch_execnz .LBB4_3251
.LBB4_2961:                             ;   in Loop: Header=BB4_2570 Depth=4
	s_or_b32 exec_lo, exec_lo, s38
	s_and_saveexec_b32 s37, s13
	s_cbranch_execz .LBB4_2963
.LBB4_2962:                             ;   in Loop: Header=BB4_2570 Depth=4
	v_and_b32_e32 v84, 7, v81
	v_lshrrev_b16 v162, 3, v81
	s_delay_alu instid0(VALU_DEP_2) | instskip(NEXT) | instid1(VALU_DEP_2)
	v_clz_i32_u32_e32 v148, v84
	v_and_b32_e32 v162, 15, v162
	s_delay_alu instid0(VALU_DEP_2) | instskip(NEXT) | instid1(VALU_DEP_2)
	v_min_u32_e32 v148, 32, v148
	v_cmp_eq_u32_e32 vcc_lo, 0, v162
	s_delay_alu instid0(VALU_DEP_2) | instskip(SKIP_1) | instid1(VALU_DEP_1)
	v_subrev_nc_u32_e32 v151, 28, v148
	v_sub_nc_u32_e32 v148, 29, v148
	v_dual_cndmask_b32 v148, v162, v148 :: v_dual_lshlrev_b32 v151, v151, v81
	s_delay_alu instid0(VALU_DEP_1) | instskip(SKIP_1) | instid1(VALU_DEP_3)
	v_and_b32_e32 v151, 7, v151
	v_lshlrev_b32_e32 v81, 24, v81
	v_lshl_add_u32 v148, v148, 23, 0x3b800000
	s_delay_alu instid0(VALU_DEP_2) | instskip(NEXT) | instid1(VALU_DEP_1)
	v_dual_cndmask_b32 v84, v84, v151 :: v_dual_and_b32 v81, 0x80000000, v81
	v_lshlrev_b32_e32 v84, 20, v84
	s_delay_alu instid0(VALU_DEP_1)
	v_or3_b32 v84, v81, v148, v84
.LBB4_2963:                             ;   in Loop: Header=BB4_2570 Depth=4
	s_or_b32 exec_lo, exec_lo, s37
	s_waitcnt vmcnt(2) lgkmcnt(2)
	v_and_b32_e32 v148, 0xff, v80
	s_mov_b32 s13, 0
	s_mov_b32 s38, exec_lo
                                        ; implicit-def: $sgpr37
	s_delay_alu instid0(VALU_DEP_1)
	v_cmpx_lt_i16_e64 0x7f, v148
	s_xor_b32 s38, exec_lo, s38
	s_cbranch_execnz .LBB4_3252
; %bb.2964:                             ;   in Loop: Header=BB4_2570 Depth=4
	s_or_saveexec_b32 s38, s38
	v_mov_b32_e32 v81, s37
	s_xor_b32 exec_lo, exec_lo, s38
	s_cbranch_execnz .LBB4_3255
.LBB4_2965:                             ;   in Loop: Header=BB4_2570 Depth=4
	s_or_b32 exec_lo, exec_lo, s38
	s_and_saveexec_b32 s37, s13
	s_cbranch_execz .LBB4_2967
.LBB4_2966:                             ;   in Loop: Header=BB4_2570 Depth=4
	v_and_b32_e32 v81, 7, v80
	v_lshrrev_b16 v162, 3, v80
	s_delay_alu instid0(VALU_DEP_2) | instskip(NEXT) | instid1(VALU_DEP_1)
	v_clz_i32_u32_e32 v148, v81
	v_min_u32_e32 v148, 32, v148
	s_delay_alu instid0(VALU_DEP_1) | instskip(SKIP_1) | instid1(VALU_DEP_2)
	v_subrev_nc_u32_e32 v151, 28, v148
	v_sub_nc_u32_e32 v148, 29, v148
	v_lshlrev_b32_e32 v151, v151, v80
	v_lshlrev_b32_e32 v80, 24, v80
	s_delay_alu instid0(VALU_DEP_2) | instskip(SKIP_1) | instid1(VALU_DEP_3)
	v_and_b32_e32 v151, 7, v151
	v_and_b32_e32 v162, 15, v162
	;; [unrolled: 1-line block ×3, first 2 shown]
	s_delay_alu instid0(VALU_DEP_2) | instskip(NEXT) | instid1(VALU_DEP_4)
	v_cmp_eq_u32_e32 vcc_lo, 0, v162
	v_dual_cndmask_b32 v81, v81, v151 :: v_dual_cndmask_b32 v148, v162, v148
	s_delay_alu instid0(VALU_DEP_1) | instskip(NEXT) | instid1(VALU_DEP_2)
	v_lshlrev_b32_e32 v81, 20, v81
	v_lshl_add_u32 v148, v148, 23, 0x3b800000
	s_delay_alu instid0(VALU_DEP_1)
	v_or3_b32 v81, v80, v148, v81
.LBB4_2967:                             ;   in Loop: Header=BB4_2570 Depth=4
	s_or_b32 exec_lo, exec_lo, s37
	s_delay_alu instid0(VALU_DEP_1) | instskip(NEXT) | instid1(VALU_DEP_1)
	v_dual_max_f32 v80, v81, v81 :: v_dual_max_f32 v81, v84, v84
	v_min_f32_e32 v84, v81, v80
.LBB4_2968:                             ;   in Loop: Header=BB4_2570 Depth=4
	s_waitcnt vmcnt(2) lgkmcnt(2)
	s_delay_alu instid0(VALU_DEP_1) | instskip(NEXT) | instid1(VALU_DEP_1)
	v_and_b32_e32 v80, 0x7f800000, v84
	v_cmp_ne_u32_e32 vcc_lo, 0x7f800000, v80
	v_mov_b32_e32 v80, 0x80
	s_and_saveexec_b32 s37, vcc_lo
	s_cbranch_execz .LBB4_2976
; %bb.2969:                             ;   in Loop: Header=BB4_2570 Depth=4
	v_mov_b32_e32 v80, 0
	s_mov_b32 s38, exec_lo
	v_cmpx_ne_u32_e32 0, v84
	s_cbranch_execz .LBB4_2975
; %bb.2970:                             ;   in Loop: Header=BB4_2570 Depth=4
	v_bfe_u32 v80, v84, 23, 8
	v_and_b32_e32 v81, 0x7fffff, v84
	s_delay_alu instid0(VALU_DEP_2) | instskip(SKIP_1) | instid1(VALU_DEP_3)
	v_sub_nc_u32_e32 v148, 0x78, v80
	v_cmp_gt_u32_e32 vcc_lo, 0x79, v80
	v_or_b32_e32 v151, 0x800000, v81
	s_delay_alu instid0(VALU_DEP_3) | instskip(SKIP_1) | instid1(VALU_DEP_3)
	v_cndmask_b32_e32 v148, 0, v148, vcc_lo
	v_cmp_eq_u32_e32 vcc_lo, 0, v80
	v_dual_cndmask_b32 v81, v151, v81 :: v_dual_add_nc_u32 v80, 0xffffff89, v80
	s_delay_alu instid0(VALU_DEP_3) | instskip(NEXT) | instid1(VALU_DEP_2)
	v_cndmask_b32_e64 v148, v148, 0x77, vcc_lo
	v_cndmask_b32_e64 v80, v80, 0xffffff8a, vcc_lo
	s_delay_alu instid0(VALU_DEP_2) | instskip(SKIP_2) | instid1(VALU_DEP_4)
	v_lshrrev_b32_e32 v162, v148, v81
	v_lshl_add_u32 v151, 0x100000, v148, -1
	v_lshlrev_b32_e64 v167, v148, 0x80000
	v_add_nc_u32_e32 v148, v148, v80
	s_delay_alu instid0(VALU_DEP_4) | instskip(NEXT) | instid1(VALU_DEP_4)
	v_bfe_u32 v165, v162, 20, 1
	v_and_b32_e32 v81, v151, v81
	s_delay_alu instid0(VALU_DEP_2) | instskip(NEXT) | instid1(VALU_DEP_2)
	v_add_nc_u32_e32 v151, -1, v165
	v_cmp_eq_u32_e64 s13, v81, v167
	s_delay_alu instid0(VALU_DEP_1) | instskip(SKIP_2) | instid1(VALU_DEP_2)
	v_cndmask_b32_e64 v81, 0, v151, s13
	v_lshrrev_b32_e32 v151, 23, v162
	s_mov_b32 s13, exec_lo
	v_add_nc_u32_e32 v81, v81, v162
	s_delay_alu instid0(VALU_DEP_2) | instskip(NEXT) | instid1(VALU_DEP_2)
	v_xor_b32_e32 v151, 1, v151
	v_and_b32_e32 v80, 0xfffff, v81
	s_delay_alu instid0(VALU_DEP_1) | instskip(NEXT) | instid1(VALU_DEP_3)
	v_add_nc_u32_e32 v81, v80, v162
                                        ; implicit-def: $vgpr80
	v_cmpx_ne_u32_e64 v148, v151
	s_xor_b32 s13, exec_lo, s13
; %bb.2971:                             ;   in Loop: Header=BB4_2570 Depth=4
	s_delay_alu instid0(VALU_DEP_2) | instskip(SKIP_2) | instid1(VALU_DEP_2)
	v_cmp_lt_u32_e32 vcc_lo, 0xffffff, v81
	v_sub_nc_u32_e32 v80, v148, v151
	v_cndmask_b32_e64 v148, 0, 1, vcc_lo
	v_add_co_ci_u32_e32 v80, vcc_lo, 0, v80, vcc_lo
	s_delay_alu instid0(VALU_DEP_2)
	v_lshrrev_b32_e32 v81, v148, v81
; %bb.2972:                             ;   in Loop: Header=BB4_2570 Depth=4
	s_and_not1_saveexec_b32 s13, s13
; %bb.2973:                             ;   in Loop: Header=BB4_2570 Depth=4
	s_delay_alu instid0(VALU_DEP_1)
	v_bfe_u32 v80, v81, 23, 1
; %bb.2974:                             ;   in Loop: Header=BB4_2570 Depth=4
	s_or_b32 exec_lo, exec_lo, s13
	v_lshrrev_b32_e32 v81, 20, v81
	s_delay_alu instid0(VALU_DEP_2) | instskip(SKIP_2) | instid1(VALU_DEP_2)
	v_cmp_gt_i32_e32 vcc_lo, 16, v80
	v_lshrrev_b32_e32 v84, 24, v84
	v_min_i32_e32 v148, 15, v80
	v_dual_cndmask_b32 v81, 7, v81 :: v_dual_and_b32 v84, 0x80, v84
	s_delay_alu instid0(VALU_DEP_2) | instskip(NEXT) | instid1(VALU_DEP_2)
	v_lshlrev_b32_e32 v148, 3, v148
	v_and_b32_e32 v151, 7, v81
	v_or_b32_e32 v80, v80, v81
	s_delay_alu instid0(VALU_DEP_2) | instskip(NEXT) | instid1(VALU_DEP_2)
	v_or3_b32 v81, v148, v84, v151
	v_cmp_ne_u32_e32 vcc_lo, 0, v80
	s_delay_alu instid0(VALU_DEP_2)
	v_cndmask_b32_e32 v80, 0, v81, vcc_lo
.LBB4_2975:                             ;   in Loop: Header=BB4_2570 Depth=4
	s_or_b32 exec_lo, exec_lo, s38
.LBB4_2976:                             ;   in Loop: Header=BB4_2570 Depth=4
	s_delay_alu instid0(SALU_CYCLE_1) | instskip(NEXT) | instid1(SALU_CYCLE_1)
	s_or_b32 exec_lo, exec_lo, s37
	s_and_not1_b32 vcc_lo, exec_lo, s35
	s_cbranch_vccnz .LBB4_2986
; %bb.2977:                             ;   in Loop: Header=BB4_2570 Depth=4
	v_and_b32_e32 v84, 0xff, v22
	s_mov_b32 s13, 0
	s_mov_b32 s38, exec_lo
                                        ; implicit-def: $sgpr37
	s_delay_alu instid0(VALU_DEP_1)
	v_cmpx_lt_i16_e32 0x7f, v84
	s_xor_b32 s38, exec_lo, s38
	s_cbranch_execnz .LBB4_3256
; %bb.2978:                             ;   in Loop: Header=BB4_2570 Depth=4
	s_or_saveexec_b32 s38, s38
	v_mov_b32_e32 v81, s37
	s_xor_b32 exec_lo, exec_lo, s38
	s_cbranch_execnz .LBB4_3259
.LBB4_2979:                             ;   in Loop: Header=BB4_2570 Depth=4
	s_or_b32 exec_lo, exec_lo, s38
	s_and_saveexec_b32 s37, s13
	s_cbranch_execz .LBB4_2981
.LBB4_2980:                             ;   in Loop: Header=BB4_2570 Depth=4
	v_lshrrev_b16 v151, 3, v22
	s_delay_alu instid0(VALU_DEP_1) | instskip(NEXT) | instid1(VALU_DEP_1)
	v_and_b32_e32 v151, 15, v151
	v_cmp_eq_u32_e32 vcc_lo, 0, v151
	v_and_b32_e32 v81, 7, v22
	s_delay_alu instid0(VALU_DEP_1) | instskip(NEXT) | instid1(VALU_DEP_1)
	v_clz_i32_u32_e32 v84, v81
	v_min_u32_e32 v84, 32, v84
	s_delay_alu instid0(VALU_DEP_1) | instskip(SKIP_1) | instid1(VALU_DEP_2)
	v_subrev_nc_u32_e32 v148, 28, v84
	v_sub_nc_u32_e32 v84, 29, v84
	v_lshlrev_b32_e32 v148, v148, v22
	s_delay_alu instid0(VALU_DEP_2) | instskip(NEXT) | instid1(VALU_DEP_2)
	v_cndmask_b32_e32 v84, v151, v84, vcc_lo
	v_and_b32_e32 v148, 7, v148
	v_lshlrev_b32_e32 v162, 24, v22
	s_delay_alu instid0(VALU_DEP_3) | instskip(NEXT) | instid1(VALU_DEP_2)
	v_lshl_add_u32 v84, v84, 23, 0x3b800000
	v_dual_cndmask_b32 v81, v81, v148 :: v_dual_and_b32 v148, 0x80000000, v162
	s_delay_alu instid0(VALU_DEP_1) | instskip(NEXT) | instid1(VALU_DEP_1)
	v_lshlrev_b32_e32 v81, 20, v81
	v_or3_b32 v81, v148, v84, v81
.LBB4_2981:                             ;   in Loop: Header=BB4_2570 Depth=4
	s_or_b32 exec_lo, exec_lo, s37
	s_waitcnt vmcnt(1) lgkmcnt(1)
	v_and_b32_e32 v148, 0xff, v21
	s_mov_b32 s13, 0
	s_mov_b32 s38, exec_lo
                                        ; implicit-def: $sgpr37
	s_delay_alu instid0(VALU_DEP_1)
	v_cmpx_lt_i16_e64 0x7f, v148
	s_xor_b32 s38, exec_lo, s38
	s_cbranch_execnz .LBB4_3260
; %bb.2982:                             ;   in Loop: Header=BB4_2570 Depth=4
	s_or_saveexec_b32 s38, s38
	v_mov_b32_e32 v84, s37
	s_xor_b32 exec_lo, exec_lo, s38
	s_cbranch_execnz .LBB4_3263
.LBB4_2983:                             ;   in Loop: Header=BB4_2570 Depth=4
	s_or_b32 exec_lo, exec_lo, s38
	s_and_saveexec_b32 s37, s13
	s_cbranch_execz .LBB4_2985
.LBB4_2984:                             ;   in Loop: Header=BB4_2570 Depth=4
	v_and_b32_e32 v84, 7, v21
	v_lshrrev_b16 v162, 3, v21
	s_delay_alu instid0(VALU_DEP_2) | instskip(NEXT) | instid1(VALU_DEP_2)
	v_clz_i32_u32_e32 v148, v84
	v_and_b32_e32 v162, 15, v162
	s_delay_alu instid0(VALU_DEP_2) | instskip(NEXT) | instid1(VALU_DEP_2)
	v_min_u32_e32 v148, 32, v148
	v_cmp_eq_u32_e32 vcc_lo, 0, v162
	s_delay_alu instid0(VALU_DEP_2) | instskip(SKIP_1) | instid1(VALU_DEP_1)
	v_subrev_nc_u32_e32 v151, 28, v148
	v_sub_nc_u32_e32 v148, 29, v148
	v_dual_cndmask_b32 v148, v162, v148 :: v_dual_lshlrev_b32 v151, v151, v21
	s_delay_alu instid0(VALU_DEP_1) | instskip(SKIP_1) | instid1(VALU_DEP_3)
	v_and_b32_e32 v151, 7, v151
	v_lshlrev_b32_e32 v165, 24, v21
	v_lshl_add_u32 v148, v148, 23, 0x3b800000
	s_delay_alu instid0(VALU_DEP_2) | instskip(NEXT) | instid1(VALU_DEP_1)
	v_dual_cndmask_b32 v84, v84, v151 :: v_dual_and_b32 v151, 0x80000000, v165
	v_lshlrev_b32_e32 v84, 20, v84
	s_delay_alu instid0(VALU_DEP_1)
	v_or3_b32 v84, v151, v148, v84
.LBB4_2985:                             ;   in Loop: Header=BB4_2570 Depth=4
	s_or_b32 exec_lo, exec_lo, s37
	s_delay_alu instid0(VALU_DEP_1) | instskip(SKIP_1) | instid1(VALU_DEP_1)
	v_dual_max_f32 v84, v84, v84 :: v_dual_max_f32 v81, v81, v81
	s_mov_b32 s13, 0
	v_max_f32_e32 v81, v81, v84
	s_branch .LBB4_2987
.LBB4_2986:                             ;   in Loop: Header=BB4_2570 Depth=4
	s_mov_b32 s13, -1
                                        ; implicit-def: $vgpr81
.LBB4_2987:                             ;   in Loop: Header=BB4_2570 Depth=4
	s_delay_alu instid0(SALU_CYCLE_1)
	s_and_b32 vcc_lo, exec_lo, s13
	s_cbranch_vccz .LBB4_2997
; %bb.2988:                             ;   in Loop: Header=BB4_2570 Depth=4
	v_and_b32_e32 v84, 0xff, v22
	s_mov_b32 s13, 0
	s_mov_b32 s38, exec_lo
                                        ; implicit-def: $sgpr37
	s_delay_alu instid0(VALU_DEP_1)
	v_cmpx_lt_i16_e32 0x7f, v84
	s_xor_b32 s38, exec_lo, s38
	s_cbranch_execnz .LBB4_3264
; %bb.2989:                             ;   in Loop: Header=BB4_2570 Depth=4
	s_or_saveexec_b32 s38, s38
	v_mov_b32_e32 v81, s37
	s_xor_b32 exec_lo, exec_lo, s38
	s_cbranch_execnz .LBB4_3267
.LBB4_2990:                             ;   in Loop: Header=BB4_2570 Depth=4
	s_or_b32 exec_lo, exec_lo, s38
	s_and_saveexec_b32 s37, s13
	s_cbranch_execz .LBB4_2992
.LBB4_2991:                             ;   in Loop: Header=BB4_2570 Depth=4
	v_lshrrev_b16 v151, 3, v22
	s_delay_alu instid0(VALU_DEP_1) | instskip(NEXT) | instid1(VALU_DEP_1)
	v_and_b32_e32 v151, 15, v151
	v_cmp_eq_u32_e32 vcc_lo, 0, v151
	v_and_b32_e32 v81, 7, v22
	s_delay_alu instid0(VALU_DEP_1) | instskip(NEXT) | instid1(VALU_DEP_1)
	v_clz_i32_u32_e32 v84, v81
	v_min_u32_e32 v84, 32, v84
	s_delay_alu instid0(VALU_DEP_1) | instskip(SKIP_1) | instid1(VALU_DEP_2)
	v_subrev_nc_u32_e32 v148, 28, v84
	v_sub_nc_u32_e32 v84, 29, v84
	v_lshlrev_b32_e32 v148, v148, v22
	s_delay_alu instid0(VALU_DEP_2) | instskip(NEXT) | instid1(VALU_DEP_2)
	v_cndmask_b32_e32 v84, v151, v84, vcc_lo
	v_and_b32_e32 v148, 7, v148
	v_lshlrev_b32_e32 v22, 24, v22
	s_delay_alu instid0(VALU_DEP_3) | instskip(NEXT) | instid1(VALU_DEP_2)
	v_lshl_add_u32 v84, v84, 23, 0x3b800000
	v_dual_cndmask_b32 v81, v81, v148 :: v_dual_and_b32 v22, 0x80000000, v22
	s_delay_alu instid0(VALU_DEP_1) | instskip(NEXT) | instid1(VALU_DEP_1)
	v_lshlrev_b32_e32 v81, 20, v81
	v_or3_b32 v81, v22, v84, v81
.LBB4_2992:                             ;   in Loop: Header=BB4_2570 Depth=4
	s_or_b32 exec_lo, exec_lo, s37
	s_waitcnt vmcnt(1) lgkmcnt(1)
	v_and_b32_e32 v84, 0xff, v21
	s_mov_b32 s13, 0
	s_mov_b32 s38, exec_lo
                                        ; implicit-def: $sgpr37
	s_delay_alu instid0(VALU_DEP_1)
	v_cmpx_lt_i16_e32 0x7f, v84
	s_xor_b32 s38, exec_lo, s38
	s_cbranch_execnz .LBB4_3268
; %bb.2993:                             ;   in Loop: Header=BB4_2570 Depth=4
	s_or_saveexec_b32 s38, s38
	v_mov_b32_e32 v22, s37
	s_xor_b32 exec_lo, exec_lo, s38
	s_cbranch_execnz .LBB4_3271
.LBB4_2994:                             ;   in Loop: Header=BB4_2570 Depth=4
	s_or_b32 exec_lo, exec_lo, s38
	s_and_saveexec_b32 s37, s13
	s_cbranch_execz .LBB4_2996
.LBB4_2995:                             ;   in Loop: Header=BB4_2570 Depth=4
	v_and_b32_e32 v22, 7, v21
	v_lshrrev_b16 v151, 3, v21
	s_delay_alu instid0(VALU_DEP_2) | instskip(NEXT) | instid1(VALU_DEP_1)
	v_clz_i32_u32_e32 v84, v22
	v_min_u32_e32 v84, 32, v84
	s_delay_alu instid0(VALU_DEP_1) | instskip(SKIP_1) | instid1(VALU_DEP_2)
	v_subrev_nc_u32_e32 v148, 28, v84
	v_sub_nc_u32_e32 v84, 29, v84
	v_lshlrev_b32_e32 v148, v148, v21
	s_delay_alu instid0(VALU_DEP_1) | instskip(SKIP_1) | instid1(VALU_DEP_1)
	v_and_b32_e32 v148, 7, v148
	v_and_b32_e32 v151, 15, v151
	v_cmp_eq_u32_e32 vcc_lo, 0, v151
	s_delay_alu instid0(VALU_DEP_3) | instskip(SKIP_1) | instid1(VALU_DEP_2)
	v_dual_cndmask_b32 v22, v22, v148 :: v_dual_lshlrev_b32 v21, 24, v21
	v_cndmask_b32_e32 v84, v151, v84, vcc_lo
	v_lshlrev_b32_e32 v22, 20, v22
	s_delay_alu instid0(VALU_DEP_3) | instskip(NEXT) | instid1(VALU_DEP_3)
	v_and_b32_e32 v21, 0x80000000, v21
	v_lshl_add_u32 v84, v84, 23, 0x3b800000
	s_delay_alu instid0(VALU_DEP_1)
	v_or3_b32 v22, v21, v84, v22
.LBB4_2996:                             ;   in Loop: Header=BB4_2570 Depth=4
	s_or_b32 exec_lo, exec_lo, s37
	s_delay_alu instid0(VALU_DEP_1) | instskip(NEXT) | instid1(VALU_DEP_1)
	v_dual_max_f32 v21, v22, v22 :: v_dual_max_f32 v22, v81, v81
	v_min_f32_e32 v81, v22, v21
.LBB4_2997:                             ;   in Loop: Header=BB4_2570 Depth=4
	s_waitcnt vmcnt(1) lgkmcnt(1)
	s_delay_alu instid0(VALU_DEP_1) | instskip(NEXT) | instid1(VALU_DEP_1)
	v_and_b32_e32 v21, 0x7f800000, v81
	v_cmp_ne_u32_e32 vcc_lo, 0x7f800000, v21
	v_mov_b32_e32 v21, 0x80
	s_and_saveexec_b32 s37, vcc_lo
	s_cbranch_execz .LBB4_3005
; %bb.2998:                             ;   in Loop: Header=BB4_2570 Depth=4
	v_mov_b32_e32 v21, 0
	s_mov_b32 s38, exec_lo
	v_cmpx_ne_u32_e32 0, v81
	s_cbranch_execz .LBB4_3004
; %bb.2999:                             ;   in Loop: Header=BB4_2570 Depth=4
	v_bfe_u32 v21, v81, 23, 8
	v_and_b32_e32 v22, 0x7fffff, v81
	s_delay_alu instid0(VALU_DEP_2) | instskip(SKIP_1) | instid1(VALU_DEP_3)
	v_sub_nc_u32_e32 v84, 0x78, v21
	v_cmp_gt_u32_e32 vcc_lo, 0x79, v21
	v_or_b32_e32 v148, 0x800000, v22
	s_delay_alu instid0(VALU_DEP_3) | instskip(SKIP_2) | instid1(VALU_DEP_3)
	v_cndmask_b32_e32 v84, 0, v84, vcc_lo
	v_cmp_eq_u32_e32 vcc_lo, 0, v21
	v_add_nc_u32_e32 v21, 0xffffff89, v21
	v_cndmask_b32_e64 v84, v84, 0x77, vcc_lo
	v_cndmask_b32_e32 v22, v148, v22, vcc_lo
	s_delay_alu instid0(VALU_DEP_3) | instskip(NEXT) | instid1(VALU_DEP_3)
	v_cndmask_b32_e64 v21, v21, 0xffffff8a, vcc_lo
	v_lshl_add_u32 v148, 0x100000, v84, -1
	s_delay_alu instid0(VALU_DEP_3) | instskip(SKIP_1) | instid1(VALU_DEP_4)
	v_lshrrev_b32_e32 v151, v84, v22
	v_lshlrev_b32_e64 v165, v84, 0x80000
	v_add_nc_u32_e32 v84, v84, v21
	s_delay_alu instid0(VALU_DEP_4) | instskip(NEXT) | instid1(VALU_DEP_4)
	v_and_b32_e32 v22, v148, v22
	v_bfe_u32 v162, v151, 20, 1
	s_delay_alu instid0(VALU_DEP_2) | instskip(NEXT) | instid1(VALU_DEP_2)
	v_cmp_eq_u32_e64 s13, v22, v165
	v_add_nc_u32_e32 v148, -1, v162
	s_delay_alu instid0(VALU_DEP_1) | instskip(SKIP_2) | instid1(VALU_DEP_2)
	v_cndmask_b32_e64 v22, 0, v148, s13
	v_lshrrev_b32_e32 v148, 23, v151
	s_mov_b32 s13, exec_lo
	v_add_nc_u32_e32 v22, v22, v151
	s_delay_alu instid0(VALU_DEP_2) | instskip(NEXT) | instid1(VALU_DEP_2)
	v_xor_b32_e32 v148, 1, v148
	v_and_b32_e32 v21, 0xfffff, v22
	s_delay_alu instid0(VALU_DEP_1) | instskip(NEXT) | instid1(VALU_DEP_3)
	v_add_nc_u32_e32 v22, v21, v151
                                        ; implicit-def: $vgpr21
	v_cmpx_ne_u32_e64 v84, v148
	s_xor_b32 s13, exec_lo, s13
; %bb.3000:                             ;   in Loop: Header=BB4_2570 Depth=4
	s_delay_alu instid0(VALU_DEP_2) | instskip(SKIP_2) | instid1(VALU_DEP_2)
	v_cmp_lt_u32_e32 vcc_lo, 0xffffff, v22
	v_sub_nc_u32_e32 v21, v84, v148
	v_cndmask_b32_e64 v84, 0, 1, vcc_lo
	v_add_co_ci_u32_e32 v21, vcc_lo, 0, v21, vcc_lo
	s_delay_alu instid0(VALU_DEP_2)
	v_lshrrev_b32_e32 v22, v84, v22
; %bb.3001:                             ;   in Loop: Header=BB4_2570 Depth=4
	s_and_not1_saveexec_b32 s13, s13
; %bb.3002:                             ;   in Loop: Header=BB4_2570 Depth=4
	s_delay_alu instid0(VALU_DEP_1)
	v_bfe_u32 v21, v22, 23, 1
; %bb.3003:                             ;   in Loop: Header=BB4_2570 Depth=4
	s_or_b32 exec_lo, exec_lo, s13
	v_lshrrev_b32_e32 v22, 20, v22
	s_delay_alu instid0(VALU_DEP_2) | instskip(SKIP_2) | instid1(VALU_DEP_2)
	v_cmp_gt_i32_e32 vcc_lo, 16, v21
	v_lshrrev_b32_e32 v81, 24, v81
	v_min_i32_e32 v84, 15, v21
	v_dual_cndmask_b32 v22, 7, v22 :: v_dual_and_b32 v81, 0x80, v81
	s_delay_alu instid0(VALU_DEP_1) | instskip(SKIP_1) | instid1(VALU_DEP_2)
	v_or_b32_e32 v21, v21, v22
	v_and_b32_e32 v148, 7, v22
	v_cmp_ne_u32_e32 vcc_lo, 0, v21
	v_lshlrev_b32_e32 v84, 3, v84
	s_delay_alu instid0(VALU_DEP_1) | instskip(NEXT) | instid1(VALU_DEP_1)
	v_or3_b32 v22, v84, v81, v148
	v_cndmask_b32_e32 v21, 0, v22, vcc_lo
.LBB4_3004:                             ;   in Loop: Header=BB4_2570 Depth=4
	s_or_b32 exec_lo, exec_lo, s38
.LBB4_3005:                             ;   in Loop: Header=BB4_2570 Depth=4
	s_delay_alu instid0(SALU_CYCLE_1) | instskip(NEXT) | instid1(SALU_CYCLE_1)
	s_or_b32 exec_lo, exec_lo, s37
	s_and_not1_b32 vcc_lo, exec_lo, s35
	s_cbranch_vccnz .LBB4_3015
; %bb.3006:                             ;   in Loop: Header=BB4_2570 Depth=4
	v_and_b32_e32 v81, 0xff, v19
	s_mov_b32 s13, 0
	s_mov_b32 s38, exec_lo
                                        ; implicit-def: $sgpr37
	s_delay_alu instid0(VALU_DEP_1)
	v_cmpx_lt_i16_e32 0x7f, v81
	s_xor_b32 s38, exec_lo, s38
	s_cbranch_execnz .LBB4_3272
; %bb.3007:                             ;   in Loop: Header=BB4_2570 Depth=4
	s_or_saveexec_b32 s38, s38
	v_mov_b32_e32 v22, s37
	s_xor_b32 exec_lo, exec_lo, s38
	s_cbranch_execnz .LBB4_3275
.LBB4_3008:                             ;   in Loop: Header=BB4_2570 Depth=4
	s_or_b32 exec_lo, exec_lo, s38
	s_and_saveexec_b32 s37, s13
	s_cbranch_execz .LBB4_3010
.LBB4_3009:                             ;   in Loop: Header=BB4_2570 Depth=4
	v_lshrrev_b16 v148, 3, v19
	s_delay_alu instid0(VALU_DEP_1) | instskip(NEXT) | instid1(VALU_DEP_1)
	v_and_b32_e32 v148, 15, v148
	v_cmp_eq_u32_e32 vcc_lo, 0, v148
	v_and_b32_e32 v22, 7, v19
	s_delay_alu instid0(VALU_DEP_1) | instskip(NEXT) | instid1(VALU_DEP_1)
	v_clz_i32_u32_e32 v81, v22
	v_min_u32_e32 v81, 32, v81
	s_delay_alu instid0(VALU_DEP_1) | instskip(SKIP_1) | instid1(VALU_DEP_2)
	v_subrev_nc_u32_e32 v84, 28, v81
	v_sub_nc_u32_e32 v81, 29, v81
	v_lshlrev_b32_e32 v84, v84, v19
	s_delay_alu instid0(VALU_DEP_1) | instskip(SKIP_1) | instid1(VALU_DEP_2)
	v_dual_cndmask_b32 v81, v148, v81 :: v_dual_and_b32 v84, 7, v84
	v_lshlrev_b32_e32 v151, 24, v19
	v_lshl_add_u32 v81, v81, 23, 0x3b800000
	s_delay_alu instid0(VALU_DEP_3) | instskip(NEXT) | instid1(VALU_DEP_3)
	v_cndmask_b32_e32 v22, v22, v84, vcc_lo
	v_and_b32_e32 v84, 0x80000000, v151
	s_delay_alu instid0(VALU_DEP_2) | instskip(NEXT) | instid1(VALU_DEP_1)
	v_lshlrev_b32_e32 v22, 20, v22
	v_or3_b32 v22, v84, v81, v22
.LBB4_3010:                             ;   in Loop: Header=BB4_2570 Depth=4
	s_or_b32 exec_lo, exec_lo, s37
	s_waitcnt vmcnt(0) lgkmcnt(0)
	v_and_b32_e32 v84, 0xff, v18
	s_mov_b32 s13, 0
	s_mov_b32 s38, exec_lo
                                        ; implicit-def: $sgpr37
	s_delay_alu instid0(VALU_DEP_1)
	v_cmpx_lt_i16_e32 0x7f, v84
	s_xor_b32 s38, exec_lo, s38
	s_cbranch_execnz .LBB4_3276
; %bb.3011:                             ;   in Loop: Header=BB4_2570 Depth=4
	s_or_saveexec_b32 s38, s38
	v_mov_b32_e32 v81, s37
	s_xor_b32 exec_lo, exec_lo, s38
	s_cbranch_execnz .LBB4_3279
.LBB4_3012:                             ;   in Loop: Header=BB4_2570 Depth=4
	s_or_b32 exec_lo, exec_lo, s38
	s_and_saveexec_b32 s37, s13
	s_cbranch_execz .LBB4_3014
.LBB4_3013:                             ;   in Loop: Header=BB4_2570 Depth=4
	v_lshrrev_b16 v151, 3, v18
	s_delay_alu instid0(VALU_DEP_1) | instskip(NEXT) | instid1(VALU_DEP_1)
	v_and_b32_e32 v151, 15, v151
	v_cmp_eq_u32_e32 vcc_lo, 0, v151
	v_and_b32_e32 v81, 7, v18
	s_delay_alu instid0(VALU_DEP_1) | instskip(NEXT) | instid1(VALU_DEP_1)
	v_clz_i32_u32_e32 v84, v81
	v_min_u32_e32 v84, 32, v84
	s_delay_alu instid0(VALU_DEP_1) | instskip(SKIP_1) | instid1(VALU_DEP_2)
	v_subrev_nc_u32_e32 v148, 28, v84
	v_sub_nc_u32_e32 v84, 29, v84
	v_lshlrev_b32_e32 v148, v148, v18
	s_delay_alu instid0(VALU_DEP_2) | instskip(NEXT) | instid1(VALU_DEP_2)
	v_cndmask_b32_e32 v84, v151, v84, vcc_lo
	v_and_b32_e32 v148, 7, v148
	v_lshlrev_b32_e32 v162, 24, v18
	s_delay_alu instid0(VALU_DEP_3) | instskip(NEXT) | instid1(VALU_DEP_2)
	v_lshl_add_u32 v84, v84, 23, 0x3b800000
	v_dual_cndmask_b32 v81, v81, v148 :: v_dual_and_b32 v148, 0x80000000, v162
	s_delay_alu instid0(VALU_DEP_1) | instskip(NEXT) | instid1(VALU_DEP_1)
	v_lshlrev_b32_e32 v81, 20, v81
	v_or3_b32 v81, v148, v84, v81
.LBB4_3014:                             ;   in Loop: Header=BB4_2570 Depth=4
	s_or_b32 exec_lo, exec_lo, s37
	s_delay_alu instid0(VALU_DEP_1) | instskip(SKIP_1) | instid1(VALU_DEP_1)
	v_dual_max_f32 v81, v81, v81 :: v_dual_max_f32 v22, v22, v22
	s_mov_b32 s13, 0
	v_max_f32_e32 v22, v22, v81
	s_branch .LBB4_3016
.LBB4_3015:                             ;   in Loop: Header=BB4_2570 Depth=4
	s_mov_b32 s13, -1
                                        ; implicit-def: $vgpr22
.LBB4_3016:                             ;   in Loop: Header=BB4_2570 Depth=4
	s_delay_alu instid0(SALU_CYCLE_1)
	s_and_b32 vcc_lo, exec_lo, s13
	s_cbranch_vccz .LBB4_3026
; %bb.3017:                             ;   in Loop: Header=BB4_2570 Depth=4
	v_and_b32_e32 v81, 0xff, v19
	s_mov_b32 s13, 0
	s_mov_b32 s38, exec_lo
                                        ; implicit-def: $sgpr37
	s_delay_alu instid0(VALU_DEP_1)
	v_cmpx_lt_i16_e32 0x7f, v81
	s_xor_b32 s38, exec_lo, s38
	s_cbranch_execnz .LBB4_3280
; %bb.3018:                             ;   in Loop: Header=BB4_2570 Depth=4
	s_or_saveexec_b32 s38, s38
	v_mov_b32_e32 v22, s37
	s_xor_b32 exec_lo, exec_lo, s38
	s_cbranch_execnz .LBB4_3283
.LBB4_3019:                             ;   in Loop: Header=BB4_2570 Depth=4
	s_or_b32 exec_lo, exec_lo, s38
	s_and_saveexec_b32 s37, s13
	s_cbranch_execz .LBB4_3021
.LBB4_3020:                             ;   in Loop: Header=BB4_2570 Depth=4
	v_lshrrev_b16 v148, 3, v19
	s_delay_alu instid0(VALU_DEP_1) | instskip(NEXT) | instid1(VALU_DEP_1)
	v_and_b32_e32 v148, 15, v148
	v_cmp_eq_u32_e32 vcc_lo, 0, v148
	v_and_b32_e32 v22, 7, v19
	s_delay_alu instid0(VALU_DEP_1) | instskip(NEXT) | instid1(VALU_DEP_1)
	v_clz_i32_u32_e32 v81, v22
	v_min_u32_e32 v81, 32, v81
	s_delay_alu instid0(VALU_DEP_1) | instskip(SKIP_1) | instid1(VALU_DEP_2)
	v_subrev_nc_u32_e32 v84, 28, v81
	v_sub_nc_u32_e32 v81, 29, v81
	v_lshlrev_b32_e32 v84, v84, v19
	s_delay_alu instid0(VALU_DEP_1) | instskip(SKIP_1) | instid1(VALU_DEP_2)
	v_dual_cndmask_b32 v81, v148, v81 :: v_dual_and_b32 v84, 7, v84
	v_lshlrev_b32_e32 v19, 24, v19
	v_lshl_add_u32 v81, v81, 23, 0x3b800000
	s_delay_alu instid0(VALU_DEP_2) | instskip(NEXT) | instid1(VALU_DEP_1)
	v_dual_cndmask_b32 v22, v22, v84 :: v_dual_and_b32 v19, 0x80000000, v19
	v_lshlrev_b32_e32 v22, 20, v22
	s_delay_alu instid0(VALU_DEP_1)
	v_or3_b32 v22, v19, v81, v22
.LBB4_3021:                             ;   in Loop: Header=BB4_2570 Depth=4
	s_or_b32 exec_lo, exec_lo, s37
	s_waitcnt vmcnt(0) lgkmcnt(0)
	v_and_b32_e32 v81, 0xff, v18
	s_mov_b32 s13, 0
	s_mov_b32 s38, exec_lo
                                        ; implicit-def: $sgpr37
	s_delay_alu instid0(VALU_DEP_1)
	v_cmpx_lt_i16_e32 0x7f, v81
	s_xor_b32 s38, exec_lo, s38
	s_cbranch_execnz .LBB4_3284
; %bb.3022:                             ;   in Loop: Header=BB4_2570 Depth=4
	s_or_saveexec_b32 s38, s38
	v_mov_b32_e32 v19, s37
	s_xor_b32 exec_lo, exec_lo, s38
	s_cbranch_execnz .LBB4_3287
.LBB4_3023:                             ;   in Loop: Header=BB4_2570 Depth=4
	s_or_b32 exec_lo, exec_lo, s38
	s_and_saveexec_b32 s37, s13
	s_cbranch_execz .LBB4_3025
.LBB4_3024:                             ;   in Loop: Header=BB4_2570 Depth=4
	v_and_b32_e32 v19, 7, v18
	v_lshrrev_b16 v148, 3, v18
	s_delay_alu instid0(VALU_DEP_2) | instskip(NEXT) | instid1(VALU_DEP_2)
	v_clz_i32_u32_e32 v81, v19
	v_and_b32_e32 v148, 15, v148
	s_delay_alu instid0(VALU_DEP_2) | instskip(NEXT) | instid1(VALU_DEP_2)
	v_min_u32_e32 v81, 32, v81
	v_cmp_eq_u32_e32 vcc_lo, 0, v148
	s_delay_alu instid0(VALU_DEP_2) | instskip(SKIP_1) | instid1(VALU_DEP_2)
	v_subrev_nc_u32_e32 v84, 28, v81
	v_sub_nc_u32_e32 v81, 29, v81
	v_lshlrev_b32_e32 v84, v84, v18
	s_delay_alu instid0(VALU_DEP_1) | instskip(SKIP_1) | instid1(VALU_DEP_2)
	v_dual_cndmask_b32 v81, v148, v81 :: v_dual_and_b32 v84, 7, v84
	v_lshlrev_b32_e32 v18, 24, v18
	v_lshl_add_u32 v81, v81, 23, 0x3b800000
	s_delay_alu instid0(VALU_DEP_2) | instskip(NEXT) | instid1(VALU_DEP_1)
	v_dual_cndmask_b32 v19, v19, v84 :: v_dual_and_b32 v18, 0x80000000, v18
	v_lshlrev_b32_e32 v19, 20, v19
	s_delay_alu instid0(VALU_DEP_1)
	v_or3_b32 v19, v18, v81, v19
.LBB4_3025:                             ;   in Loop: Header=BB4_2570 Depth=4
	s_or_b32 exec_lo, exec_lo, s37
	s_delay_alu instid0(VALU_DEP_1) | instskip(NEXT) | instid1(VALU_DEP_1)
	v_dual_max_f32 v18, v19, v19 :: v_dual_max_f32 v19, v22, v22
	v_min_f32_e32 v22, v19, v18
.LBB4_3026:                             ;   in Loop: Header=BB4_2570 Depth=4
	s_waitcnt vmcnt(0) lgkmcnt(0)
	s_delay_alu instid0(VALU_DEP_1) | instskip(NEXT) | instid1(VALU_DEP_1)
	v_and_b32_e32 v18, 0x7f800000, v22
	v_cmp_ne_u32_e32 vcc_lo, 0x7f800000, v18
	v_mov_b32_e32 v18, 0x80
	s_and_saveexec_b32 s37, vcc_lo
	s_cbranch_execz .LBB4_2569
; %bb.3027:                             ;   in Loop: Header=BB4_2570 Depth=4
	v_mov_b32_e32 v18, 0
	s_mov_b32 s38, exec_lo
	v_cmpx_ne_u32_e32 0, v22
	s_cbranch_execz .LBB4_2568
; %bb.3028:                             ;   in Loop: Header=BB4_2570 Depth=4
	v_bfe_u32 v18, v22, 23, 8
	v_and_b32_e32 v19, 0x7fffff, v22
	s_delay_alu instid0(VALU_DEP_2) | instskip(SKIP_1) | instid1(VALU_DEP_3)
	v_sub_nc_u32_e32 v81, 0x78, v18
	v_cmp_gt_u32_e32 vcc_lo, 0x79, v18
	v_or_b32_e32 v84, 0x800000, v19
	s_delay_alu instid0(VALU_DEP_3) | instskip(SKIP_2) | instid1(VALU_DEP_3)
	v_cndmask_b32_e32 v81, 0, v81, vcc_lo
	v_cmp_eq_u32_e32 vcc_lo, 0, v18
	v_add_nc_u32_e32 v18, 0xffffff89, v18
	v_cndmask_b32_e64 v81, v81, 0x77, vcc_lo
	v_cndmask_b32_e32 v19, v84, v19, vcc_lo
	s_delay_alu instid0(VALU_DEP_3) | instskip(NEXT) | instid1(VALU_DEP_3)
	v_cndmask_b32_e64 v18, v18, 0xffffff8a, vcc_lo
	v_lshl_add_u32 v84, 0x100000, v81, -1
	s_delay_alu instid0(VALU_DEP_3) | instskip(SKIP_1) | instid1(VALU_DEP_4)
	v_lshrrev_b32_e32 v148, v81, v19
	v_lshlrev_b32_e64 v162, v81, 0x80000
	v_add_nc_u32_e32 v81, v81, v18
	s_delay_alu instid0(VALU_DEP_4) | instskip(NEXT) | instid1(VALU_DEP_4)
	v_and_b32_e32 v19, v84, v19
	v_bfe_u32 v151, v148, 20, 1
	s_delay_alu instid0(VALU_DEP_2) | instskip(NEXT) | instid1(VALU_DEP_2)
	v_cmp_eq_u32_e64 s13, v19, v162
	v_add_nc_u32_e32 v84, -1, v151
	s_delay_alu instid0(VALU_DEP_1) | instskip(SKIP_2) | instid1(VALU_DEP_2)
	v_cndmask_b32_e64 v19, 0, v84, s13
	v_lshrrev_b32_e32 v84, 23, v148
	s_mov_b32 s13, exec_lo
	v_add_nc_u32_e32 v19, v19, v148
	s_delay_alu instid0(VALU_DEP_2) | instskip(NEXT) | instid1(VALU_DEP_2)
	v_xor_b32_e32 v84, 1, v84
	v_and_b32_e32 v18, 0xfffff, v19
	s_delay_alu instid0(VALU_DEP_1) | instskip(NEXT) | instid1(VALU_DEP_3)
	v_add_nc_u32_e32 v19, v18, v148
                                        ; implicit-def: $vgpr18
	v_cmpx_ne_u32_e64 v81, v84
	s_xor_b32 s13, exec_lo, s13
; %bb.3029:                             ;   in Loop: Header=BB4_2570 Depth=4
	s_delay_alu instid0(VALU_DEP_2) | instskip(SKIP_2) | instid1(VALU_DEP_2)
	v_cmp_lt_u32_e32 vcc_lo, 0xffffff, v19
	v_sub_nc_u32_e32 v18, v81, v84
	v_cndmask_b32_e64 v81, 0, 1, vcc_lo
	v_add_co_ci_u32_e32 v18, vcc_lo, 0, v18, vcc_lo
	s_delay_alu instid0(VALU_DEP_2)
	v_lshrrev_b32_e32 v19, v81, v19
; %bb.3030:                             ;   in Loop: Header=BB4_2570 Depth=4
	s_and_not1_saveexec_b32 s13, s13
	s_cbranch_execz .LBB4_2567
; %bb.3031:                             ;   in Loop: Header=BB4_2570 Depth=4
	s_delay_alu instid0(VALU_DEP_1)
	v_bfe_u32 v18, v19, 23, 1
	s_branch .LBB4_2567
.LBB4_3032:                             ;   in Loop: Header=BB4_2570 Depth=4
	s_mov_b32 s13, -1
	s_mov_b32 s39, exec_lo
                                        ; implicit-def: $sgpr37
	v_cmpx_eq_u16_e32 0x80, v40
; %bb.3033:                             ;   in Loop: Header=BB4_2570 Depth=4
	s_mov_b32 s37, 0x7f800001
	s_xor_b32 s13, exec_lo, -1
; %bb.3034:                             ;   in Loop: Header=BB4_2570 Depth=4
	s_or_b32 exec_lo, exec_lo, s39
	s_delay_alu instid0(SALU_CYCLE_1)
	s_and_b32 s13, s13, exec_lo
                                        ; implicit-def: $vgpr40
	s_or_saveexec_b32 s38, s38
	v_mov_b32_e32 v183, s37
	s_xor_b32 exec_lo, exec_lo, s38
	s_cbranch_execz .LBB4_2573
.LBB4_3035:                             ;   in Loop: Header=BB4_2570 Depth=4
	v_cmp_ne_u16_e32 vcc_lo, 0, v40
	v_mov_b32_e32 v183, 0
	s_and_not1_b32 s13, s13, exec_lo
	s_and_b32 vcc_lo, vcc_lo, exec_lo
	s_delay_alu instid0(SALU_CYCLE_1)
	s_or_b32 s13, s13, vcc_lo
	s_or_b32 exec_lo, exec_lo, s38
	s_and_saveexec_b32 s37, s13
	s_cbranch_execnz .LBB4_2574
	s_branch .LBB4_2575
.LBB4_3036:                             ;   in Loop: Header=BB4_2570 Depth=4
	s_mov_b32 s13, -1
	s_mov_b32 s39, exec_lo
                                        ; implicit-def: $sgpr37
	v_cmpx_eq_u16_e32 0x80, v41
; %bb.3037:                             ;   in Loop: Header=BB4_2570 Depth=4
	s_mov_b32 s37, 0x7f800001
	s_xor_b32 s13, exec_lo, -1
; %bb.3038:                             ;   in Loop: Header=BB4_2570 Depth=4
	s_or_b32 exec_lo, exec_lo, s39
	s_delay_alu instid0(SALU_CYCLE_1)
	s_and_b32 s13, s13, exec_lo
                                        ; implicit-def: $vgpr41
	s_or_saveexec_b32 s38, s38
	v_mov_b32_e32 v40, s37
	s_xor_b32 exec_lo, exec_lo, s38
	s_cbranch_execz .LBB4_2577
.LBB4_3039:                             ;   in Loop: Header=BB4_2570 Depth=4
	v_cmp_ne_u16_e32 vcc_lo, 0, v41
	v_mov_b32_e32 v40, 0
	s_and_not1_b32 s13, s13, exec_lo
	s_and_b32 vcc_lo, vcc_lo, exec_lo
	s_delay_alu instid0(SALU_CYCLE_1)
	s_or_b32 s13, s13, vcc_lo
	s_or_b32 exec_lo, exec_lo, s38
	s_and_saveexec_b32 s37, s13
	s_cbranch_execnz .LBB4_2578
	s_branch .LBB4_2579
.LBB4_3040:                             ;   in Loop: Header=BB4_2570 Depth=4
	s_mov_b32 s13, -1
	s_mov_b32 s39, exec_lo
                                        ; implicit-def: $sgpr37
	v_cmpx_eq_u16_e32 0x80, v40
; %bb.3041:                             ;   in Loop: Header=BB4_2570 Depth=4
	s_mov_b32 s37, 0x7f800001
	s_xor_b32 s13, exec_lo, -1
; %bb.3042:                             ;   in Loop: Header=BB4_2570 Depth=4
	s_or_b32 exec_lo, exec_lo, s39
	s_delay_alu instid0(SALU_CYCLE_1)
	s_and_b32 s13, s13, exec_lo
                                        ; implicit-def: $vgpr40
	s_or_saveexec_b32 s38, s38
	v_mov_b32_e32 v183, s37
	s_xor_b32 exec_lo, exec_lo, s38
	s_cbranch_execz .LBB4_2584
.LBB4_3043:                             ;   in Loop: Header=BB4_2570 Depth=4
	v_cmp_ne_u16_e32 vcc_lo, 0, v40
	v_mov_b32_e32 v183, 0
	s_and_not1_b32 s13, s13, exec_lo
	s_and_b32 vcc_lo, vcc_lo, exec_lo
	s_delay_alu instid0(SALU_CYCLE_1)
	s_or_b32 s13, s13, vcc_lo
	s_or_b32 exec_lo, exec_lo, s38
	s_and_saveexec_b32 s37, s13
	s_cbranch_execnz .LBB4_2585
	s_branch .LBB4_2586
.LBB4_3044:                             ;   in Loop: Header=BB4_2570 Depth=4
	s_mov_b32 s13, -1
	s_mov_b32 s39, exec_lo
                                        ; implicit-def: $sgpr37
	v_cmpx_eq_u16_e32 0x80, v40
; %bb.3045:                             ;   in Loop: Header=BB4_2570 Depth=4
	s_mov_b32 s37, 0x7f800001
	s_xor_b32 s13, exec_lo, -1
; %bb.3046:                             ;   in Loop: Header=BB4_2570 Depth=4
	s_or_b32 exec_lo, exec_lo, s39
	s_delay_alu instid0(SALU_CYCLE_1)
	s_and_b32 s13, s13, exec_lo
                                        ; implicit-def: $vgpr40
	s_or_saveexec_b32 s38, s38
	v_mov_b32_e32 v182, s37
	s_xor_b32 exec_lo, exec_lo, s38
	s_cbranch_execz .LBB4_2588
.LBB4_3047:                             ;   in Loop: Header=BB4_2570 Depth=4
	v_cmp_ne_u16_e32 vcc_lo, 0, v40
	v_mov_b32_e32 v182, 0
	s_and_not1_b32 s13, s13, exec_lo
	s_and_b32 vcc_lo, vcc_lo, exec_lo
	s_delay_alu instid0(SALU_CYCLE_1)
	s_or_b32 s13, s13, vcc_lo
	s_or_b32 exec_lo, exec_lo, s38
	s_and_saveexec_b32 s37, s13
	s_cbranch_execnz .LBB4_2589
	s_branch .LBB4_2590
.LBB4_3048:                             ;   in Loop: Header=BB4_2570 Depth=4
	s_mov_b32 s13, -1
	s_mov_b32 s39, exec_lo
                                        ; implicit-def: $sgpr37
	v_cmpx_eq_u16_e64 0x80, v183
; %bb.3049:                             ;   in Loop: Header=BB4_2570 Depth=4
	s_mov_b32 s37, 0x7f800001
	s_xor_b32 s13, exec_lo, -1
; %bb.3050:                             ;   in Loop: Header=BB4_2570 Depth=4
	s_or_b32 exec_lo, exec_lo, s39
	s_delay_alu instid0(SALU_CYCLE_1)
	s_and_b32 s13, s13, exec_lo
                                        ; implicit-def: $vgpr183
	s_or_saveexec_b32 s38, s38
	v_mov_b32_e32 v182, s37
	s_xor_b32 exec_lo, exec_lo, s38
	s_cbranch_execz .LBB4_2602
.LBB4_3051:                             ;   in Loop: Header=BB4_2570 Depth=4
	v_cmp_ne_u16_e64 vcc_lo, 0, v183
	v_mov_b32_e32 v182, 0
	s_and_not1_b32 s13, s13, exec_lo
	s_delay_alu instid0(VALU_DEP_2) | instskip(NEXT) | instid1(SALU_CYCLE_1)
	s_and_b32 vcc_lo, vcc_lo, exec_lo
	s_or_b32 s13, s13, vcc_lo
	s_or_b32 exec_lo, exec_lo, s38
	s_and_saveexec_b32 s37, s13
	s_cbranch_execnz .LBB4_2603
	s_branch .LBB4_2604
.LBB4_3052:                             ;   in Loop: Header=BB4_2570 Depth=4
	s_mov_b32 s13, -1
	s_mov_b32 s39, exec_lo
                                        ; implicit-def: $sgpr37
	v_cmpx_eq_u16_e32 0x80, v40
; %bb.3053:                             ;   in Loop: Header=BB4_2570 Depth=4
	s_mov_b32 s37, 0x7f800001
	s_xor_b32 s13, exec_lo, -1
; %bb.3054:                             ;   in Loop: Header=BB4_2570 Depth=4
	s_or_b32 exec_lo, exec_lo, s39
	s_delay_alu instid0(SALU_CYCLE_1)
	s_and_b32 s13, s13, exec_lo
                                        ; implicit-def: $vgpr40
	s_or_saveexec_b32 s38, s38
	v_mov_b32_e32 v183, s37
	s_xor_b32 exec_lo, exec_lo, s38
	s_cbranch_execz .LBB4_2606
.LBB4_3055:                             ;   in Loop: Header=BB4_2570 Depth=4
	v_cmp_ne_u16_e32 vcc_lo, 0, v40
	v_mov_b32_e32 v183, 0
	s_and_not1_b32 s13, s13, exec_lo
	s_and_b32 vcc_lo, vcc_lo, exec_lo
	s_delay_alu instid0(SALU_CYCLE_1)
	s_or_b32 s13, s13, vcc_lo
	s_or_b32 exec_lo, exec_lo, s38
	s_and_saveexec_b32 s37, s13
	s_cbranch_execnz .LBB4_2607
	s_branch .LBB4_2608
.LBB4_3056:                             ;   in Loop: Header=BB4_2570 Depth=4
	s_mov_b32 s13, -1
	s_mov_b32 s39, exec_lo
                                        ; implicit-def: $sgpr37
	v_cmpx_eq_u16_e64 0x80, v183
; %bb.3057:                             ;   in Loop: Header=BB4_2570 Depth=4
	s_mov_b32 s37, 0x7f800001
	s_xor_b32 s13, exec_lo, -1
; %bb.3058:                             ;   in Loop: Header=BB4_2570 Depth=4
	s_or_b32 exec_lo, exec_lo, s39
	s_delay_alu instid0(SALU_CYCLE_1)
	s_and_b32 s13, s13, exec_lo
                                        ; implicit-def: $vgpr183
	s_or_saveexec_b32 s38, s38
	v_mov_b32_e32 v182, s37
	s_xor_b32 exec_lo, exec_lo, s38
	s_cbranch_execz .LBB4_2613
.LBB4_3059:                             ;   in Loop: Header=BB4_2570 Depth=4
	v_cmp_ne_u16_e64 vcc_lo, 0, v183
	v_mov_b32_e32 v182, 0
	s_and_not1_b32 s13, s13, exec_lo
	s_delay_alu instid0(VALU_DEP_2) | instskip(NEXT) | instid1(SALU_CYCLE_1)
	s_and_b32 vcc_lo, vcc_lo, exec_lo
	s_or_b32 s13, s13, vcc_lo
	s_or_b32 exec_lo, exec_lo, s38
	s_and_saveexec_b32 s37, s13
	s_cbranch_execnz .LBB4_2614
	s_branch .LBB4_2615
.LBB4_3060:                             ;   in Loop: Header=BB4_2570 Depth=4
	s_mov_b32 s13, -1
	s_mov_b32 s39, exec_lo
                                        ; implicit-def: $sgpr37
	v_cmpx_eq_u16_e64 0x80, v183
; %bb.3061:                             ;   in Loop: Header=BB4_2570 Depth=4
	s_mov_b32 s37, 0x7f800001
	s_xor_b32 s13, exec_lo, -1
; %bb.3062:                             ;   in Loop: Header=BB4_2570 Depth=4
	s_or_b32 exec_lo, exec_lo, s39
	s_delay_alu instid0(SALU_CYCLE_1)
	s_and_b32 s13, s13, exec_lo
                                        ; implicit-def: $vgpr183
	s_or_saveexec_b32 s38, s38
	v_mov_b32_e32 v181, s37
	s_xor_b32 exec_lo, exec_lo, s38
	s_cbranch_execz .LBB4_2617
.LBB4_3063:                             ;   in Loop: Header=BB4_2570 Depth=4
	v_cmp_ne_u16_e64 vcc_lo, 0, v183
	v_mov_b32_e32 v181, 0
	s_and_not1_b32 s13, s13, exec_lo
	s_delay_alu instid0(VALU_DEP_2) | instskip(NEXT) | instid1(SALU_CYCLE_1)
	s_and_b32 vcc_lo, vcc_lo, exec_lo
	s_or_b32 s13, s13, vcc_lo
	s_or_b32 exec_lo, exec_lo, s38
	s_and_saveexec_b32 s37, s13
	s_cbranch_execnz .LBB4_2618
	s_branch .LBB4_2619
.LBB4_3064:                             ;   in Loop: Header=BB4_2570 Depth=4
	s_mov_b32 s13, -1
	s_mov_b32 s39, exec_lo
                                        ; implicit-def: $sgpr37
	v_cmpx_eq_u16_e64 0x80, v182
; %bb.3065:                             ;   in Loop: Header=BB4_2570 Depth=4
	s_mov_b32 s37, 0x7f800001
	s_xor_b32 s13, exec_lo, -1
; %bb.3066:                             ;   in Loop: Header=BB4_2570 Depth=4
	s_or_b32 exec_lo, exec_lo, s39
	s_delay_alu instid0(SALU_CYCLE_1)
	s_and_b32 s13, s13, exec_lo
                                        ; implicit-def: $vgpr182
	s_or_saveexec_b32 s38, s38
	v_mov_b32_e32 v181, s37
	s_xor_b32 exec_lo, exec_lo, s38
	s_cbranch_execz .LBB4_2631
.LBB4_3067:                             ;   in Loop: Header=BB4_2570 Depth=4
	v_cmp_ne_u16_e64 vcc_lo, 0, v182
	v_mov_b32_e32 v181, 0
	s_and_not1_b32 s13, s13, exec_lo
	s_delay_alu instid0(VALU_DEP_2) | instskip(NEXT) | instid1(SALU_CYCLE_1)
	s_and_b32 vcc_lo, vcc_lo, exec_lo
	s_or_b32 s13, s13, vcc_lo
	s_or_b32 exec_lo, exec_lo, s38
	s_and_saveexec_b32 s37, s13
	s_cbranch_execnz .LBB4_2632
	s_branch .LBB4_2633
.LBB4_3068:                             ;   in Loop: Header=BB4_2570 Depth=4
	s_mov_b32 s13, -1
	s_mov_b32 s39, exec_lo
                                        ; implicit-def: $sgpr37
	v_cmpx_eq_u16_e64 0x80, v183
; %bb.3069:                             ;   in Loop: Header=BB4_2570 Depth=4
	s_mov_b32 s37, 0x7f800001
	s_xor_b32 s13, exec_lo, -1
; %bb.3070:                             ;   in Loop: Header=BB4_2570 Depth=4
	s_or_b32 exec_lo, exec_lo, s39
	s_delay_alu instid0(SALU_CYCLE_1)
	s_and_b32 s13, s13, exec_lo
                                        ; implicit-def: $vgpr183
	s_or_saveexec_b32 s38, s38
	v_mov_b32_e32 v182, s37
	s_xor_b32 exec_lo, exec_lo, s38
	s_cbranch_execz .LBB4_2635
.LBB4_3071:                             ;   in Loop: Header=BB4_2570 Depth=4
	v_cmp_ne_u16_e64 vcc_lo, 0, v183
	v_mov_b32_e32 v182, 0
	s_and_not1_b32 s13, s13, exec_lo
	s_delay_alu instid0(VALU_DEP_2) | instskip(NEXT) | instid1(SALU_CYCLE_1)
	s_and_b32 vcc_lo, vcc_lo, exec_lo
	s_or_b32 s13, s13, vcc_lo
	s_or_b32 exec_lo, exec_lo, s38
	s_and_saveexec_b32 s37, s13
	s_cbranch_execnz .LBB4_2636
	s_branch .LBB4_2637
.LBB4_3072:                             ;   in Loop: Header=BB4_2570 Depth=4
	s_mov_b32 s13, -1
	s_mov_b32 s39, exec_lo
                                        ; implicit-def: $sgpr37
	v_cmpx_eq_u16_e64 0x80, v182
; %bb.3073:                             ;   in Loop: Header=BB4_2570 Depth=4
	s_mov_b32 s37, 0x7f800001
	s_xor_b32 s13, exec_lo, -1
; %bb.3074:                             ;   in Loop: Header=BB4_2570 Depth=4
	s_or_b32 exec_lo, exec_lo, s39
	s_delay_alu instid0(SALU_CYCLE_1)
	s_and_b32 s13, s13, exec_lo
                                        ; implicit-def: $vgpr182
	s_or_saveexec_b32 s38, s38
	v_mov_b32_e32 v181, s37
	s_xor_b32 exec_lo, exec_lo, s38
	s_cbranch_execz .LBB4_2642
.LBB4_3075:                             ;   in Loop: Header=BB4_2570 Depth=4
	v_cmp_ne_u16_e64 vcc_lo, 0, v182
	v_mov_b32_e32 v181, 0
	s_and_not1_b32 s13, s13, exec_lo
	s_delay_alu instid0(VALU_DEP_2) | instskip(NEXT) | instid1(SALU_CYCLE_1)
	s_and_b32 vcc_lo, vcc_lo, exec_lo
	s_or_b32 s13, s13, vcc_lo
	s_or_b32 exec_lo, exec_lo, s38
	s_and_saveexec_b32 s37, s13
	s_cbranch_execnz .LBB4_2643
	s_branch .LBB4_2644
.LBB4_3076:                             ;   in Loop: Header=BB4_2570 Depth=4
	s_mov_b32 s13, -1
	s_mov_b32 s39, exec_lo
                                        ; implicit-def: $sgpr37
	v_cmpx_eq_u16_e64 0x80, v182
; %bb.3077:                             ;   in Loop: Header=BB4_2570 Depth=4
	s_mov_b32 s37, 0x7f800001
	s_xor_b32 s13, exec_lo, -1
; %bb.3078:                             ;   in Loop: Header=BB4_2570 Depth=4
	s_or_b32 exec_lo, exec_lo, s39
	s_delay_alu instid0(SALU_CYCLE_1)
	s_and_b32 s13, s13, exec_lo
                                        ; implicit-def: $vgpr182
	s_or_saveexec_b32 s38, s38
	v_mov_b32_e32 v180, s37
	s_xor_b32 exec_lo, exec_lo, s38
	s_cbranch_execz .LBB4_2646
.LBB4_3079:                             ;   in Loop: Header=BB4_2570 Depth=4
	v_cmp_ne_u16_e64 vcc_lo, 0, v182
	v_mov_b32_e32 v180, 0
	s_and_not1_b32 s13, s13, exec_lo
	s_delay_alu instid0(VALU_DEP_2) | instskip(NEXT) | instid1(SALU_CYCLE_1)
	s_and_b32 vcc_lo, vcc_lo, exec_lo
	s_or_b32 s13, s13, vcc_lo
	s_or_b32 exec_lo, exec_lo, s38
	s_and_saveexec_b32 s37, s13
	s_cbranch_execnz .LBB4_2647
	s_branch .LBB4_2648
.LBB4_3080:                             ;   in Loop: Header=BB4_2570 Depth=4
	s_mov_b32 s13, -1
	s_mov_b32 s39, exec_lo
                                        ; implicit-def: $sgpr37
	v_cmpx_eq_u16_e64 0x80, v181
; %bb.3081:                             ;   in Loop: Header=BB4_2570 Depth=4
	s_mov_b32 s37, 0x7f800001
	s_xor_b32 s13, exec_lo, -1
; %bb.3082:                             ;   in Loop: Header=BB4_2570 Depth=4
	s_or_b32 exec_lo, exec_lo, s39
	s_delay_alu instid0(SALU_CYCLE_1)
	s_and_b32 s13, s13, exec_lo
                                        ; implicit-def: $vgpr181
	s_or_saveexec_b32 s38, s38
	v_mov_b32_e32 v180, s37
	s_xor_b32 exec_lo, exec_lo, s38
	s_cbranch_execz .LBB4_2660
.LBB4_3083:                             ;   in Loop: Header=BB4_2570 Depth=4
	v_cmp_ne_u16_e64 vcc_lo, 0, v181
	v_mov_b32_e32 v180, 0
	s_and_not1_b32 s13, s13, exec_lo
	s_delay_alu instid0(VALU_DEP_2) | instskip(NEXT) | instid1(SALU_CYCLE_1)
	s_and_b32 vcc_lo, vcc_lo, exec_lo
	s_or_b32 s13, s13, vcc_lo
	s_or_b32 exec_lo, exec_lo, s38
	s_and_saveexec_b32 s37, s13
	s_cbranch_execnz .LBB4_2661
	s_branch .LBB4_2662
.LBB4_3084:                             ;   in Loop: Header=BB4_2570 Depth=4
	s_mov_b32 s13, -1
	s_mov_b32 s39, exec_lo
                                        ; implicit-def: $sgpr37
	v_cmpx_eq_u16_e64 0x80, v182
; %bb.3085:                             ;   in Loop: Header=BB4_2570 Depth=4
	s_mov_b32 s37, 0x7f800001
	s_xor_b32 s13, exec_lo, -1
; %bb.3086:                             ;   in Loop: Header=BB4_2570 Depth=4
	s_or_b32 exec_lo, exec_lo, s39
	s_delay_alu instid0(SALU_CYCLE_1)
	s_and_b32 s13, s13, exec_lo
                                        ; implicit-def: $vgpr182
	s_or_saveexec_b32 s38, s38
	v_mov_b32_e32 v181, s37
	s_xor_b32 exec_lo, exec_lo, s38
	s_cbranch_execz .LBB4_2664
.LBB4_3087:                             ;   in Loop: Header=BB4_2570 Depth=4
	v_cmp_ne_u16_e64 vcc_lo, 0, v182
	v_mov_b32_e32 v181, 0
	s_and_not1_b32 s13, s13, exec_lo
	s_delay_alu instid0(VALU_DEP_2) | instskip(NEXT) | instid1(SALU_CYCLE_1)
	s_and_b32 vcc_lo, vcc_lo, exec_lo
	s_or_b32 s13, s13, vcc_lo
	s_or_b32 exec_lo, exec_lo, s38
	s_and_saveexec_b32 s37, s13
	s_cbranch_execnz .LBB4_2665
	s_branch .LBB4_2666
.LBB4_3088:                             ;   in Loop: Header=BB4_2570 Depth=4
	s_mov_b32 s13, -1
	s_mov_b32 s39, exec_lo
                                        ; implicit-def: $sgpr37
	v_cmpx_eq_u16_e64 0x80, v181
; %bb.3089:                             ;   in Loop: Header=BB4_2570 Depth=4
	s_mov_b32 s37, 0x7f800001
	s_xor_b32 s13, exec_lo, -1
; %bb.3090:                             ;   in Loop: Header=BB4_2570 Depth=4
	s_or_b32 exec_lo, exec_lo, s39
	s_delay_alu instid0(SALU_CYCLE_1)
	s_and_b32 s13, s13, exec_lo
                                        ; implicit-def: $vgpr181
	s_or_saveexec_b32 s38, s38
	v_mov_b32_e32 v180, s37
	s_xor_b32 exec_lo, exec_lo, s38
	s_cbranch_execz .LBB4_2671
.LBB4_3091:                             ;   in Loop: Header=BB4_2570 Depth=4
	v_cmp_ne_u16_e64 vcc_lo, 0, v181
	v_mov_b32_e32 v180, 0
	s_and_not1_b32 s13, s13, exec_lo
	s_delay_alu instid0(VALU_DEP_2) | instskip(NEXT) | instid1(SALU_CYCLE_1)
	s_and_b32 vcc_lo, vcc_lo, exec_lo
	s_or_b32 s13, s13, vcc_lo
	s_or_b32 exec_lo, exec_lo, s38
	s_and_saveexec_b32 s37, s13
	s_cbranch_execnz .LBB4_2672
	s_branch .LBB4_2673
.LBB4_3092:                             ;   in Loop: Header=BB4_2570 Depth=4
	s_mov_b32 s13, -1
	s_mov_b32 s39, exec_lo
                                        ; implicit-def: $sgpr37
	v_cmpx_eq_u16_e64 0x80, v181
; %bb.3093:                             ;   in Loop: Header=BB4_2570 Depth=4
	s_mov_b32 s37, 0x7f800001
	s_xor_b32 s13, exec_lo, -1
; %bb.3094:                             ;   in Loop: Header=BB4_2570 Depth=4
	s_or_b32 exec_lo, exec_lo, s39
	s_delay_alu instid0(SALU_CYCLE_1)
	s_and_b32 s13, s13, exec_lo
                                        ; implicit-def: $vgpr181
	s_or_saveexec_b32 s38, s38
	v_mov_b32_e32 v179, s37
	s_xor_b32 exec_lo, exec_lo, s38
	s_cbranch_execz .LBB4_2675
.LBB4_3095:                             ;   in Loop: Header=BB4_2570 Depth=4
	v_cmp_ne_u16_e64 vcc_lo, 0, v181
	v_mov_b32_e32 v179, 0
	s_and_not1_b32 s13, s13, exec_lo
	s_delay_alu instid0(VALU_DEP_2) | instskip(NEXT) | instid1(SALU_CYCLE_1)
	s_and_b32 vcc_lo, vcc_lo, exec_lo
	s_or_b32 s13, s13, vcc_lo
	s_or_b32 exec_lo, exec_lo, s38
	s_and_saveexec_b32 s37, s13
	s_cbranch_execnz .LBB4_2676
	s_branch .LBB4_2677
.LBB4_3096:                             ;   in Loop: Header=BB4_2570 Depth=4
	s_mov_b32 s13, -1
	s_mov_b32 s39, exec_lo
                                        ; implicit-def: $sgpr37
	v_cmpx_eq_u16_e64 0x80, v180
; %bb.3097:                             ;   in Loop: Header=BB4_2570 Depth=4
	s_mov_b32 s37, 0x7f800001
	s_xor_b32 s13, exec_lo, -1
; %bb.3098:                             ;   in Loop: Header=BB4_2570 Depth=4
	s_or_b32 exec_lo, exec_lo, s39
	s_delay_alu instid0(SALU_CYCLE_1)
	s_and_b32 s13, s13, exec_lo
                                        ; implicit-def: $vgpr180
	s_or_saveexec_b32 s38, s38
	v_mov_b32_e32 v179, s37
	s_xor_b32 exec_lo, exec_lo, s38
	s_cbranch_execz .LBB4_2689
.LBB4_3099:                             ;   in Loop: Header=BB4_2570 Depth=4
	v_cmp_ne_u16_e64 vcc_lo, 0, v180
	v_mov_b32_e32 v179, 0
	s_and_not1_b32 s13, s13, exec_lo
	s_delay_alu instid0(VALU_DEP_2) | instskip(NEXT) | instid1(SALU_CYCLE_1)
	s_and_b32 vcc_lo, vcc_lo, exec_lo
	s_or_b32 s13, s13, vcc_lo
	s_or_b32 exec_lo, exec_lo, s38
	s_and_saveexec_b32 s37, s13
	s_cbranch_execnz .LBB4_2690
	s_branch .LBB4_2691
.LBB4_3100:                             ;   in Loop: Header=BB4_2570 Depth=4
	s_mov_b32 s13, -1
	s_mov_b32 s39, exec_lo
                                        ; implicit-def: $sgpr37
	v_cmpx_eq_u16_e64 0x80, v181
; %bb.3101:                             ;   in Loop: Header=BB4_2570 Depth=4
	s_mov_b32 s37, 0x7f800001
	s_xor_b32 s13, exec_lo, -1
; %bb.3102:                             ;   in Loop: Header=BB4_2570 Depth=4
	s_or_b32 exec_lo, exec_lo, s39
	s_delay_alu instid0(SALU_CYCLE_1)
	s_and_b32 s13, s13, exec_lo
                                        ; implicit-def: $vgpr181
	s_or_saveexec_b32 s38, s38
	v_mov_b32_e32 v180, s37
	s_xor_b32 exec_lo, exec_lo, s38
	s_cbranch_execz .LBB4_2693
.LBB4_3103:                             ;   in Loop: Header=BB4_2570 Depth=4
	v_cmp_ne_u16_e64 vcc_lo, 0, v181
	v_mov_b32_e32 v180, 0
	s_and_not1_b32 s13, s13, exec_lo
	s_delay_alu instid0(VALU_DEP_2) | instskip(NEXT) | instid1(SALU_CYCLE_1)
	s_and_b32 vcc_lo, vcc_lo, exec_lo
	s_or_b32 s13, s13, vcc_lo
	s_or_b32 exec_lo, exec_lo, s38
	s_and_saveexec_b32 s37, s13
	s_cbranch_execnz .LBB4_2694
	s_branch .LBB4_2695
.LBB4_3104:                             ;   in Loop: Header=BB4_2570 Depth=4
	s_mov_b32 s13, -1
	s_mov_b32 s39, exec_lo
                                        ; implicit-def: $sgpr37
	v_cmpx_eq_u16_e64 0x80, v180
; %bb.3105:                             ;   in Loop: Header=BB4_2570 Depth=4
	s_mov_b32 s37, 0x7f800001
	s_xor_b32 s13, exec_lo, -1
; %bb.3106:                             ;   in Loop: Header=BB4_2570 Depth=4
	s_or_b32 exec_lo, exec_lo, s39
	s_delay_alu instid0(SALU_CYCLE_1)
	s_and_b32 s13, s13, exec_lo
                                        ; implicit-def: $vgpr180
	s_or_saveexec_b32 s38, s38
	v_mov_b32_e32 v179, s37
	s_xor_b32 exec_lo, exec_lo, s38
	s_cbranch_execz .LBB4_2700
.LBB4_3107:                             ;   in Loop: Header=BB4_2570 Depth=4
	v_cmp_ne_u16_e64 vcc_lo, 0, v180
	v_mov_b32_e32 v179, 0
	s_and_not1_b32 s13, s13, exec_lo
	s_delay_alu instid0(VALU_DEP_2) | instskip(NEXT) | instid1(SALU_CYCLE_1)
	s_and_b32 vcc_lo, vcc_lo, exec_lo
	s_or_b32 s13, s13, vcc_lo
	s_or_b32 exec_lo, exec_lo, s38
	s_and_saveexec_b32 s37, s13
	s_cbranch_execnz .LBB4_2701
	s_branch .LBB4_2702
.LBB4_3108:                             ;   in Loop: Header=BB4_2570 Depth=4
	s_mov_b32 s13, -1
	s_mov_b32 s39, exec_lo
                                        ; implicit-def: $sgpr37
	v_cmpx_eq_u16_e64 0x80, v180
; %bb.3109:                             ;   in Loop: Header=BB4_2570 Depth=4
	s_mov_b32 s37, 0x7f800001
	s_xor_b32 s13, exec_lo, -1
; %bb.3110:                             ;   in Loop: Header=BB4_2570 Depth=4
	s_or_b32 exec_lo, exec_lo, s39
	s_delay_alu instid0(SALU_CYCLE_1)
	s_and_b32 s13, s13, exec_lo
                                        ; implicit-def: $vgpr180
	s_or_saveexec_b32 s38, s38
	v_mov_b32_e32 v178, s37
	s_xor_b32 exec_lo, exec_lo, s38
	s_cbranch_execz .LBB4_2704
.LBB4_3111:                             ;   in Loop: Header=BB4_2570 Depth=4
	v_cmp_ne_u16_e64 vcc_lo, 0, v180
	v_mov_b32_e32 v178, 0
	s_and_not1_b32 s13, s13, exec_lo
	s_delay_alu instid0(VALU_DEP_2) | instskip(NEXT) | instid1(SALU_CYCLE_1)
	s_and_b32 vcc_lo, vcc_lo, exec_lo
	s_or_b32 s13, s13, vcc_lo
	s_or_b32 exec_lo, exec_lo, s38
	s_and_saveexec_b32 s37, s13
	s_cbranch_execnz .LBB4_2705
	s_branch .LBB4_2706
.LBB4_3112:                             ;   in Loop: Header=BB4_2570 Depth=4
	s_mov_b32 s13, -1
	s_mov_b32 s39, exec_lo
                                        ; implicit-def: $sgpr37
	v_cmpx_eq_u16_e64 0x80, v179
; %bb.3113:                             ;   in Loop: Header=BB4_2570 Depth=4
	s_mov_b32 s37, 0x7f800001
	s_xor_b32 s13, exec_lo, -1
; %bb.3114:                             ;   in Loop: Header=BB4_2570 Depth=4
	s_or_b32 exec_lo, exec_lo, s39
	s_delay_alu instid0(SALU_CYCLE_1)
	s_and_b32 s13, s13, exec_lo
                                        ; implicit-def: $vgpr179
	s_or_saveexec_b32 s38, s38
	v_mov_b32_e32 v178, s37
	s_xor_b32 exec_lo, exec_lo, s38
	s_cbranch_execz .LBB4_2718
.LBB4_3115:                             ;   in Loop: Header=BB4_2570 Depth=4
	v_cmp_ne_u16_e64 vcc_lo, 0, v179
	v_mov_b32_e32 v178, 0
	s_and_not1_b32 s13, s13, exec_lo
	s_delay_alu instid0(VALU_DEP_2) | instskip(NEXT) | instid1(SALU_CYCLE_1)
	s_and_b32 vcc_lo, vcc_lo, exec_lo
	s_or_b32 s13, s13, vcc_lo
	s_or_b32 exec_lo, exec_lo, s38
	s_and_saveexec_b32 s37, s13
	s_cbranch_execnz .LBB4_2719
	s_branch .LBB4_2720
.LBB4_3116:                             ;   in Loop: Header=BB4_2570 Depth=4
	s_mov_b32 s13, -1
	s_mov_b32 s39, exec_lo
                                        ; implicit-def: $sgpr37
	v_cmpx_eq_u16_e64 0x80, v180
; %bb.3117:                             ;   in Loop: Header=BB4_2570 Depth=4
	s_mov_b32 s37, 0x7f800001
	s_xor_b32 s13, exec_lo, -1
; %bb.3118:                             ;   in Loop: Header=BB4_2570 Depth=4
	s_or_b32 exec_lo, exec_lo, s39
	s_delay_alu instid0(SALU_CYCLE_1)
	s_and_b32 s13, s13, exec_lo
                                        ; implicit-def: $vgpr180
	s_or_saveexec_b32 s38, s38
	v_mov_b32_e32 v179, s37
	s_xor_b32 exec_lo, exec_lo, s38
	s_cbranch_execz .LBB4_2722
.LBB4_3119:                             ;   in Loop: Header=BB4_2570 Depth=4
	v_cmp_ne_u16_e64 vcc_lo, 0, v180
	v_mov_b32_e32 v179, 0
	s_and_not1_b32 s13, s13, exec_lo
	s_delay_alu instid0(VALU_DEP_2) | instskip(NEXT) | instid1(SALU_CYCLE_1)
	s_and_b32 vcc_lo, vcc_lo, exec_lo
	s_or_b32 s13, s13, vcc_lo
	s_or_b32 exec_lo, exec_lo, s38
	s_and_saveexec_b32 s37, s13
	s_cbranch_execnz .LBB4_2723
	s_branch .LBB4_2724
.LBB4_3120:                             ;   in Loop: Header=BB4_2570 Depth=4
	s_mov_b32 s13, -1
	s_mov_b32 s39, exec_lo
                                        ; implicit-def: $sgpr37
	v_cmpx_eq_u16_e64 0x80, v179
; %bb.3121:                             ;   in Loop: Header=BB4_2570 Depth=4
	s_mov_b32 s37, 0x7f800001
	s_xor_b32 s13, exec_lo, -1
; %bb.3122:                             ;   in Loop: Header=BB4_2570 Depth=4
	s_or_b32 exec_lo, exec_lo, s39
	s_delay_alu instid0(SALU_CYCLE_1)
	s_and_b32 s13, s13, exec_lo
                                        ; implicit-def: $vgpr179
	s_or_saveexec_b32 s38, s38
	v_mov_b32_e32 v178, s37
	s_xor_b32 exec_lo, exec_lo, s38
	s_cbranch_execz .LBB4_2729
.LBB4_3123:                             ;   in Loop: Header=BB4_2570 Depth=4
	v_cmp_ne_u16_e64 vcc_lo, 0, v179
	v_mov_b32_e32 v178, 0
	s_and_not1_b32 s13, s13, exec_lo
	s_delay_alu instid0(VALU_DEP_2) | instskip(NEXT) | instid1(SALU_CYCLE_1)
	s_and_b32 vcc_lo, vcc_lo, exec_lo
	s_or_b32 s13, s13, vcc_lo
	s_or_b32 exec_lo, exec_lo, s38
	s_and_saveexec_b32 s37, s13
	s_cbranch_execnz .LBB4_2730
	s_branch .LBB4_2731
.LBB4_3124:                             ;   in Loop: Header=BB4_2570 Depth=4
	s_mov_b32 s13, -1
	s_mov_b32 s39, exec_lo
                                        ; implicit-def: $sgpr37
	v_cmpx_eq_u16_e64 0x80, v179
; %bb.3125:                             ;   in Loop: Header=BB4_2570 Depth=4
	s_mov_b32 s37, 0x7f800001
	s_xor_b32 s13, exec_lo, -1
; %bb.3126:                             ;   in Loop: Header=BB4_2570 Depth=4
	s_or_b32 exec_lo, exec_lo, s39
	s_delay_alu instid0(SALU_CYCLE_1)
	s_and_b32 s13, s13, exec_lo
                                        ; implicit-def: $vgpr179
	s_or_saveexec_b32 s38, s38
	v_mov_b32_e32 v177, s37
	s_xor_b32 exec_lo, exec_lo, s38
	s_cbranch_execz .LBB4_2733
.LBB4_3127:                             ;   in Loop: Header=BB4_2570 Depth=4
	v_cmp_ne_u16_e64 vcc_lo, 0, v179
	v_mov_b32_e32 v177, 0
	s_and_not1_b32 s13, s13, exec_lo
	s_delay_alu instid0(VALU_DEP_2) | instskip(NEXT) | instid1(SALU_CYCLE_1)
	s_and_b32 vcc_lo, vcc_lo, exec_lo
	s_or_b32 s13, s13, vcc_lo
	s_or_b32 exec_lo, exec_lo, s38
	s_and_saveexec_b32 s37, s13
	s_cbranch_execnz .LBB4_2734
	s_branch .LBB4_2735
.LBB4_3128:                             ;   in Loop: Header=BB4_2570 Depth=4
	s_mov_b32 s13, -1
	s_mov_b32 s39, exec_lo
                                        ; implicit-def: $sgpr37
	v_cmpx_eq_u16_e64 0x80, v178
; %bb.3129:                             ;   in Loop: Header=BB4_2570 Depth=4
	s_mov_b32 s37, 0x7f800001
	s_xor_b32 s13, exec_lo, -1
; %bb.3130:                             ;   in Loop: Header=BB4_2570 Depth=4
	s_or_b32 exec_lo, exec_lo, s39
	s_delay_alu instid0(SALU_CYCLE_1)
	s_and_b32 s13, s13, exec_lo
                                        ; implicit-def: $vgpr178
	s_or_saveexec_b32 s38, s38
	v_mov_b32_e32 v177, s37
	s_xor_b32 exec_lo, exec_lo, s38
	s_cbranch_execz .LBB4_2747
.LBB4_3131:                             ;   in Loop: Header=BB4_2570 Depth=4
	v_cmp_ne_u16_e64 vcc_lo, 0, v178
	v_mov_b32_e32 v177, 0
	s_and_not1_b32 s13, s13, exec_lo
	s_delay_alu instid0(VALU_DEP_2) | instskip(NEXT) | instid1(SALU_CYCLE_1)
	s_and_b32 vcc_lo, vcc_lo, exec_lo
	s_or_b32 s13, s13, vcc_lo
	s_or_b32 exec_lo, exec_lo, s38
	s_and_saveexec_b32 s37, s13
	s_cbranch_execnz .LBB4_2748
	s_branch .LBB4_2749
.LBB4_3132:                             ;   in Loop: Header=BB4_2570 Depth=4
	s_mov_b32 s13, -1
	s_mov_b32 s39, exec_lo
                                        ; implicit-def: $sgpr37
	v_cmpx_eq_u16_e64 0x80, v179
; %bb.3133:                             ;   in Loop: Header=BB4_2570 Depth=4
	s_mov_b32 s37, 0x7f800001
	s_xor_b32 s13, exec_lo, -1
; %bb.3134:                             ;   in Loop: Header=BB4_2570 Depth=4
	s_or_b32 exec_lo, exec_lo, s39
	s_delay_alu instid0(SALU_CYCLE_1)
	s_and_b32 s13, s13, exec_lo
                                        ; implicit-def: $vgpr179
	s_or_saveexec_b32 s38, s38
	v_mov_b32_e32 v178, s37
	s_xor_b32 exec_lo, exec_lo, s38
	s_cbranch_execz .LBB4_2751
.LBB4_3135:                             ;   in Loop: Header=BB4_2570 Depth=4
	v_cmp_ne_u16_e64 vcc_lo, 0, v179
	v_mov_b32_e32 v178, 0
	s_and_not1_b32 s13, s13, exec_lo
	s_delay_alu instid0(VALU_DEP_2) | instskip(NEXT) | instid1(SALU_CYCLE_1)
	s_and_b32 vcc_lo, vcc_lo, exec_lo
	s_or_b32 s13, s13, vcc_lo
	s_or_b32 exec_lo, exec_lo, s38
	s_and_saveexec_b32 s37, s13
	s_cbranch_execnz .LBB4_2752
	s_branch .LBB4_2753
.LBB4_3136:                             ;   in Loop: Header=BB4_2570 Depth=4
	s_mov_b32 s13, -1
	s_mov_b32 s39, exec_lo
                                        ; implicit-def: $sgpr37
	v_cmpx_eq_u16_e64 0x80, v178
; %bb.3137:                             ;   in Loop: Header=BB4_2570 Depth=4
	s_mov_b32 s37, 0x7f800001
	s_xor_b32 s13, exec_lo, -1
; %bb.3138:                             ;   in Loop: Header=BB4_2570 Depth=4
	s_or_b32 exec_lo, exec_lo, s39
	s_delay_alu instid0(SALU_CYCLE_1)
	s_and_b32 s13, s13, exec_lo
                                        ; implicit-def: $vgpr178
	s_or_saveexec_b32 s38, s38
	v_mov_b32_e32 v177, s37
	s_xor_b32 exec_lo, exec_lo, s38
	s_cbranch_execz .LBB4_2758
.LBB4_3139:                             ;   in Loop: Header=BB4_2570 Depth=4
	v_cmp_ne_u16_e64 vcc_lo, 0, v178
	v_mov_b32_e32 v177, 0
	s_and_not1_b32 s13, s13, exec_lo
	s_delay_alu instid0(VALU_DEP_2) | instskip(NEXT) | instid1(SALU_CYCLE_1)
	s_and_b32 vcc_lo, vcc_lo, exec_lo
	s_or_b32 s13, s13, vcc_lo
	s_or_b32 exec_lo, exec_lo, s38
	s_and_saveexec_b32 s37, s13
	s_cbranch_execnz .LBB4_2759
	s_branch .LBB4_2760
.LBB4_3140:                             ;   in Loop: Header=BB4_2570 Depth=4
	s_mov_b32 s13, -1
	s_mov_b32 s39, exec_lo
                                        ; implicit-def: $sgpr37
	v_cmpx_eq_u16_e64 0x80, v178
; %bb.3141:                             ;   in Loop: Header=BB4_2570 Depth=4
	s_mov_b32 s37, 0x7f800001
	s_xor_b32 s13, exec_lo, -1
; %bb.3142:                             ;   in Loop: Header=BB4_2570 Depth=4
	s_or_b32 exec_lo, exec_lo, s39
	s_delay_alu instid0(SALU_CYCLE_1)
	s_and_b32 s13, s13, exec_lo
                                        ; implicit-def: $vgpr178
	s_or_saveexec_b32 s38, s38
	v_mov_b32_e32 v176, s37
	s_xor_b32 exec_lo, exec_lo, s38
	s_cbranch_execz .LBB4_2762
.LBB4_3143:                             ;   in Loop: Header=BB4_2570 Depth=4
	v_cmp_ne_u16_e64 vcc_lo, 0, v178
	v_mov_b32_e32 v176, 0
	s_and_not1_b32 s13, s13, exec_lo
	s_delay_alu instid0(VALU_DEP_2) | instskip(NEXT) | instid1(SALU_CYCLE_1)
	s_and_b32 vcc_lo, vcc_lo, exec_lo
	s_or_b32 s13, s13, vcc_lo
	s_or_b32 exec_lo, exec_lo, s38
	s_and_saveexec_b32 s37, s13
	s_cbranch_execnz .LBB4_2763
	s_branch .LBB4_2764
.LBB4_3144:                             ;   in Loop: Header=BB4_2570 Depth=4
	s_mov_b32 s13, -1
	s_mov_b32 s39, exec_lo
                                        ; implicit-def: $sgpr37
	v_cmpx_eq_u16_e64 0x80, v177
; %bb.3145:                             ;   in Loop: Header=BB4_2570 Depth=4
	s_mov_b32 s37, 0x7f800001
	s_xor_b32 s13, exec_lo, -1
; %bb.3146:                             ;   in Loop: Header=BB4_2570 Depth=4
	s_or_b32 exec_lo, exec_lo, s39
	s_delay_alu instid0(SALU_CYCLE_1)
	s_and_b32 s13, s13, exec_lo
                                        ; implicit-def: $vgpr177
	s_or_saveexec_b32 s38, s38
	v_mov_b32_e32 v176, s37
	s_xor_b32 exec_lo, exec_lo, s38
	s_cbranch_execz .LBB4_2776
.LBB4_3147:                             ;   in Loop: Header=BB4_2570 Depth=4
	v_cmp_ne_u16_e64 vcc_lo, 0, v177
	v_mov_b32_e32 v176, 0
	s_and_not1_b32 s13, s13, exec_lo
	s_delay_alu instid0(VALU_DEP_2) | instskip(NEXT) | instid1(SALU_CYCLE_1)
	s_and_b32 vcc_lo, vcc_lo, exec_lo
	s_or_b32 s13, s13, vcc_lo
	s_or_b32 exec_lo, exec_lo, s38
	s_and_saveexec_b32 s37, s13
	s_cbranch_execnz .LBB4_2777
	s_branch .LBB4_2778
.LBB4_3148:                             ;   in Loop: Header=BB4_2570 Depth=4
	s_mov_b32 s13, -1
	s_mov_b32 s39, exec_lo
                                        ; implicit-def: $sgpr37
	v_cmpx_eq_u16_e64 0x80, v178
; %bb.3149:                             ;   in Loop: Header=BB4_2570 Depth=4
	s_mov_b32 s37, 0x7f800001
	s_xor_b32 s13, exec_lo, -1
; %bb.3150:                             ;   in Loop: Header=BB4_2570 Depth=4
	s_or_b32 exec_lo, exec_lo, s39
	s_delay_alu instid0(SALU_CYCLE_1)
	s_and_b32 s13, s13, exec_lo
                                        ; implicit-def: $vgpr178
	s_or_saveexec_b32 s38, s38
	v_mov_b32_e32 v177, s37
	s_xor_b32 exec_lo, exec_lo, s38
	s_cbranch_execz .LBB4_2780
.LBB4_3151:                             ;   in Loop: Header=BB4_2570 Depth=4
	v_cmp_ne_u16_e64 vcc_lo, 0, v178
	v_mov_b32_e32 v177, 0
	s_and_not1_b32 s13, s13, exec_lo
	s_delay_alu instid0(VALU_DEP_2) | instskip(NEXT) | instid1(SALU_CYCLE_1)
	s_and_b32 vcc_lo, vcc_lo, exec_lo
	s_or_b32 s13, s13, vcc_lo
	s_or_b32 exec_lo, exec_lo, s38
	s_and_saveexec_b32 s37, s13
	s_cbranch_execnz .LBB4_2781
	s_branch .LBB4_2782
.LBB4_3152:                             ;   in Loop: Header=BB4_2570 Depth=4
	s_mov_b32 s13, -1
	s_mov_b32 s39, exec_lo
                                        ; implicit-def: $sgpr37
	v_cmpx_eq_u16_e64 0x80, v177
; %bb.3153:                             ;   in Loop: Header=BB4_2570 Depth=4
	s_mov_b32 s37, 0x7f800001
	s_xor_b32 s13, exec_lo, -1
; %bb.3154:                             ;   in Loop: Header=BB4_2570 Depth=4
	s_or_b32 exec_lo, exec_lo, s39
	s_delay_alu instid0(SALU_CYCLE_1)
	s_and_b32 s13, s13, exec_lo
                                        ; implicit-def: $vgpr177
	s_or_saveexec_b32 s38, s38
	v_mov_b32_e32 v176, s37
	s_xor_b32 exec_lo, exec_lo, s38
	s_cbranch_execz .LBB4_2787
.LBB4_3155:                             ;   in Loop: Header=BB4_2570 Depth=4
	v_cmp_ne_u16_e64 vcc_lo, 0, v177
	v_mov_b32_e32 v176, 0
	s_and_not1_b32 s13, s13, exec_lo
	s_delay_alu instid0(VALU_DEP_2) | instskip(NEXT) | instid1(SALU_CYCLE_1)
	s_and_b32 vcc_lo, vcc_lo, exec_lo
	s_or_b32 s13, s13, vcc_lo
	s_or_b32 exec_lo, exec_lo, s38
	s_and_saveexec_b32 s37, s13
	s_cbranch_execnz .LBB4_2788
	s_branch .LBB4_2789
.LBB4_3156:                             ;   in Loop: Header=BB4_2570 Depth=4
	s_mov_b32 s13, -1
	s_mov_b32 s39, exec_lo
                                        ; implicit-def: $sgpr37
	v_cmpx_eq_u16_e64 0x80, v177
; %bb.3157:                             ;   in Loop: Header=BB4_2570 Depth=4
	s_mov_b32 s37, 0x7f800001
	s_xor_b32 s13, exec_lo, -1
; %bb.3158:                             ;   in Loop: Header=BB4_2570 Depth=4
	s_or_b32 exec_lo, exec_lo, s39
	s_delay_alu instid0(SALU_CYCLE_1)
	s_and_b32 s13, s13, exec_lo
                                        ; implicit-def: $vgpr177
	s_or_saveexec_b32 s38, s38
	v_mov_b32_e32 v167, s37
	s_xor_b32 exec_lo, exec_lo, s38
	s_cbranch_execz .LBB4_2791
.LBB4_3159:                             ;   in Loop: Header=BB4_2570 Depth=4
	v_cmp_ne_u16_e64 vcc_lo, 0, v177
	v_mov_b32_e32 v167, 0
	s_and_not1_b32 s13, s13, exec_lo
	s_delay_alu instid0(VALU_DEP_2) | instskip(NEXT) | instid1(SALU_CYCLE_1)
	s_and_b32 vcc_lo, vcc_lo, exec_lo
	s_or_b32 s13, s13, vcc_lo
	s_or_b32 exec_lo, exec_lo, s38
	s_and_saveexec_b32 s37, s13
	s_cbranch_execnz .LBB4_2792
	s_branch .LBB4_2793
.LBB4_3160:                             ;   in Loop: Header=BB4_2570 Depth=4
	s_mov_b32 s13, -1
	s_mov_b32 s39, exec_lo
                                        ; implicit-def: $sgpr37
	v_cmpx_eq_u16_e64 0x80, v176
; %bb.3161:                             ;   in Loop: Header=BB4_2570 Depth=4
	s_mov_b32 s37, 0x7f800001
	s_xor_b32 s13, exec_lo, -1
; %bb.3162:                             ;   in Loop: Header=BB4_2570 Depth=4
	s_or_b32 exec_lo, exec_lo, s39
	s_delay_alu instid0(SALU_CYCLE_1)
	s_and_b32 s13, s13, exec_lo
                                        ; implicit-def: $vgpr176
	s_or_saveexec_b32 s38, s38
	v_mov_b32_e32 v167, s37
	s_xor_b32 exec_lo, exec_lo, s38
	s_cbranch_execz .LBB4_2805
.LBB4_3163:                             ;   in Loop: Header=BB4_2570 Depth=4
	v_cmp_ne_u16_e64 vcc_lo, 0, v176
	v_mov_b32_e32 v167, 0
	s_and_not1_b32 s13, s13, exec_lo
	s_delay_alu instid0(VALU_DEP_2) | instskip(NEXT) | instid1(SALU_CYCLE_1)
	s_and_b32 vcc_lo, vcc_lo, exec_lo
	s_or_b32 s13, s13, vcc_lo
	s_or_b32 exec_lo, exec_lo, s38
	s_and_saveexec_b32 s37, s13
	s_cbranch_execnz .LBB4_2806
	s_branch .LBB4_2807
.LBB4_3164:                             ;   in Loop: Header=BB4_2570 Depth=4
	s_mov_b32 s13, -1
	s_mov_b32 s39, exec_lo
                                        ; implicit-def: $sgpr37
	v_cmpx_eq_u16_e64 0x80, v177
; %bb.3165:                             ;   in Loop: Header=BB4_2570 Depth=4
	s_mov_b32 s37, 0x7f800001
	s_xor_b32 s13, exec_lo, -1
; %bb.3166:                             ;   in Loop: Header=BB4_2570 Depth=4
	s_or_b32 exec_lo, exec_lo, s39
	s_delay_alu instid0(SALU_CYCLE_1)
	s_and_b32 s13, s13, exec_lo
                                        ; implicit-def: $vgpr177
	s_or_saveexec_b32 s38, s38
	v_mov_b32_e32 v176, s37
	s_xor_b32 exec_lo, exec_lo, s38
	s_cbranch_execz .LBB4_2809
.LBB4_3167:                             ;   in Loop: Header=BB4_2570 Depth=4
	v_cmp_ne_u16_e64 vcc_lo, 0, v177
	v_mov_b32_e32 v176, 0
	s_and_not1_b32 s13, s13, exec_lo
	s_delay_alu instid0(VALU_DEP_2) | instskip(NEXT) | instid1(SALU_CYCLE_1)
	s_and_b32 vcc_lo, vcc_lo, exec_lo
	s_or_b32 s13, s13, vcc_lo
	s_or_b32 exec_lo, exec_lo, s38
	s_and_saveexec_b32 s37, s13
	s_cbranch_execnz .LBB4_2810
	s_branch .LBB4_2811
.LBB4_3168:                             ;   in Loop: Header=BB4_2570 Depth=4
	s_mov_b32 s13, -1
	s_mov_b32 s39, exec_lo
                                        ; implicit-def: $sgpr37
	v_cmpx_eq_u16_e64 0x80, v176
; %bb.3169:                             ;   in Loop: Header=BB4_2570 Depth=4
	s_mov_b32 s37, 0x7f800001
	s_xor_b32 s13, exec_lo, -1
; %bb.3170:                             ;   in Loop: Header=BB4_2570 Depth=4
	s_or_b32 exec_lo, exec_lo, s39
	s_delay_alu instid0(SALU_CYCLE_1)
	s_and_b32 s13, s13, exec_lo
                                        ; implicit-def: $vgpr176
	s_or_saveexec_b32 s38, s38
	v_mov_b32_e32 v167, s37
	s_xor_b32 exec_lo, exec_lo, s38
	s_cbranch_execz .LBB4_2816
.LBB4_3171:                             ;   in Loop: Header=BB4_2570 Depth=4
	v_cmp_ne_u16_e64 vcc_lo, 0, v176
	v_mov_b32_e32 v167, 0
	s_and_not1_b32 s13, s13, exec_lo
	s_delay_alu instid0(VALU_DEP_2) | instskip(NEXT) | instid1(SALU_CYCLE_1)
	s_and_b32 vcc_lo, vcc_lo, exec_lo
	s_or_b32 s13, s13, vcc_lo
	s_or_b32 exec_lo, exec_lo, s38
	s_and_saveexec_b32 s37, s13
	s_cbranch_execnz .LBB4_2817
	s_branch .LBB4_2818
.LBB4_3172:                             ;   in Loop: Header=BB4_2570 Depth=4
	s_mov_b32 s13, -1
	s_mov_b32 s39, exec_lo
                                        ; implicit-def: $sgpr37
	v_cmpx_eq_u16_e64 0x80, v176
; %bb.3173:                             ;   in Loop: Header=BB4_2570 Depth=4
	s_mov_b32 s37, 0x7f800001
	s_xor_b32 s13, exec_lo, -1
; %bb.3174:                             ;   in Loop: Header=BB4_2570 Depth=4
	s_or_b32 exec_lo, exec_lo, s39
	s_delay_alu instid0(SALU_CYCLE_1)
	s_and_b32 s13, s13, exec_lo
                                        ; implicit-def: $vgpr176
	s_or_saveexec_b32 s38, s38
	v_mov_b32_e32 v165, s37
	s_xor_b32 exec_lo, exec_lo, s38
	s_cbranch_execz .LBB4_2820
.LBB4_3175:                             ;   in Loop: Header=BB4_2570 Depth=4
	v_cmp_ne_u16_e64 vcc_lo, 0, v176
	v_mov_b32_e32 v165, 0
	s_and_not1_b32 s13, s13, exec_lo
	s_delay_alu instid0(VALU_DEP_2) | instskip(NEXT) | instid1(SALU_CYCLE_1)
	s_and_b32 vcc_lo, vcc_lo, exec_lo
	s_or_b32 s13, s13, vcc_lo
	s_or_b32 exec_lo, exec_lo, s38
	s_and_saveexec_b32 s37, s13
	s_cbranch_execnz .LBB4_2821
	s_branch .LBB4_2822
.LBB4_3176:                             ;   in Loop: Header=BB4_2570 Depth=4
	s_mov_b32 s13, -1
	s_mov_b32 s39, exec_lo
                                        ; implicit-def: $sgpr37
	v_cmpx_eq_u16_e64 0x80, v167
; %bb.3177:                             ;   in Loop: Header=BB4_2570 Depth=4
	s_mov_b32 s37, 0x7f800001
	s_xor_b32 s13, exec_lo, -1
; %bb.3178:                             ;   in Loop: Header=BB4_2570 Depth=4
	s_or_b32 exec_lo, exec_lo, s39
	s_delay_alu instid0(SALU_CYCLE_1)
	s_and_b32 s13, s13, exec_lo
                                        ; implicit-def: $vgpr167
	s_or_saveexec_b32 s38, s38
	v_mov_b32_e32 v165, s37
	s_xor_b32 exec_lo, exec_lo, s38
	s_cbranch_execz .LBB4_2834
.LBB4_3179:                             ;   in Loop: Header=BB4_2570 Depth=4
	v_cmp_ne_u16_e64 vcc_lo, 0, v167
	v_mov_b32_e32 v165, 0
	s_and_not1_b32 s13, s13, exec_lo
	s_delay_alu instid0(VALU_DEP_2) | instskip(NEXT) | instid1(SALU_CYCLE_1)
	s_and_b32 vcc_lo, vcc_lo, exec_lo
	s_or_b32 s13, s13, vcc_lo
	s_or_b32 exec_lo, exec_lo, s38
	s_and_saveexec_b32 s37, s13
	s_cbranch_execnz .LBB4_2835
	s_branch .LBB4_2836
.LBB4_3180:                             ;   in Loop: Header=BB4_2570 Depth=4
	s_mov_b32 s13, -1
	s_mov_b32 s39, exec_lo
                                        ; implicit-def: $sgpr37
	v_cmpx_eq_u16_e64 0x80, v176
; %bb.3181:                             ;   in Loop: Header=BB4_2570 Depth=4
	s_mov_b32 s37, 0x7f800001
	s_xor_b32 s13, exec_lo, -1
; %bb.3182:                             ;   in Loop: Header=BB4_2570 Depth=4
	s_or_b32 exec_lo, exec_lo, s39
	s_delay_alu instid0(SALU_CYCLE_1)
	s_and_b32 s13, s13, exec_lo
                                        ; implicit-def: $vgpr176
	s_or_saveexec_b32 s38, s38
	v_mov_b32_e32 v167, s37
	s_xor_b32 exec_lo, exec_lo, s38
	s_cbranch_execz .LBB4_2838
.LBB4_3183:                             ;   in Loop: Header=BB4_2570 Depth=4
	v_cmp_ne_u16_e64 vcc_lo, 0, v176
	v_mov_b32_e32 v167, 0
	s_and_not1_b32 s13, s13, exec_lo
	s_delay_alu instid0(VALU_DEP_2) | instskip(NEXT) | instid1(SALU_CYCLE_1)
	s_and_b32 vcc_lo, vcc_lo, exec_lo
	s_or_b32 s13, s13, vcc_lo
	s_or_b32 exec_lo, exec_lo, s38
	s_and_saveexec_b32 s37, s13
	s_cbranch_execnz .LBB4_2839
	s_branch .LBB4_2840
.LBB4_3184:                             ;   in Loop: Header=BB4_2570 Depth=4
	s_mov_b32 s13, -1
	s_mov_b32 s39, exec_lo
                                        ; implicit-def: $sgpr37
	v_cmpx_eq_u16_e64 0x80, v167
; %bb.3185:                             ;   in Loop: Header=BB4_2570 Depth=4
	s_mov_b32 s37, 0x7f800001
	s_xor_b32 s13, exec_lo, -1
; %bb.3186:                             ;   in Loop: Header=BB4_2570 Depth=4
	s_or_b32 exec_lo, exec_lo, s39
	s_delay_alu instid0(SALU_CYCLE_1)
	s_and_b32 s13, s13, exec_lo
                                        ; implicit-def: $vgpr167
	s_or_saveexec_b32 s38, s38
	v_mov_b32_e32 v165, s37
	s_xor_b32 exec_lo, exec_lo, s38
	s_cbranch_execz .LBB4_2845
.LBB4_3187:                             ;   in Loop: Header=BB4_2570 Depth=4
	v_cmp_ne_u16_e64 vcc_lo, 0, v167
	v_mov_b32_e32 v165, 0
	s_and_not1_b32 s13, s13, exec_lo
	s_delay_alu instid0(VALU_DEP_2) | instskip(NEXT) | instid1(SALU_CYCLE_1)
	s_and_b32 vcc_lo, vcc_lo, exec_lo
	s_or_b32 s13, s13, vcc_lo
	s_or_b32 exec_lo, exec_lo, s38
	s_and_saveexec_b32 s37, s13
	s_cbranch_execnz .LBB4_2846
	s_branch .LBB4_2847
.LBB4_3188:                             ;   in Loop: Header=BB4_2570 Depth=4
	s_mov_b32 s13, -1
	s_mov_b32 s39, exec_lo
                                        ; implicit-def: $sgpr37
	v_cmpx_eq_u16_e64 0x80, v167
; %bb.3189:                             ;   in Loop: Header=BB4_2570 Depth=4
	s_mov_b32 s37, 0x7f800001
	s_xor_b32 s13, exec_lo, -1
; %bb.3190:                             ;   in Loop: Header=BB4_2570 Depth=4
	s_or_b32 exec_lo, exec_lo, s39
	s_delay_alu instid0(SALU_CYCLE_1)
	s_and_b32 s13, s13, exec_lo
                                        ; implicit-def: $vgpr167
	s_or_saveexec_b32 s38, s38
	v_mov_b32_e32 v162, s37
	s_xor_b32 exec_lo, exec_lo, s38
	s_cbranch_execz .LBB4_2849
.LBB4_3191:                             ;   in Loop: Header=BB4_2570 Depth=4
	v_cmp_ne_u16_e64 vcc_lo, 0, v167
	v_mov_b32_e32 v162, 0
	s_and_not1_b32 s13, s13, exec_lo
	s_delay_alu instid0(VALU_DEP_2) | instskip(NEXT) | instid1(SALU_CYCLE_1)
	s_and_b32 vcc_lo, vcc_lo, exec_lo
	s_or_b32 s13, s13, vcc_lo
	s_or_b32 exec_lo, exec_lo, s38
	s_and_saveexec_b32 s37, s13
	s_cbranch_execnz .LBB4_2850
	s_branch .LBB4_2851
.LBB4_3192:                             ;   in Loop: Header=BB4_2570 Depth=4
	s_mov_b32 s13, -1
	s_mov_b32 s39, exec_lo
                                        ; implicit-def: $sgpr37
	v_cmpx_eq_u16_e64 0x80, v165
; %bb.3193:                             ;   in Loop: Header=BB4_2570 Depth=4
	s_mov_b32 s37, 0x7f800001
	s_xor_b32 s13, exec_lo, -1
; %bb.3194:                             ;   in Loop: Header=BB4_2570 Depth=4
	s_or_b32 exec_lo, exec_lo, s39
	s_delay_alu instid0(SALU_CYCLE_1)
	s_and_b32 s13, s13, exec_lo
                                        ; implicit-def: $vgpr165
	s_or_saveexec_b32 s38, s38
	v_mov_b32_e32 v162, s37
	s_xor_b32 exec_lo, exec_lo, s38
	s_cbranch_execz .LBB4_2863
.LBB4_3195:                             ;   in Loop: Header=BB4_2570 Depth=4
	v_cmp_ne_u16_e64 vcc_lo, 0, v165
	v_mov_b32_e32 v162, 0
	s_and_not1_b32 s13, s13, exec_lo
	s_delay_alu instid0(VALU_DEP_2) | instskip(NEXT) | instid1(SALU_CYCLE_1)
	s_and_b32 vcc_lo, vcc_lo, exec_lo
	s_or_b32 s13, s13, vcc_lo
	s_or_b32 exec_lo, exec_lo, s38
	s_and_saveexec_b32 s37, s13
	s_cbranch_execnz .LBB4_2864
	s_branch .LBB4_2865
.LBB4_3196:                             ;   in Loop: Header=BB4_2570 Depth=4
	s_mov_b32 s13, -1
	s_mov_b32 s39, exec_lo
                                        ; implicit-def: $sgpr37
	v_cmpx_eq_u16_e64 0x80, v167
; %bb.3197:                             ;   in Loop: Header=BB4_2570 Depth=4
	s_mov_b32 s37, 0x7f800001
	s_xor_b32 s13, exec_lo, -1
; %bb.3198:                             ;   in Loop: Header=BB4_2570 Depth=4
	s_or_b32 exec_lo, exec_lo, s39
	s_delay_alu instid0(SALU_CYCLE_1)
	s_and_b32 s13, s13, exec_lo
                                        ; implicit-def: $vgpr167
	s_or_saveexec_b32 s38, s38
	v_mov_b32_e32 v165, s37
	s_xor_b32 exec_lo, exec_lo, s38
	s_cbranch_execz .LBB4_2867
.LBB4_3199:                             ;   in Loop: Header=BB4_2570 Depth=4
	v_cmp_ne_u16_e64 vcc_lo, 0, v167
	v_mov_b32_e32 v165, 0
	s_and_not1_b32 s13, s13, exec_lo
	s_delay_alu instid0(VALU_DEP_2) | instskip(NEXT) | instid1(SALU_CYCLE_1)
	s_and_b32 vcc_lo, vcc_lo, exec_lo
	s_or_b32 s13, s13, vcc_lo
	s_or_b32 exec_lo, exec_lo, s38
	s_and_saveexec_b32 s37, s13
	s_cbranch_execnz .LBB4_2868
	s_branch .LBB4_2869
.LBB4_3200:                             ;   in Loop: Header=BB4_2570 Depth=4
	s_mov_b32 s13, -1
	s_mov_b32 s39, exec_lo
                                        ; implicit-def: $sgpr37
	v_cmpx_eq_u16_e64 0x80, v165
; %bb.3201:                             ;   in Loop: Header=BB4_2570 Depth=4
	s_mov_b32 s37, 0x7f800001
	s_xor_b32 s13, exec_lo, -1
; %bb.3202:                             ;   in Loop: Header=BB4_2570 Depth=4
	s_or_b32 exec_lo, exec_lo, s39
	s_delay_alu instid0(SALU_CYCLE_1)
	s_and_b32 s13, s13, exec_lo
                                        ; implicit-def: $vgpr165
	s_or_saveexec_b32 s38, s38
	v_mov_b32_e32 v162, s37
	s_xor_b32 exec_lo, exec_lo, s38
	s_cbranch_execz .LBB4_2874
.LBB4_3203:                             ;   in Loop: Header=BB4_2570 Depth=4
	v_cmp_ne_u16_e64 vcc_lo, 0, v165
	v_mov_b32_e32 v162, 0
	s_and_not1_b32 s13, s13, exec_lo
	s_delay_alu instid0(VALU_DEP_2) | instskip(NEXT) | instid1(SALU_CYCLE_1)
	s_and_b32 vcc_lo, vcc_lo, exec_lo
	s_or_b32 s13, s13, vcc_lo
	s_or_b32 exec_lo, exec_lo, s38
	s_and_saveexec_b32 s37, s13
	s_cbranch_execnz .LBB4_2875
	s_branch .LBB4_2876
.LBB4_3204:                             ;   in Loop: Header=BB4_2570 Depth=4
	s_mov_b32 s13, -1
	s_mov_b32 s39, exec_lo
                                        ; implicit-def: $sgpr37
	v_cmpx_eq_u16_e64 0x80, v165
; %bb.3205:                             ;   in Loop: Header=BB4_2570 Depth=4
	s_mov_b32 s37, 0x7f800001
	s_xor_b32 s13, exec_lo, -1
; %bb.3206:                             ;   in Loop: Header=BB4_2570 Depth=4
	s_or_b32 exec_lo, exec_lo, s39
	s_delay_alu instid0(SALU_CYCLE_1)
	s_and_b32 s13, s13, exec_lo
                                        ; implicit-def: $vgpr165
	s_or_saveexec_b32 s38, s38
	v_mov_b32_e32 v151, s37
	s_xor_b32 exec_lo, exec_lo, s38
	s_cbranch_execz .LBB4_2878
.LBB4_3207:                             ;   in Loop: Header=BB4_2570 Depth=4
	v_cmp_ne_u16_e64 vcc_lo, 0, v165
	v_mov_b32_e32 v151, 0
	s_and_not1_b32 s13, s13, exec_lo
	s_delay_alu instid0(VALU_DEP_2) | instskip(NEXT) | instid1(SALU_CYCLE_1)
	s_and_b32 vcc_lo, vcc_lo, exec_lo
	s_or_b32 s13, s13, vcc_lo
	s_or_b32 exec_lo, exec_lo, s38
	s_and_saveexec_b32 s37, s13
	s_cbranch_execnz .LBB4_2879
	s_branch .LBB4_2880
.LBB4_3208:                             ;   in Loop: Header=BB4_2570 Depth=4
	s_mov_b32 s13, -1
	s_mov_b32 s39, exec_lo
                                        ; implicit-def: $sgpr37
	v_cmpx_eq_u16_e64 0x80, v162
; %bb.3209:                             ;   in Loop: Header=BB4_2570 Depth=4
	s_mov_b32 s37, 0x7f800001
	s_xor_b32 s13, exec_lo, -1
; %bb.3210:                             ;   in Loop: Header=BB4_2570 Depth=4
	s_or_b32 exec_lo, exec_lo, s39
	s_delay_alu instid0(SALU_CYCLE_1)
	s_and_b32 s13, s13, exec_lo
                                        ; implicit-def: $vgpr162
	s_or_saveexec_b32 s38, s38
	v_mov_b32_e32 v151, s37
	s_xor_b32 exec_lo, exec_lo, s38
	s_cbranch_execz .LBB4_2892
.LBB4_3211:                             ;   in Loop: Header=BB4_2570 Depth=4
	v_cmp_ne_u16_e64 vcc_lo, 0, v162
	v_mov_b32_e32 v151, 0
	s_and_not1_b32 s13, s13, exec_lo
	s_delay_alu instid0(VALU_DEP_2) | instskip(NEXT) | instid1(SALU_CYCLE_1)
	s_and_b32 vcc_lo, vcc_lo, exec_lo
	s_or_b32 s13, s13, vcc_lo
	s_or_b32 exec_lo, exec_lo, s38
	s_and_saveexec_b32 s37, s13
	s_cbranch_execnz .LBB4_2893
	s_branch .LBB4_2894
.LBB4_3212:                             ;   in Loop: Header=BB4_2570 Depth=4
	s_mov_b32 s13, -1
	s_mov_b32 s39, exec_lo
                                        ; implicit-def: $sgpr37
	v_cmpx_eq_u16_e64 0x80, v165
; %bb.3213:                             ;   in Loop: Header=BB4_2570 Depth=4
	s_mov_b32 s37, 0x7f800001
	s_xor_b32 s13, exec_lo, -1
; %bb.3214:                             ;   in Loop: Header=BB4_2570 Depth=4
	s_or_b32 exec_lo, exec_lo, s39
	s_delay_alu instid0(SALU_CYCLE_1)
	s_and_b32 s13, s13, exec_lo
                                        ; implicit-def: $vgpr165
	s_or_saveexec_b32 s38, s38
	v_mov_b32_e32 v162, s37
	s_xor_b32 exec_lo, exec_lo, s38
	s_cbranch_execz .LBB4_2896
.LBB4_3215:                             ;   in Loop: Header=BB4_2570 Depth=4
	v_cmp_ne_u16_e64 vcc_lo, 0, v165
	v_mov_b32_e32 v162, 0
	s_and_not1_b32 s13, s13, exec_lo
	s_delay_alu instid0(VALU_DEP_2) | instskip(NEXT) | instid1(SALU_CYCLE_1)
	s_and_b32 vcc_lo, vcc_lo, exec_lo
	s_or_b32 s13, s13, vcc_lo
	s_or_b32 exec_lo, exec_lo, s38
	s_and_saveexec_b32 s37, s13
	s_cbranch_execnz .LBB4_2897
	s_branch .LBB4_2898
.LBB4_3216:                             ;   in Loop: Header=BB4_2570 Depth=4
	s_mov_b32 s13, -1
	s_mov_b32 s39, exec_lo
                                        ; implicit-def: $sgpr37
	v_cmpx_eq_u16_e64 0x80, v162
; %bb.3217:                             ;   in Loop: Header=BB4_2570 Depth=4
	s_mov_b32 s37, 0x7f800001
	s_xor_b32 s13, exec_lo, -1
; %bb.3218:                             ;   in Loop: Header=BB4_2570 Depth=4
	s_or_b32 exec_lo, exec_lo, s39
	s_delay_alu instid0(SALU_CYCLE_1)
	s_and_b32 s13, s13, exec_lo
                                        ; implicit-def: $vgpr162
	s_or_saveexec_b32 s38, s38
	v_mov_b32_e32 v151, s37
	s_xor_b32 exec_lo, exec_lo, s38
	s_cbranch_execz .LBB4_2903
.LBB4_3219:                             ;   in Loop: Header=BB4_2570 Depth=4
	v_cmp_ne_u16_e64 vcc_lo, 0, v162
	v_mov_b32_e32 v151, 0
	s_and_not1_b32 s13, s13, exec_lo
	s_delay_alu instid0(VALU_DEP_2) | instskip(NEXT) | instid1(SALU_CYCLE_1)
	s_and_b32 vcc_lo, vcc_lo, exec_lo
	s_or_b32 s13, s13, vcc_lo
	s_or_b32 exec_lo, exec_lo, s38
	s_and_saveexec_b32 s37, s13
	s_cbranch_execnz .LBB4_2904
	s_branch .LBB4_2905
.LBB4_3220:                             ;   in Loop: Header=BB4_2570 Depth=4
	s_mov_b32 s13, -1
	s_mov_b32 s39, exec_lo
                                        ; implicit-def: $sgpr37
	v_cmpx_eq_u16_e64 0x80, v162
; %bb.3221:                             ;   in Loop: Header=BB4_2570 Depth=4
	s_mov_b32 s37, 0x7f800001
	s_xor_b32 s13, exec_lo, -1
; %bb.3222:                             ;   in Loop: Header=BB4_2570 Depth=4
	s_or_b32 exec_lo, exec_lo, s39
	s_delay_alu instid0(SALU_CYCLE_1)
	s_and_b32 s13, s13, exec_lo
                                        ; implicit-def: $vgpr162
	s_or_saveexec_b32 s38, s38
	v_mov_b32_e32 v148, s37
	s_xor_b32 exec_lo, exec_lo, s38
	s_cbranch_execz .LBB4_2907
.LBB4_3223:                             ;   in Loop: Header=BB4_2570 Depth=4
	v_cmp_ne_u16_e64 vcc_lo, 0, v162
	v_mov_b32_e32 v148, 0
	s_and_not1_b32 s13, s13, exec_lo
	s_delay_alu instid0(VALU_DEP_2) | instskip(NEXT) | instid1(SALU_CYCLE_1)
	s_and_b32 vcc_lo, vcc_lo, exec_lo
	s_or_b32 s13, s13, vcc_lo
	s_or_b32 exec_lo, exec_lo, s38
	s_and_saveexec_b32 s37, s13
	s_cbranch_execnz .LBB4_2908
	s_branch .LBB4_2909
.LBB4_3224:                             ;   in Loop: Header=BB4_2570 Depth=4
	s_mov_b32 s13, -1
	s_mov_b32 s39, exec_lo
                                        ; implicit-def: $sgpr37
	v_cmpx_eq_u16_e64 0x80, v151
; %bb.3225:                             ;   in Loop: Header=BB4_2570 Depth=4
	s_mov_b32 s37, 0x7f800001
	s_xor_b32 s13, exec_lo, -1
; %bb.3226:                             ;   in Loop: Header=BB4_2570 Depth=4
	s_or_b32 exec_lo, exec_lo, s39
	s_delay_alu instid0(SALU_CYCLE_1)
	s_and_b32 s13, s13, exec_lo
                                        ; implicit-def: $vgpr151
	s_or_saveexec_b32 s38, s38
	v_mov_b32_e32 v148, s37
	s_xor_b32 exec_lo, exec_lo, s38
	s_cbranch_execz .LBB4_2921
.LBB4_3227:                             ;   in Loop: Header=BB4_2570 Depth=4
	v_cmp_ne_u16_e64 vcc_lo, 0, v151
	v_mov_b32_e32 v148, 0
	s_and_not1_b32 s13, s13, exec_lo
	s_delay_alu instid0(VALU_DEP_2) | instskip(NEXT) | instid1(SALU_CYCLE_1)
	s_and_b32 vcc_lo, vcc_lo, exec_lo
	s_or_b32 s13, s13, vcc_lo
	s_or_b32 exec_lo, exec_lo, s38
	s_and_saveexec_b32 s37, s13
	s_cbranch_execnz .LBB4_2922
	s_branch .LBB4_2923
.LBB4_3228:                             ;   in Loop: Header=BB4_2570 Depth=4
	s_mov_b32 s13, -1
	s_mov_b32 s39, exec_lo
                                        ; implicit-def: $sgpr37
	v_cmpx_eq_u16_e64 0x80, v162
; %bb.3229:                             ;   in Loop: Header=BB4_2570 Depth=4
	s_mov_b32 s37, 0x7f800001
	s_xor_b32 s13, exec_lo, -1
; %bb.3230:                             ;   in Loop: Header=BB4_2570 Depth=4
	s_or_b32 exec_lo, exec_lo, s39
	s_delay_alu instid0(SALU_CYCLE_1)
	s_and_b32 s13, s13, exec_lo
                                        ; implicit-def: $vgpr162
	s_or_saveexec_b32 s38, s38
	v_mov_b32_e32 v151, s37
	s_xor_b32 exec_lo, exec_lo, s38
	s_cbranch_execz .LBB4_2925
.LBB4_3231:                             ;   in Loop: Header=BB4_2570 Depth=4
	v_cmp_ne_u16_e64 vcc_lo, 0, v162
	v_mov_b32_e32 v151, 0
	s_and_not1_b32 s13, s13, exec_lo
	s_delay_alu instid0(VALU_DEP_2) | instskip(NEXT) | instid1(SALU_CYCLE_1)
	s_and_b32 vcc_lo, vcc_lo, exec_lo
	s_or_b32 s13, s13, vcc_lo
	s_or_b32 exec_lo, exec_lo, s38
	s_and_saveexec_b32 s37, s13
	s_cbranch_execnz .LBB4_2926
	s_branch .LBB4_2927
.LBB4_3232:                             ;   in Loop: Header=BB4_2570 Depth=4
	s_mov_b32 s13, -1
	s_mov_b32 s39, exec_lo
                                        ; implicit-def: $sgpr37
	v_cmpx_eq_u16_e64 0x80, v151
; %bb.3233:                             ;   in Loop: Header=BB4_2570 Depth=4
	s_mov_b32 s37, 0x7f800001
	s_xor_b32 s13, exec_lo, -1
; %bb.3234:                             ;   in Loop: Header=BB4_2570 Depth=4
	s_or_b32 exec_lo, exec_lo, s39
	s_delay_alu instid0(SALU_CYCLE_1)
	s_and_b32 s13, s13, exec_lo
                                        ; implicit-def: $vgpr151
	s_or_saveexec_b32 s38, s38
	v_mov_b32_e32 v148, s37
	s_xor_b32 exec_lo, exec_lo, s38
	s_cbranch_execz .LBB4_2932
.LBB4_3235:                             ;   in Loop: Header=BB4_2570 Depth=4
	v_cmp_ne_u16_e64 vcc_lo, 0, v151
	v_mov_b32_e32 v148, 0
	s_and_not1_b32 s13, s13, exec_lo
	s_delay_alu instid0(VALU_DEP_2) | instskip(NEXT) | instid1(SALU_CYCLE_1)
	s_and_b32 vcc_lo, vcc_lo, exec_lo
	s_or_b32 s13, s13, vcc_lo
	s_or_b32 exec_lo, exec_lo, s38
	s_and_saveexec_b32 s37, s13
	s_cbranch_execnz .LBB4_2933
	s_branch .LBB4_2934
.LBB4_3236:                             ;   in Loop: Header=BB4_2570 Depth=4
	s_mov_b32 s13, -1
	s_mov_b32 s39, exec_lo
                                        ; implicit-def: $sgpr37
	v_cmpx_eq_u16_e64 0x80, v151
; %bb.3237:                             ;   in Loop: Header=BB4_2570 Depth=4
	s_mov_b32 s37, 0x7f800001
	s_xor_b32 s13, exec_lo, -1
; %bb.3238:                             ;   in Loop: Header=BB4_2570 Depth=4
	s_or_b32 exec_lo, exec_lo, s39
	s_delay_alu instid0(SALU_CYCLE_1)
	s_and_b32 s13, s13, exec_lo
                                        ; implicit-def: $vgpr151
	s_or_saveexec_b32 s38, s38
	v_mov_b32_e32 v84, s37
	s_xor_b32 exec_lo, exec_lo, s38
	s_cbranch_execz .LBB4_2936
.LBB4_3239:                             ;   in Loop: Header=BB4_2570 Depth=4
	v_cmp_ne_u16_e64 vcc_lo, 0, v151
	v_mov_b32_e32 v84, 0
	s_and_not1_b32 s13, s13, exec_lo
	s_delay_alu instid0(VALU_DEP_2) | instskip(NEXT) | instid1(SALU_CYCLE_1)
	s_and_b32 vcc_lo, vcc_lo, exec_lo
	s_or_b32 s13, s13, vcc_lo
	s_or_b32 exec_lo, exec_lo, s38
	s_and_saveexec_b32 s37, s13
	s_cbranch_execnz .LBB4_2937
	s_branch .LBB4_2938
.LBB4_3240:                             ;   in Loop: Header=BB4_2570 Depth=4
	s_mov_b32 s13, -1
	s_mov_b32 s39, exec_lo
                                        ; implicit-def: $sgpr37
	v_cmpx_eq_u16_e64 0x80, v148
; %bb.3241:                             ;   in Loop: Header=BB4_2570 Depth=4
	s_mov_b32 s37, 0x7f800001
	s_xor_b32 s13, exec_lo, -1
; %bb.3242:                             ;   in Loop: Header=BB4_2570 Depth=4
	s_or_b32 exec_lo, exec_lo, s39
	s_delay_alu instid0(SALU_CYCLE_1)
	s_and_b32 s13, s13, exec_lo
                                        ; implicit-def: $vgpr148
	s_or_saveexec_b32 s38, s38
	v_mov_b32_e32 v84, s37
	s_xor_b32 exec_lo, exec_lo, s38
	s_cbranch_execz .LBB4_2950
.LBB4_3243:                             ;   in Loop: Header=BB4_2570 Depth=4
	v_cmp_ne_u16_e64 vcc_lo, 0, v148
	v_mov_b32_e32 v84, 0
	s_and_not1_b32 s13, s13, exec_lo
	s_delay_alu instid0(VALU_DEP_2) | instskip(NEXT) | instid1(SALU_CYCLE_1)
	s_and_b32 vcc_lo, vcc_lo, exec_lo
	s_or_b32 s13, s13, vcc_lo
	s_or_b32 exec_lo, exec_lo, s38
	s_and_saveexec_b32 s37, s13
	s_cbranch_execnz .LBB4_2951
	s_branch .LBB4_2952
.LBB4_3244:                             ;   in Loop: Header=BB4_2570 Depth=4
	s_mov_b32 s13, -1
	s_mov_b32 s39, exec_lo
                                        ; implicit-def: $sgpr37
	v_cmpx_eq_u16_e64 0x80, v151
; %bb.3245:                             ;   in Loop: Header=BB4_2570 Depth=4
	s_mov_b32 s37, 0x7f800001
	s_xor_b32 s13, exec_lo, -1
; %bb.3246:                             ;   in Loop: Header=BB4_2570 Depth=4
	s_or_b32 exec_lo, exec_lo, s39
	s_delay_alu instid0(SALU_CYCLE_1)
	s_and_b32 s13, s13, exec_lo
                                        ; implicit-def: $vgpr151
	s_or_saveexec_b32 s38, s38
	v_mov_b32_e32 v148, s37
	s_xor_b32 exec_lo, exec_lo, s38
	s_cbranch_execz .LBB4_2954
.LBB4_3247:                             ;   in Loop: Header=BB4_2570 Depth=4
	v_cmp_ne_u16_e64 vcc_lo, 0, v151
	v_mov_b32_e32 v148, 0
	s_and_not1_b32 s13, s13, exec_lo
	s_delay_alu instid0(VALU_DEP_2) | instskip(NEXT) | instid1(SALU_CYCLE_1)
	s_and_b32 vcc_lo, vcc_lo, exec_lo
	s_or_b32 s13, s13, vcc_lo
	s_or_b32 exec_lo, exec_lo, s38
	s_and_saveexec_b32 s37, s13
	s_cbranch_execnz .LBB4_2955
	s_branch .LBB4_2956
.LBB4_3248:                             ;   in Loop: Header=BB4_2570 Depth=4
	s_mov_b32 s13, -1
	s_mov_b32 s39, exec_lo
                                        ; implicit-def: $sgpr37
	v_cmpx_eq_u16_e64 0x80, v148
; %bb.3249:                             ;   in Loop: Header=BB4_2570 Depth=4
	s_mov_b32 s37, 0x7f800001
	s_xor_b32 s13, exec_lo, -1
; %bb.3250:                             ;   in Loop: Header=BB4_2570 Depth=4
	s_or_b32 exec_lo, exec_lo, s39
	s_delay_alu instid0(SALU_CYCLE_1)
	s_and_b32 s13, s13, exec_lo
                                        ; implicit-def: $vgpr148
	s_or_saveexec_b32 s38, s38
	v_mov_b32_e32 v84, s37
	s_xor_b32 exec_lo, exec_lo, s38
	s_cbranch_execz .LBB4_2961
.LBB4_3251:                             ;   in Loop: Header=BB4_2570 Depth=4
	v_cmp_ne_u16_e64 vcc_lo, 0, v148
	v_mov_b32_e32 v84, 0
	s_and_not1_b32 s13, s13, exec_lo
	s_delay_alu instid0(VALU_DEP_2) | instskip(NEXT) | instid1(SALU_CYCLE_1)
	s_and_b32 vcc_lo, vcc_lo, exec_lo
	s_or_b32 s13, s13, vcc_lo
	s_or_b32 exec_lo, exec_lo, s38
	s_and_saveexec_b32 s37, s13
	s_cbranch_execnz .LBB4_2962
	s_branch .LBB4_2963
.LBB4_3252:                             ;   in Loop: Header=BB4_2570 Depth=4
	s_mov_b32 s13, -1
	s_mov_b32 s39, exec_lo
                                        ; implicit-def: $sgpr37
	v_cmpx_eq_u16_e64 0x80, v148
; %bb.3253:                             ;   in Loop: Header=BB4_2570 Depth=4
	s_mov_b32 s37, 0x7f800001
	s_xor_b32 s13, exec_lo, -1
; %bb.3254:                             ;   in Loop: Header=BB4_2570 Depth=4
	s_or_b32 exec_lo, exec_lo, s39
	s_delay_alu instid0(SALU_CYCLE_1)
	s_and_b32 s13, s13, exec_lo
                                        ; implicit-def: $vgpr148
	s_or_saveexec_b32 s38, s38
	v_mov_b32_e32 v81, s37
	s_xor_b32 exec_lo, exec_lo, s38
	s_cbranch_execz .LBB4_2965
.LBB4_3255:                             ;   in Loop: Header=BB4_2570 Depth=4
	v_cmp_ne_u16_e64 vcc_lo, 0, v148
	v_mov_b32_e32 v81, 0
	s_and_not1_b32 s13, s13, exec_lo
	s_delay_alu instid0(VALU_DEP_2) | instskip(NEXT) | instid1(SALU_CYCLE_1)
	s_and_b32 vcc_lo, vcc_lo, exec_lo
	s_or_b32 s13, s13, vcc_lo
	s_or_b32 exec_lo, exec_lo, s38
	s_and_saveexec_b32 s37, s13
	s_cbranch_execnz .LBB4_2966
	s_branch .LBB4_2967
.LBB4_3256:                             ;   in Loop: Header=BB4_2570 Depth=4
	s_mov_b32 s13, -1
	s_mov_b32 s39, exec_lo
                                        ; implicit-def: $sgpr37
	v_cmpx_eq_u16_e32 0x80, v84
; %bb.3257:                             ;   in Loop: Header=BB4_2570 Depth=4
	s_mov_b32 s37, 0x7f800001
	s_xor_b32 s13, exec_lo, -1
; %bb.3258:                             ;   in Loop: Header=BB4_2570 Depth=4
	s_or_b32 exec_lo, exec_lo, s39
	s_delay_alu instid0(SALU_CYCLE_1)
	s_and_b32 s13, s13, exec_lo
                                        ; implicit-def: $vgpr84
	s_or_saveexec_b32 s38, s38
	v_mov_b32_e32 v81, s37
	s_xor_b32 exec_lo, exec_lo, s38
	s_cbranch_execz .LBB4_2979
.LBB4_3259:                             ;   in Loop: Header=BB4_2570 Depth=4
	v_cmp_ne_u16_e32 vcc_lo, 0, v84
	v_mov_b32_e32 v81, 0
	s_and_not1_b32 s13, s13, exec_lo
	s_and_b32 vcc_lo, vcc_lo, exec_lo
	s_delay_alu instid0(SALU_CYCLE_1)
	s_or_b32 s13, s13, vcc_lo
	s_or_b32 exec_lo, exec_lo, s38
	s_and_saveexec_b32 s37, s13
	s_cbranch_execnz .LBB4_2980
	s_branch .LBB4_2981
.LBB4_3260:                             ;   in Loop: Header=BB4_2570 Depth=4
	s_mov_b32 s13, -1
	s_mov_b32 s39, exec_lo
                                        ; implicit-def: $sgpr37
	v_cmpx_eq_u16_e64 0x80, v148
; %bb.3261:                             ;   in Loop: Header=BB4_2570 Depth=4
	s_mov_b32 s37, 0x7f800001
	s_xor_b32 s13, exec_lo, -1
; %bb.3262:                             ;   in Loop: Header=BB4_2570 Depth=4
	s_or_b32 exec_lo, exec_lo, s39
	s_delay_alu instid0(SALU_CYCLE_1)
	s_and_b32 s13, s13, exec_lo
                                        ; implicit-def: $vgpr148
	s_or_saveexec_b32 s38, s38
	v_mov_b32_e32 v84, s37
	s_xor_b32 exec_lo, exec_lo, s38
	s_cbranch_execz .LBB4_2983
.LBB4_3263:                             ;   in Loop: Header=BB4_2570 Depth=4
	v_cmp_ne_u16_e64 vcc_lo, 0, v148
	v_mov_b32_e32 v84, 0
	s_and_not1_b32 s13, s13, exec_lo
	s_delay_alu instid0(VALU_DEP_2) | instskip(NEXT) | instid1(SALU_CYCLE_1)
	s_and_b32 vcc_lo, vcc_lo, exec_lo
	s_or_b32 s13, s13, vcc_lo
	s_or_b32 exec_lo, exec_lo, s38
	s_and_saveexec_b32 s37, s13
	s_cbranch_execnz .LBB4_2984
	s_branch .LBB4_2985
.LBB4_3264:                             ;   in Loop: Header=BB4_2570 Depth=4
	s_mov_b32 s13, -1
	s_mov_b32 s39, exec_lo
                                        ; implicit-def: $sgpr37
	v_cmpx_eq_u16_e32 0x80, v84
; %bb.3265:                             ;   in Loop: Header=BB4_2570 Depth=4
	s_mov_b32 s37, 0x7f800001
	s_xor_b32 s13, exec_lo, -1
; %bb.3266:                             ;   in Loop: Header=BB4_2570 Depth=4
	s_or_b32 exec_lo, exec_lo, s39
	s_delay_alu instid0(SALU_CYCLE_1)
	s_and_b32 s13, s13, exec_lo
                                        ; implicit-def: $vgpr84
	s_or_saveexec_b32 s38, s38
	v_mov_b32_e32 v81, s37
	s_xor_b32 exec_lo, exec_lo, s38
	s_cbranch_execz .LBB4_2990
.LBB4_3267:                             ;   in Loop: Header=BB4_2570 Depth=4
	v_cmp_ne_u16_e32 vcc_lo, 0, v84
	v_mov_b32_e32 v81, 0
	s_and_not1_b32 s13, s13, exec_lo
	s_and_b32 vcc_lo, vcc_lo, exec_lo
	s_delay_alu instid0(SALU_CYCLE_1)
	s_or_b32 s13, s13, vcc_lo
	s_or_b32 exec_lo, exec_lo, s38
	s_and_saveexec_b32 s37, s13
	s_cbranch_execnz .LBB4_2991
	s_branch .LBB4_2992
.LBB4_3268:                             ;   in Loop: Header=BB4_2570 Depth=4
	s_mov_b32 s13, -1
	s_mov_b32 s39, exec_lo
                                        ; implicit-def: $sgpr37
	v_cmpx_eq_u16_e32 0x80, v84
; %bb.3269:                             ;   in Loop: Header=BB4_2570 Depth=4
	s_mov_b32 s37, 0x7f800001
	s_xor_b32 s13, exec_lo, -1
; %bb.3270:                             ;   in Loop: Header=BB4_2570 Depth=4
	s_or_b32 exec_lo, exec_lo, s39
	s_delay_alu instid0(SALU_CYCLE_1)
	s_and_b32 s13, s13, exec_lo
                                        ; implicit-def: $vgpr84
	s_or_saveexec_b32 s38, s38
	v_mov_b32_e32 v22, s37
	s_xor_b32 exec_lo, exec_lo, s38
	s_cbranch_execz .LBB4_2994
.LBB4_3271:                             ;   in Loop: Header=BB4_2570 Depth=4
	v_cmp_ne_u16_e32 vcc_lo, 0, v84
	v_mov_b32_e32 v22, 0
	s_and_not1_b32 s13, s13, exec_lo
	s_and_b32 vcc_lo, vcc_lo, exec_lo
	s_delay_alu instid0(SALU_CYCLE_1)
	s_or_b32 s13, s13, vcc_lo
	s_or_b32 exec_lo, exec_lo, s38
	s_and_saveexec_b32 s37, s13
	s_cbranch_execnz .LBB4_2995
	s_branch .LBB4_2996
.LBB4_3272:                             ;   in Loop: Header=BB4_2570 Depth=4
	s_mov_b32 s13, -1
	s_mov_b32 s39, exec_lo
                                        ; implicit-def: $sgpr37
	v_cmpx_eq_u16_e32 0x80, v81
; %bb.3273:                             ;   in Loop: Header=BB4_2570 Depth=4
	s_mov_b32 s37, 0x7f800001
	s_xor_b32 s13, exec_lo, -1
; %bb.3274:                             ;   in Loop: Header=BB4_2570 Depth=4
	s_or_b32 exec_lo, exec_lo, s39
	s_delay_alu instid0(SALU_CYCLE_1)
	s_and_b32 s13, s13, exec_lo
                                        ; implicit-def: $vgpr81
	s_or_saveexec_b32 s38, s38
	v_mov_b32_e32 v22, s37
	s_xor_b32 exec_lo, exec_lo, s38
	s_cbranch_execz .LBB4_3008
.LBB4_3275:                             ;   in Loop: Header=BB4_2570 Depth=4
	v_cmp_ne_u16_e32 vcc_lo, 0, v81
	v_mov_b32_e32 v22, 0
	s_and_not1_b32 s13, s13, exec_lo
	s_and_b32 vcc_lo, vcc_lo, exec_lo
	s_delay_alu instid0(SALU_CYCLE_1)
	s_or_b32 s13, s13, vcc_lo
	s_or_b32 exec_lo, exec_lo, s38
	s_and_saveexec_b32 s37, s13
	s_cbranch_execnz .LBB4_3009
	s_branch .LBB4_3010
.LBB4_3276:                             ;   in Loop: Header=BB4_2570 Depth=4
	s_mov_b32 s13, -1
	s_mov_b32 s39, exec_lo
                                        ; implicit-def: $sgpr37
	v_cmpx_eq_u16_e32 0x80, v84
; %bb.3277:                             ;   in Loop: Header=BB4_2570 Depth=4
	s_mov_b32 s37, 0x7f800001
	s_xor_b32 s13, exec_lo, -1
; %bb.3278:                             ;   in Loop: Header=BB4_2570 Depth=4
	s_or_b32 exec_lo, exec_lo, s39
	s_delay_alu instid0(SALU_CYCLE_1)
	s_and_b32 s13, s13, exec_lo
                                        ; implicit-def: $vgpr84
	s_or_saveexec_b32 s38, s38
	v_mov_b32_e32 v81, s37
	s_xor_b32 exec_lo, exec_lo, s38
	s_cbranch_execz .LBB4_3012
.LBB4_3279:                             ;   in Loop: Header=BB4_2570 Depth=4
	v_cmp_ne_u16_e32 vcc_lo, 0, v84
	v_mov_b32_e32 v81, 0
	s_and_not1_b32 s13, s13, exec_lo
	s_and_b32 vcc_lo, vcc_lo, exec_lo
	s_delay_alu instid0(SALU_CYCLE_1)
	s_or_b32 s13, s13, vcc_lo
	s_or_b32 exec_lo, exec_lo, s38
	s_and_saveexec_b32 s37, s13
	s_cbranch_execnz .LBB4_3013
	s_branch .LBB4_3014
.LBB4_3280:                             ;   in Loop: Header=BB4_2570 Depth=4
	s_mov_b32 s13, -1
	s_mov_b32 s39, exec_lo
                                        ; implicit-def: $sgpr37
	v_cmpx_eq_u16_e32 0x80, v81
; %bb.3281:                             ;   in Loop: Header=BB4_2570 Depth=4
	s_mov_b32 s37, 0x7f800001
	s_xor_b32 s13, exec_lo, -1
; %bb.3282:                             ;   in Loop: Header=BB4_2570 Depth=4
	s_or_b32 exec_lo, exec_lo, s39
	s_delay_alu instid0(SALU_CYCLE_1)
	s_and_b32 s13, s13, exec_lo
                                        ; implicit-def: $vgpr81
	s_or_saveexec_b32 s38, s38
	v_mov_b32_e32 v22, s37
	s_xor_b32 exec_lo, exec_lo, s38
	s_cbranch_execz .LBB4_3019
.LBB4_3283:                             ;   in Loop: Header=BB4_2570 Depth=4
	v_cmp_ne_u16_e32 vcc_lo, 0, v81
	v_mov_b32_e32 v22, 0
	s_and_not1_b32 s13, s13, exec_lo
	s_and_b32 vcc_lo, vcc_lo, exec_lo
	s_delay_alu instid0(SALU_CYCLE_1)
	s_or_b32 s13, s13, vcc_lo
	s_or_b32 exec_lo, exec_lo, s38
	s_and_saveexec_b32 s37, s13
	s_cbranch_execnz .LBB4_3020
	s_branch .LBB4_3021
.LBB4_3284:                             ;   in Loop: Header=BB4_2570 Depth=4
	s_mov_b32 s13, -1
	s_mov_b32 s39, exec_lo
                                        ; implicit-def: $sgpr37
	v_cmpx_eq_u16_e32 0x80, v81
; %bb.3285:                             ;   in Loop: Header=BB4_2570 Depth=4
	s_mov_b32 s37, 0x7f800001
	s_xor_b32 s13, exec_lo, -1
; %bb.3286:                             ;   in Loop: Header=BB4_2570 Depth=4
	s_or_b32 exec_lo, exec_lo, s39
	s_delay_alu instid0(SALU_CYCLE_1)
	s_and_b32 s13, s13, exec_lo
                                        ; implicit-def: $vgpr81
	s_or_saveexec_b32 s38, s38
	v_mov_b32_e32 v19, s37
	s_xor_b32 exec_lo, exec_lo, s38
	s_cbranch_execz .LBB4_3023
.LBB4_3287:                             ;   in Loop: Header=BB4_2570 Depth=4
	v_cmp_ne_u16_e32 vcc_lo, 0, v81
	v_mov_b32_e32 v19, 0
	s_and_not1_b32 s13, s13, exec_lo
	s_and_b32 vcc_lo, vcc_lo, exec_lo
	s_delay_alu instid0(SALU_CYCLE_1)
	s_or_b32 s13, s13, vcc_lo
	s_or_b32 exec_lo, exec_lo, s38
	s_and_saveexec_b32 s37, s13
	s_cbranch_execnz .LBB4_3024
	s_branch .LBB4_3025
.LBB4_3288:                             ;   in Loop: Header=BB4_305 Depth=3
	s_or_b32 exec_lo, exec_lo, s36
.LBB4_3289:                             ;   in Loop: Header=BB4_305 Depth=3
	s_delay_alu instid0(SALU_CYCLE_1) | instskip(SKIP_2) | instid1(VALU_DEP_1)
	s_or_b32 exec_lo, exec_lo, s34
	v_lshlrev_b32_e32 v8, 9, v17
	s_mov_b32 s34, exec_lo
	v_cmpx_ne_u32_e64 v15, v8
	s_cbranch_execz .LBB4_3339
; %bb.3290:                             ;   in Loop: Header=BB4_305 Depth=3
	v_ashrrev_i32_e32 v9, 31, v16
	v_lshlrev_b32_e32 v2, 5, v2
	s_delay_alu instid0(VALU_DEP_2) | instskip(NEXT) | instid1(VALU_DEP_1)
	v_lshrrev_b32_e32 v9, 27, v9
	v_add_nc_u32_e32 v9, v16, v9
	s_delay_alu instid0(VALU_DEP_1) | instskip(NEXT) | instid1(VALU_DEP_1)
	v_and_b32_e32 v9, 0xffffffe0, v9
	v_sub_nc_u32_e32 v9, v16, v9
	s_delay_alu instid0(VALU_DEP_1) | instskip(NEXT) | instid1(VALU_DEP_1)
	v_sub_nc_u32_e32 v2, v9, v2
	v_add_nc_u32_e32 v8, v8, v2
	s_delay_alu instid0(VALU_DEP_1) | instskip(NEXT) | instid1(VALU_DEP_1)
	v_sub_nc_u32_e32 v2, v15, v8
	v_cmp_lt_i32_e32 vcc_lo, 0, v2
	s_and_b32 exec_lo, exec_lo, vcc_lo
	s_cbranch_execz .LBB4_3339
; %bb.3291:                             ;   in Loop: Header=BB4_305 Depth=3
	s_cbranch_execz .LBB4_3292
; %bb.10866:
	s_getpc_b64 s[48:49]
.Lpost_getpc210:
	s_add_u32 s48, s48, (.LBB4_10528-.Lpost_getpc210)&4294967295
	s_addc_u32 s49, s49, (.LBB4_10528-.Lpost_getpc210)>>32
	s_setpc_b64 s[48:49]
.LBB4_3292:                             ;   in Loop: Header=BB4_305 Depth=3
	ds_load_b128 v[9:12], v0
	ds_load_b64 v[15:16], v0
	v_add_nc_u32_e32 v13, v8, v14
	s_bitcmp1_b32 s31, 0
	s_mov_b32 s31, 0
	s_cselect_b32 s35, -1, 0
	s_delay_alu instid0(VALU_DEP_1) | instskip(SKIP_2) | instid1(VALU_DEP_2)
	v_ashrrev_i32_e32 v14, 31, v13
	s_waitcnt lgkmcnt(1)
	v_add_co_u32 v8, vcc_lo, v9, v13
	v_add_co_ci_u32_e32 v9, vcc_lo, v10, v14, vcc_lo
	v_add_co_u32 v10, vcc_lo, v11, v13
	v_add_co_ci_u32_e32 v11, vcc_lo, v12, v14, vcc_lo
	s_waitcnt lgkmcnt(0)
	v_add_co_u32 v12, vcc_lo, v15, v13
	v_add_co_ci_u32_e32 v13, vcc_lo, v16, v14, vcc_lo
	s_branch .LBB4_3296
.LBB4_3293:                             ;   in Loop: Header=BB4_3296 Depth=4
	s_or_b32 exec_lo, exec_lo, s13
	s_delay_alu instid0(VALU_DEP_1) | instskip(NEXT) | instid1(VALU_DEP_2)
	v_lshrrev_b32_e32 v15, 20, v15
	v_cmp_gt_i32_e32 vcc_lo, 16, v14
	v_lshrrev_b32_e32 v16, 24, v17
	v_min_i32_e32 v17, 15, v14
	s_delay_alu instid0(VALU_DEP_2) | instskip(NEXT) | instid1(VALU_DEP_1)
	v_dual_cndmask_b32 v15, 7, v15 :: v_dual_and_b32 v16, 0x80, v16
	v_or_b32_e32 v14, v14, v15
	v_and_b32_e32 v18, 7, v15
	s_delay_alu instid0(VALU_DEP_2) | instskip(SKIP_1) | instid1(VALU_DEP_1)
	v_cmp_ne_u32_e32 vcc_lo, 0, v14
	v_lshlrev_b32_e32 v17, 3, v17
	v_or3_b32 v15, v17, v16, v18
	s_delay_alu instid0(VALU_DEP_1)
	v_cndmask_b32_e32 v14, 0, v15, vcc_lo
.LBB4_3294:                             ;   in Loop: Header=BB4_3296 Depth=4
	s_or_b32 exec_lo, exec_lo, s37
.LBB4_3295:                             ;   in Loop: Header=BB4_3296 Depth=4
	s_delay_alu instid0(SALU_CYCLE_1)
	s_or_b32 exec_lo, exec_lo, s36
	v_add_co_u32 v8, vcc_lo, v8, v128
	v_sub_nc_u32_e32 v2, v2, v98
	v_add_co_ci_u32_e32 v9, vcc_lo, v9, v129, vcc_lo
	v_add_co_u32 v10, vcc_lo, v10, v128
	v_add_co_ci_u32_e32 v11, vcc_lo, v11, v129, vcc_lo
	flat_store_b8 v[12:13], v14 glc slc dlc
	v_cmp_gt_i32_e32 vcc_lo, 1, v2
	v_add_co_u32 v12, s13, v12, v128
	s_delay_alu instid0(VALU_DEP_1) | instskip(SKIP_1) | instid1(SALU_CYCLE_1)
	v_add_co_ci_u32_e64 v13, s13, v13, v129, s13
	s_or_b32 s31, vcc_lo, s31
	s_and_not1_b32 exec_lo, exec_lo, s31
	s_cbranch_execz .LBB4_3339
.LBB4_3296:                             ;   Parent Loop BB4_51 Depth=1
                                        ;     Parent Loop BB4_303 Depth=2
                                        ;       Parent Loop BB4_305 Depth=3
                                        ; =>      This Inner Loop Header: Depth=4
	flat_load_u8 v15, v[10:11] slc dlc
	s_waitcnt vmcnt(1) lgkmcnt(2)
	flat_load_u8 v16, v[8:9] slc dlc
	s_waitcnt vmcnt(1) lgkmcnt(1)
	v_bfe_u32 v19, v15, 3, 4
	v_lshlrev_b32_e32 v20, 24, v15
	s_delay_alu instid0(VALU_DEP_2) | instskip(SKIP_1) | instid1(VALU_DEP_1)
	v_cmp_eq_u32_e32 vcc_lo, 0, v19
	v_and_b32_e32 v14, 7, v15
	v_clz_i32_u32_e32 v17, v14
	s_delay_alu instid0(VALU_DEP_1) | instskip(NEXT) | instid1(VALU_DEP_1)
	v_min_u32_e32 v17, 32, v17
	v_subrev_nc_u32_e32 v18, 28, v17
	v_sub_nc_u32_e32 v17, 29, v17
	s_delay_alu instid0(VALU_DEP_1) | instskip(NEXT) | instid1(VALU_DEP_1)
	v_dual_cndmask_b32 v17, v19, v17 :: v_dual_lshlrev_b32 v18, v18, v15
	v_and_b32_e32 v18, 7, v18
	s_delay_alu instid0(VALU_DEP_2) | instskip(NEXT) | instid1(VALU_DEP_2)
	v_lshl_add_u32 v17, v17, 23, 0x3b800000
	v_cndmask_b32_e32 v14, v14, v18, vcc_lo
	v_and_b32_e32 v18, 0x80000000, v20
	s_and_b32 vcc_lo, exec_lo, s35
	s_delay_alu instid0(VALU_DEP_2) | instskip(NEXT) | instid1(VALU_DEP_1)
	v_lshlrev_b32_e32 v14, 20, v14
	v_or3_b32 v14, v18, v17, v14
	s_cbranch_vccz .LBB4_3306
; %bb.3297:                             ;   in Loop: Header=BB4_3296 Depth=4
	s_waitcnt vmcnt(0) lgkmcnt(0)
	v_and_b32_e32 v18, 0xff, v16
	s_mov_b32 s13, 0
	s_mov_b32 s37, exec_lo
                                        ; implicit-def: $sgpr36
	s_delay_alu instid0(VALU_DEP_1)
	v_cmpx_lt_i16_e32 0x7f, v18
	s_xor_b32 s37, exec_lo, s37
	s_cbranch_execnz .LBB4_3323
; %bb.3298:                             ;   in Loop: Header=BB4_3296 Depth=4
	s_or_saveexec_b32 s37, s37
	v_mov_b32_e32 v17, s36
	s_xor_b32 exec_lo, exec_lo, s37
	s_cbranch_execnz .LBB4_3326
.LBB4_3299:                             ;   in Loop: Header=BB4_3296 Depth=4
	s_or_b32 exec_lo, exec_lo, s37
	s_and_saveexec_b32 s36, s13
	s_cbranch_execz .LBB4_3301
.LBB4_3300:                             ;   in Loop: Header=BB4_3296 Depth=4
	v_lshrrev_b16 v20, 3, v16
	v_lshlrev_b32_e32 v21, 24, v16
	s_delay_alu instid0(VALU_DEP_2) | instskip(NEXT) | instid1(VALU_DEP_1)
	v_and_b32_e32 v20, 15, v20
	v_cmp_eq_u32_e32 vcc_lo, 0, v20
	v_and_b32_e32 v17, 7, v16
	s_delay_alu instid0(VALU_DEP_1) | instskip(NEXT) | instid1(VALU_DEP_1)
	v_clz_i32_u32_e32 v18, v17
	v_min_u32_e32 v18, 32, v18
	s_delay_alu instid0(VALU_DEP_1) | instskip(SKIP_1) | instid1(VALU_DEP_1)
	v_subrev_nc_u32_e32 v19, 28, v18
	v_sub_nc_u32_e32 v18, 29, v18
	v_dual_cndmask_b32 v18, v20, v18 :: v_dual_lshlrev_b32 v19, v19, v16
	s_delay_alu instid0(VALU_DEP_1) | instskip(NEXT) | instid1(VALU_DEP_2)
	v_and_b32_e32 v19, 7, v19
	v_lshl_add_u32 v18, v18, 23, 0x3b800000
	s_delay_alu instid0(VALU_DEP_2) | instskip(SKIP_1) | instid1(VALU_DEP_2)
	v_cndmask_b32_e32 v17, v17, v19, vcc_lo
	v_and_b32_e32 v19, 0x80000000, v21
	v_lshlrev_b32_e32 v17, 20, v17
	s_delay_alu instid0(VALU_DEP_1)
	v_or3_b32 v17, v19, v18, v17
.LBB4_3301:                             ;   in Loop: Header=BB4_3296 Depth=4
	s_or_b32 exec_lo, exec_lo, s36
	v_and_b32_e32 v18, 0xff, v15
	s_mov_b32 s13, 0
	s_mov_b32 s37, exec_lo
                                        ; implicit-def: $sgpr36
	s_delay_alu instid0(VALU_DEP_1)
	v_cmpx_lt_i16_e32 0x7f, v18
	s_xor_b32 s37, exec_lo, s37
	s_cbranch_execnz .LBB4_3327
; %bb.3302:                             ;   in Loop: Header=BB4_3296 Depth=4
	s_or_saveexec_b32 s37, s37
	v_mov_b32_e32 v19, s36
	s_xor_b32 exec_lo, exec_lo, s37
	s_cbranch_execnz .LBB4_3330
.LBB4_3303:                             ;   in Loop: Header=BB4_3296 Depth=4
	s_or_b32 exec_lo, exec_lo, s37
	s_and_saveexec_b32 vcc_lo, s13
.LBB4_3304:                             ;   in Loop: Header=BB4_3296 Depth=4
	v_mov_b32_e32 v19, v14
.LBB4_3305:                             ;   in Loop: Header=BB4_3296 Depth=4
	s_or_b32 exec_lo, exec_lo, vcc_lo
	s_delay_alu instid0(VALU_DEP_1) | instskip(SKIP_1) | instid1(VALU_DEP_1)
	v_dual_max_f32 v18, v19, v19 :: v_dual_max_f32 v17, v17, v17
	s_mov_b32 s13, 0
	v_max_f32_e32 v17, v17, v18
	s_branch .LBB4_3307
.LBB4_3306:                             ;   in Loop: Header=BB4_3296 Depth=4
	s_mov_b32 s13, -1
                                        ; implicit-def: $vgpr17
.LBB4_3307:                             ;   in Loop: Header=BB4_3296 Depth=4
	s_delay_alu instid0(SALU_CYCLE_1)
	s_and_b32 vcc_lo, exec_lo, s13
	s_cbranch_vccz .LBB4_3317
; %bb.3308:                             ;   in Loop: Header=BB4_3296 Depth=4
	s_waitcnt vmcnt(0) lgkmcnt(0)
	v_and_b32_e32 v18, 0xff, v16
	s_mov_b32 s13, 0
	s_mov_b32 s37, exec_lo
                                        ; implicit-def: $sgpr36
	s_delay_alu instid0(VALU_DEP_1)
	v_cmpx_lt_i16_e32 0x7f, v18
	s_xor_b32 s37, exec_lo, s37
	s_cbranch_execnz .LBB4_3331
; %bb.3309:                             ;   in Loop: Header=BB4_3296 Depth=4
	s_or_saveexec_b32 s37, s37
	v_mov_b32_e32 v17, s36
	s_xor_b32 exec_lo, exec_lo, s37
	s_cbranch_execnz .LBB4_3334
.LBB4_3310:                             ;   in Loop: Header=BB4_3296 Depth=4
	s_or_b32 exec_lo, exec_lo, s37
	s_and_saveexec_b32 s36, s13
	s_cbranch_execz .LBB4_3312
.LBB4_3311:                             ;   in Loop: Header=BB4_3296 Depth=4
	v_lshrrev_b16 v20, 3, v16
	s_delay_alu instid0(VALU_DEP_1) | instskip(NEXT) | instid1(VALU_DEP_1)
	v_and_b32_e32 v20, 15, v20
	v_cmp_eq_u32_e32 vcc_lo, 0, v20
	v_and_b32_e32 v17, 7, v16
	s_delay_alu instid0(VALU_DEP_1) | instskip(NEXT) | instid1(VALU_DEP_1)
	v_clz_i32_u32_e32 v18, v17
	v_min_u32_e32 v18, 32, v18
	s_delay_alu instid0(VALU_DEP_1) | instskip(SKIP_1) | instid1(VALU_DEP_1)
	v_subrev_nc_u32_e32 v19, 28, v18
	v_sub_nc_u32_e32 v18, 29, v18
	v_dual_cndmask_b32 v18, v20, v18 :: v_dual_lshlrev_b32 v19, v19, v16
	v_lshlrev_b32_e32 v16, 24, v16
	s_delay_alu instid0(VALU_DEP_2) | instskip(NEXT) | instid1(VALU_DEP_3)
	v_and_b32_e32 v19, 7, v19
	v_lshl_add_u32 v18, v18, 23, 0x3b800000
	s_delay_alu instid0(VALU_DEP_2) | instskip(NEXT) | instid1(VALU_DEP_1)
	v_dual_cndmask_b32 v17, v17, v19 :: v_dual_and_b32 v16, 0x80000000, v16
	v_lshlrev_b32_e32 v17, 20, v17
	s_delay_alu instid0(VALU_DEP_1)
	v_or3_b32 v17, v16, v18, v17
.LBB4_3312:                             ;   in Loop: Header=BB4_3296 Depth=4
	s_or_b32 exec_lo, exec_lo, s36
	v_and_b32_e32 v15, 0xff, v15
	s_mov_b32 s13, 0
	s_mov_b32 s37, exec_lo
                                        ; implicit-def: $sgpr36
	s_delay_alu instid0(VALU_DEP_1)
	v_cmpx_lt_i16_e32 0x7f, v15
	s_xor_b32 s37, exec_lo, s37
	s_cbranch_execnz .LBB4_3335
; %bb.3313:                             ;   in Loop: Header=BB4_3296 Depth=4
	s_or_saveexec_b32 s37, s37
	v_mov_b32_e32 v16, s36
	s_xor_b32 exec_lo, exec_lo, s37
	s_cbranch_execnz .LBB4_3338
.LBB4_3314:                             ;   in Loop: Header=BB4_3296 Depth=4
	s_or_b32 exec_lo, exec_lo, s37
	s_and_saveexec_b32 vcc_lo, s13
.LBB4_3315:                             ;   in Loop: Header=BB4_3296 Depth=4
	v_mov_b32_e32 v16, v14
.LBB4_3316:                             ;   in Loop: Header=BB4_3296 Depth=4
	s_or_b32 exec_lo, exec_lo, vcc_lo
	s_delay_alu instid0(VALU_DEP_1) | instskip(NEXT) | instid1(VALU_DEP_1)
	v_dual_max_f32 v14, v16, v16 :: v_dual_max_f32 v15, v17, v17
	v_min_f32_e32 v17, v15, v14
.LBB4_3317:                             ;   in Loop: Header=BB4_3296 Depth=4
	s_delay_alu instid0(VALU_DEP_1) | instskip(NEXT) | instid1(VALU_DEP_1)
	v_and_b32_e32 v14, 0x7f800000, v17
	v_cmp_ne_u32_e32 vcc_lo, 0x7f800000, v14
	v_mov_b32_e32 v14, 0x80
	s_and_saveexec_b32 s36, vcc_lo
	s_cbranch_execz .LBB4_3295
; %bb.3318:                             ;   in Loop: Header=BB4_3296 Depth=4
	v_mov_b32_e32 v14, 0
	s_mov_b32 s37, exec_lo
	v_cmpx_ne_u32_e32 0, v17
	s_cbranch_execz .LBB4_3294
; %bb.3319:                             ;   in Loop: Header=BB4_3296 Depth=4
	v_bfe_u32 v14, v17, 23, 8
	s_waitcnt vmcnt(0) lgkmcnt(0)
	s_delay_alu instid0(VALU_DEP_1) | instskip(SKIP_1) | instid1(VALU_DEP_2)
	v_sub_nc_u32_e32 v16, 0x78, v14
	v_cmp_gt_u32_e32 vcc_lo, 0x79, v14
	v_dual_cndmask_b32 v16, 0, v16 :: v_dual_and_b32 v15, 0x7fffff, v17
	s_delay_alu instid0(VALU_DEP_1) | instskip(SKIP_2) | instid1(VALU_DEP_4)
	v_or_b32_e32 v18, 0x800000, v15
	v_cmp_eq_u32_e32 vcc_lo, 0, v14
	v_add_nc_u32_e32 v14, 0xffffff89, v14
	v_cndmask_b32_e64 v16, v16, 0x77, vcc_lo
	s_delay_alu instid0(VALU_DEP_4) | instskip(NEXT) | instid1(VALU_DEP_3)
	v_cndmask_b32_e32 v15, v18, v15, vcc_lo
	v_cndmask_b32_e64 v14, v14, 0xffffff8a, vcc_lo
	s_delay_alu instid0(VALU_DEP_3) | instskip(NEXT) | instid1(VALU_DEP_3)
	v_lshl_add_u32 v18, 0x100000, v16, -1
	v_lshrrev_b32_e32 v19, v16, v15
	v_lshlrev_b32_e64 v21, v16, 0x80000
	s_delay_alu instid0(VALU_DEP_4) | instskip(NEXT) | instid1(VALU_DEP_4)
	v_add_nc_u32_e32 v16, v16, v14
	v_and_b32_e32 v15, v18, v15
	s_delay_alu instid0(VALU_DEP_4) | instskip(NEXT) | instid1(VALU_DEP_2)
	v_bfe_u32 v20, v19, 20, 1
	v_cmp_eq_u32_e64 s13, v15, v21
	s_delay_alu instid0(VALU_DEP_2) | instskip(NEXT) | instid1(VALU_DEP_1)
	v_add_nc_u32_e32 v18, -1, v20
	v_cndmask_b32_e64 v15, 0, v18, s13
	v_lshrrev_b32_e32 v18, 23, v19
	s_mov_b32 s13, exec_lo
	s_delay_alu instid0(VALU_DEP_2) | instskip(NEXT) | instid1(VALU_DEP_2)
	v_add_nc_u32_e32 v15, v15, v19
	v_xor_b32_e32 v18, 1, v18
	s_delay_alu instid0(VALU_DEP_2) | instskip(NEXT) | instid1(VALU_DEP_1)
	v_and_b32_e32 v14, 0xfffff, v15
	v_add_nc_u32_e32 v15, v14, v19
                                        ; implicit-def: $vgpr14
	s_delay_alu instid0(VALU_DEP_3)
	v_cmpx_ne_u32_e64 v16, v18
	s_xor_b32 s13, exec_lo, s13
; %bb.3320:                             ;   in Loop: Header=BB4_3296 Depth=4
	s_delay_alu instid0(VALU_DEP_2) | instskip(SKIP_2) | instid1(VALU_DEP_2)
	v_cmp_lt_u32_e32 vcc_lo, 0xffffff, v15
	v_sub_nc_u32_e32 v14, v16, v18
	v_cndmask_b32_e64 v16, 0, 1, vcc_lo
	v_add_co_ci_u32_e32 v14, vcc_lo, 0, v14, vcc_lo
	s_delay_alu instid0(VALU_DEP_2)
	v_lshrrev_b32_e32 v15, v16, v15
; %bb.3321:                             ;   in Loop: Header=BB4_3296 Depth=4
	s_and_not1_saveexec_b32 s13, s13
	s_cbranch_execz .LBB4_3293
; %bb.3322:                             ;   in Loop: Header=BB4_3296 Depth=4
	s_delay_alu instid0(VALU_DEP_1)
	v_bfe_u32 v14, v15, 23, 1
	s_branch .LBB4_3293
.LBB4_3323:                             ;   in Loop: Header=BB4_3296 Depth=4
	s_mov_b32 s13, -1
	s_mov_b32 s38, exec_lo
                                        ; implicit-def: $sgpr36
	v_cmpx_eq_u16_e32 0x80, v18
; %bb.3324:                             ;   in Loop: Header=BB4_3296 Depth=4
	s_mov_b32 s36, 0x7f800001
	s_xor_b32 s13, exec_lo, -1
; %bb.3325:                             ;   in Loop: Header=BB4_3296 Depth=4
	s_or_b32 exec_lo, exec_lo, s38
	s_delay_alu instid0(SALU_CYCLE_1)
	s_and_b32 s13, s13, exec_lo
                                        ; implicit-def: $vgpr18
	s_or_saveexec_b32 s37, s37
	v_mov_b32_e32 v17, s36
	s_xor_b32 exec_lo, exec_lo, s37
	s_cbranch_execz .LBB4_3299
.LBB4_3326:                             ;   in Loop: Header=BB4_3296 Depth=4
	v_cmp_ne_u16_e32 vcc_lo, 0, v18
	v_mov_b32_e32 v17, 0
	s_and_not1_b32 s13, s13, exec_lo
	s_and_b32 vcc_lo, vcc_lo, exec_lo
	s_delay_alu instid0(SALU_CYCLE_1)
	s_or_b32 s13, s13, vcc_lo
	s_or_b32 exec_lo, exec_lo, s37
	s_and_saveexec_b32 s36, s13
	s_cbranch_execnz .LBB4_3300
	s_branch .LBB4_3301
.LBB4_3327:                             ;   in Loop: Header=BB4_3296 Depth=4
	s_mov_b32 s13, -1
	s_mov_b32 s38, exec_lo
                                        ; implicit-def: $sgpr36
	v_cmpx_eq_u16_e32 0x80, v18
; %bb.3328:                             ;   in Loop: Header=BB4_3296 Depth=4
	s_mov_b32 s36, 0x7f800001
	s_xor_b32 s13, exec_lo, -1
; %bb.3329:                             ;   in Loop: Header=BB4_3296 Depth=4
	s_or_b32 exec_lo, exec_lo, s38
	s_delay_alu instid0(SALU_CYCLE_1)
	s_and_b32 s13, s13, exec_lo
                                        ; implicit-def: $vgpr18
	s_or_saveexec_b32 s37, s37
	v_mov_b32_e32 v19, s36
	s_xor_b32 exec_lo, exec_lo, s37
	s_cbranch_execz .LBB4_3303
.LBB4_3330:                             ;   in Loop: Header=BB4_3296 Depth=4
	v_cmp_ne_u16_e32 vcc_lo, 0, v18
	v_mov_b32_e32 v19, 0
	s_and_not1_b32 s13, s13, exec_lo
	s_and_b32 vcc_lo, vcc_lo, exec_lo
	s_delay_alu instid0(SALU_CYCLE_1)
	s_or_b32 s13, s13, vcc_lo
	s_or_b32 exec_lo, exec_lo, s37
	s_and_saveexec_b32 vcc_lo, s13
	s_cbranch_execnz .LBB4_3304
	s_branch .LBB4_3305
.LBB4_3331:                             ;   in Loop: Header=BB4_3296 Depth=4
	s_mov_b32 s13, -1
	s_mov_b32 s38, exec_lo
                                        ; implicit-def: $sgpr36
	v_cmpx_eq_u16_e32 0x80, v18
; %bb.3332:                             ;   in Loop: Header=BB4_3296 Depth=4
	s_mov_b32 s36, 0x7f800001
	s_xor_b32 s13, exec_lo, -1
; %bb.3333:                             ;   in Loop: Header=BB4_3296 Depth=4
	s_or_b32 exec_lo, exec_lo, s38
	s_delay_alu instid0(SALU_CYCLE_1)
	s_and_b32 s13, s13, exec_lo
                                        ; implicit-def: $vgpr18
	s_or_saveexec_b32 s37, s37
	v_mov_b32_e32 v17, s36
	s_xor_b32 exec_lo, exec_lo, s37
	s_cbranch_execz .LBB4_3310
.LBB4_3334:                             ;   in Loop: Header=BB4_3296 Depth=4
	v_cmp_ne_u16_e32 vcc_lo, 0, v18
	v_mov_b32_e32 v17, 0
	s_and_not1_b32 s13, s13, exec_lo
	s_and_b32 vcc_lo, vcc_lo, exec_lo
	s_delay_alu instid0(SALU_CYCLE_1)
	s_or_b32 s13, s13, vcc_lo
	s_or_b32 exec_lo, exec_lo, s37
	s_and_saveexec_b32 s36, s13
	s_cbranch_execnz .LBB4_3311
	s_branch .LBB4_3312
.LBB4_3335:                             ;   in Loop: Header=BB4_3296 Depth=4
	s_mov_b32 s13, -1
	s_mov_b32 s38, exec_lo
                                        ; implicit-def: $sgpr36
	v_cmpx_eq_u16_e32 0x80, v15
; %bb.3336:                             ;   in Loop: Header=BB4_3296 Depth=4
	s_mov_b32 s36, 0x7f800001
	s_xor_b32 s13, exec_lo, -1
; %bb.3337:                             ;   in Loop: Header=BB4_3296 Depth=4
	s_or_b32 exec_lo, exec_lo, s38
	s_delay_alu instid0(SALU_CYCLE_1)
	s_and_b32 s13, s13, exec_lo
                                        ; implicit-def: $vgpr15
	s_or_saveexec_b32 s37, s37
	v_mov_b32_e32 v16, s36
	s_xor_b32 exec_lo, exec_lo, s37
	s_cbranch_execz .LBB4_3314
.LBB4_3338:                             ;   in Loop: Header=BB4_3296 Depth=4
	v_cmp_ne_u16_e32 vcc_lo, 0, v15
	v_mov_b32_e32 v16, 0
	s_and_not1_b32 s13, s13, exec_lo
	s_and_b32 vcc_lo, vcc_lo, exec_lo
	s_delay_alu instid0(SALU_CYCLE_1)
	s_or_b32 s13, s13, vcc_lo
	s_or_b32 exec_lo, exec_lo, s37
	s_and_saveexec_b32 vcc_lo, s13
	s_cbranch_execnz .LBB4_3315
	s_branch .LBB4_3316
.LBB4_3339:                             ;   in Loop: Header=BB4_305 Depth=3
	s_or_b32 exec_lo, exec_lo, s34
.LBB4_3340:                             ;   in Loop: Header=BB4_305 Depth=3
	s_delay_alu instid0(SALU_CYCLE_1)
	s_or_b32 exec_lo, exec_lo, s14
.LBB4_3341:                             ;   in Loop: Header=BB4_305 Depth=3
	s_and_saveexec_b32 s13, s3
	s_cbranch_execz .LBB4_3363
; %bb.3342:                             ;   in Loop: Header=BB4_305 Depth=3
	s_and_saveexec_b32 s14, s4
	s_delay_alu instid0(SALU_CYCLE_1)
	s_xor_b32 s14, exec_lo, s14
	s_cbranch_execz .LBB4_3360
; %bb.3343:                             ;   in Loop: Header=BB4_305 Depth=3
	s_and_saveexec_b32 s31, s1
	s_cbranch_execz .LBB4_3359
; %bb.3344:                             ;   in Loop: Header=BB4_305 Depth=3
	s_mov_b32 s35, exec_lo
	s_mov_b32 s34, exec_lo
	v_mbcnt_lo_u32_b32 v2, s35, 0
	s_waitcnt vmcnt(0) lgkmcnt(0)
	s_waitcnt_vscnt null, 0x0
	buffer_gl1_inv
	buffer_gl0_inv
	v_cmpx_eq_u32_e32 0, v2
	s_cbranch_execz .LBB4_3346
; %bb.3345:                             ;   in Loop: Header=BB4_305 Depth=3
	s_bcnt1_i32_b32 vcc_lo, s35
	s_delay_alu instid0(SALU_CYCLE_1)
	v_mov_b32_e32 v2, vcc_lo
	ds_add_u64 v0, v[2:3]
	s_cbranch_execz .LBB4_3346
; %bb.10868:
	s_getpc_b64 s[48:49]
.Lpost_getpc211:
	s_add_u32 s48, s48, (.LBB4_10490-.Lpost_getpc211)&4294967295
	s_addc_u32 s49, s49, (.LBB4_10490-.Lpost_getpc211)>>32
	s_setpc_b64 s[48:49]
.LBB4_3346:                             ;   in Loop: Header=BB4_305 Depth=3
	s_or_b32 exec_lo, exec_lo, s34
	s_cbranch_execz .LBB4_3347
; %bb.10870:
	s_getpc_b64 s[48:49]
.Lpost_getpc212:
	s_add_u32 s48, s48, (.LBB4_10460-.Lpost_getpc212)&4294967295
	s_addc_u32 s49, s49, (.LBB4_10460-.Lpost_getpc212)>>32
	s_setpc_b64 s[48:49]
.LBB4_3347:                             ;   in Loop: Header=BB4_305 Depth=3
	ds_load_b64 v[8:9], v0
	v_add_co_u32 v48, vcc_lo, v48, v97
	v_add_co_ci_u32_e32 v49, vcc_lo, 0, v49, vcc_lo
	s_mov_b32 s34, exec_lo
	s_waitcnt lgkmcnt(0)
	s_delay_alu instid0(VALU_DEP_1)
	v_cmpx_lt_u64_e64 v[8:9], v[48:49]
	s_cbranch_execz .LBB4_3358
; %bb.3348:                             ;   in Loop: Header=BB4_305 Depth=3
	s_mov_b32 s35, 0
	s_mov_b32 s38, 0
                                        ; implicit-def: $sgpr36
                                        ; implicit-def: $sgpr37
	s_branch .LBB4_3350
.LBB4_3349:                             ;   in Loop: Header=BB4_3350 Depth=4
	s_or_b32 exec_lo, exec_lo, s40
	s_delay_alu instid0(SALU_CYCLE_1) | instskip(NEXT) | instid1(SALU_CYCLE_1)
	s_and_b32 vcc_lo, exec_lo, vcc_lo
	s_or_b32 s35, vcc_lo, s35
	s_and_not1_b32 vcc_lo, s36, exec_lo
	s_and_b32 s36, s37, exec_lo
	s_delay_alu instid0(SALU_CYCLE_1)
	s_or_b32 s36, vcc_lo, s36
	s_and_not1_b32 exec_lo, exec_lo, s35
	s_cbranch_execz .LBB4_3356
.LBB4_3350:                             ;   Parent Loop BB4_51 Depth=1
                                        ;     Parent Loop BB4_303 Depth=2
                                        ;       Parent Loop BB4_305 Depth=3
                                        ; =>      This Inner Loop Header: Depth=4
	s_add_i32 s38, s38, 1
                                        ; implicit-def: $sgpr40
	s_delay_alu instid0(SALU_CYCLE_1) | instskip(SKIP_1) | instid1(SALU_CYCLE_1)
	s_cmpk_lg_i32 s38, 0x2710
	s_cselect_b32 s39, -1, 0
	s_and_b32 vcc_lo, exec_lo, s39
	s_cbranch_vccz .LBB4_3354
.LBB4_3351:                             ;   in Loop: Header=BB4_3350 Depth=4
	s_and_not1_b32 s37, s37, exec_lo
	s_and_b32 s40, s40, exec_lo
	s_mov_b32 vcc_lo, -1
	s_or_b32 s37, s37, s40
	s_and_saveexec_b32 s40, s39
	s_cbranch_execz .LBB4_3349
; %bb.3352:                             ;   in Loop: Header=BB4_3350 Depth=4
	s_sleep 1
	s_cbranch_execz .LBB4_3353
; %bb.10872:
	s_getpc_b64 s[48:49]
.Lpost_getpc213:
	s_add_u32 s48, s48, (.LBB4_10542-.Lpost_getpc213)&4294967295
	s_addc_u32 s49, s49, (.LBB4_10542-.Lpost_getpc213)>>32
	s_setpc_b64 s[48:49]
.LBB4_3353:                             ;   in Loop: Header=BB4_3350 Depth=4
	ds_load_b64 v[8:9], v0
	s_and_not1_b32 s37, s37, exec_lo
	s_waitcnt lgkmcnt(0)
	v_cmp_ge_u64_e32 vcc_lo, v[8:9], v[48:49]
	s_or_not1_b32 vcc_lo, vcc_lo, exec_lo
	s_branch .LBB4_3349
.LBB4_3354:                             ;   in Loop: Header=BB4_3350 Depth=4
	s_cbranch_execz .LBB4_3355
; %bb.10874:
	s_getpc_b64 s[48:49]
.Lpost_getpc214:
	s_add_u32 s48, s48, (.LBB4_10558-.Lpost_getpc214)&4294967295
	s_addc_u32 s49, s49, (.LBB4_10558-.Lpost_getpc214)>>32
	s_setpc_b64 s[48:49]
.LBB4_3355:                             ;   in Loop: Header=BB4_3350 Depth=4
	ds_load_b64 v[8:9], v0
	s_and_not1_b32 s39, s39, exec_lo
	s_mov_b32 s38, 0
	s_mov_b32 s40, -1
	s_waitcnt lgkmcnt(0)
	flat_load_b32 v2, v[8:9] glc
	s_waitcnt vmcnt(0) lgkmcnt(0)
	buffer_gl1_inv
	buffer_gl0_inv
	v_cmp_eq_u32_e32 vcc_lo, 0, v2
	s_and_b32 vcc_lo, vcc_lo, exec_lo
	s_delay_alu instid0(SALU_CYCLE_1)
	s_or_b32 s39, s39, vcc_lo
	s_branch .LBB4_3351
.LBB4_3356:                             ;   in Loop: Header=BB4_305 Depth=3
	s_or_b32 exec_lo, exec_lo, s35
	s_and_saveexec_b32 vcc_lo, s36
	s_delay_alu instid0(SALU_CYCLE_1)
	s_xor_b32 vcc_lo, exec_lo, vcc_lo
	s_cbranch_execz .LBB4_3358
; %bb.3357:                             ;   in Loop: Header=BB4_305 Depth=3
	ds_store_b32 v0, v134
	s_cbranch_execz .LBB4_3358
; %bb.10876:
	s_getpc_b64 s[48:49]
.Lpost_getpc215:
	s_add_u32 s48, s48, (.LBB4_10678-.Lpost_getpc215)&4294967295
	s_addc_u32 s49, s49, (.LBB4_10678-.Lpost_getpc215)>>32
	s_setpc_b64 s[48:49]
.LBB4_3358:                             ;   in Loop: Header=BB4_305 Depth=3
	s_or_b32 exec_lo, exec_lo, s34
	;;#ASMSTART
	s_wakeup
	;;#ASMEND
.LBB4_3359:                             ;   in Loop: Header=BB4_305 Depth=3
	s_or_b32 exec_lo, exec_lo, s31
.LBB4_3360:                             ;   in Loop: Header=BB4_305 Depth=3
	s_and_not1_saveexec_b32 s14, s14
	s_cbranch_execz .LBB4_3362
; %bb.3361:                             ;   in Loop: Header=BB4_305 Depth=3
	s_waitcnt vmcnt(0) lgkmcnt(0)
	s_waitcnt_vscnt null, 0x0
	buffer_gl1_inv
	buffer_gl0_inv
	s_barrier
.LBB4_3362:                             ;   in Loop: Header=BB4_305 Depth=3
	s_or_b32 exec_lo, exec_lo, s14
.LBB4_3363:                             ;   in Loop: Header=BB4_305 Depth=3
	s_delay_alu instid0(SALU_CYCLE_1) | instskip(SKIP_1) | instid1(SALU_CYCLE_1)
	s_or_b32 exec_lo, exec_lo, s13
                                        ; implicit-def: $vgpr2
	s_and_saveexec_b32 s13, s7
	s_xor_b32 s14, exec_lo, s13
	s_cbranch_execz .LBB4_3367
; %bb.3364:                             ;   in Loop: Header=BB4_305 Depth=3
	v_and_b32_e32 v2, 16, v30
	v_cmp_lt_i32_e32 vcc_lo, 0, v69
	s_delay_alu instid0(VALU_DEP_2) | instskip(SKIP_1) | instid1(VALU_DEP_2)
	v_cmp_ne_u32_e64 s13, 0, v2
	v_and_b32_e32 v2, 16, v30
	s_and_b32 vcc_lo, s13, vcc_lo
	s_delay_alu instid0(SALU_CYCLE_1)
	s_and_saveexec_b32 s13, vcc_lo
	s_cbranch_execz .LBB4_3366
; %bb.3365:                             ;   in Loop: Header=BB4_305 Depth=3
	v_mov_b32_e32 v2, 1
	s_waitcnt vmcnt(0) lgkmcnt(0)
	s_waitcnt_vscnt null, 0x0
	buffer_gl1_inv
	buffer_gl0_inv
.LBB4_3366:                             ;   in Loop: Header=BB4_305 Depth=3
	s_or_b32 exec_lo, exec_lo, s13
.LBB4_3367:                             ;   in Loop: Header=BB4_305 Depth=3
	s_and_not1_saveexec_b32 s13, s14
	s_cbranch_execz .LBB4_3389
; %bb.3368:                             ;   in Loop: Header=BB4_305 Depth=3
	s_and_saveexec_b32 s14, s4
	s_delay_alu instid0(SALU_CYCLE_1)
	s_xor_b32 s14, exec_lo, s14
	s_cbranch_execz .LBB4_3386
; %bb.3369:                             ;   in Loop: Header=BB4_305 Depth=3
	s_and_saveexec_b32 s31, s1
	s_cbranch_execz .LBB4_3385
; %bb.3370:                             ;   in Loop: Header=BB4_305 Depth=3
	s_mov_b32 s35, exec_lo
	s_mov_b32 s34, exec_lo
	v_mbcnt_lo_u32_b32 v2, s35, 0
	;;#ASMSTART
	s_waitcnt lgkmcnt(0) vmcnt(0)
	;;#ASMEND
	s_delay_alu instid0(VALU_DEP_1)
	v_cmpx_eq_u32_e32 0, v2
	s_cbranch_execz .LBB4_3372
; %bb.3371:                             ;   in Loop: Header=BB4_305 Depth=3
	s_bcnt1_i32_b32 vcc_lo, s35
	s_delay_alu instid0(SALU_CYCLE_1)
	v_mov_b32_e32 v2, vcc_lo
	ds_add_u64 v0, v[2:3]
	s_cbranch_execz .LBB4_3372
; %bb.10878:
	s_getpc_b64 s[48:49]
.Lpost_getpc216:
	s_add_u32 s48, s48, (.LBB4_10502-.Lpost_getpc216)&4294967295
	s_addc_u32 s49, s49, (.LBB4_10502-.Lpost_getpc216)>>32
	s_setpc_b64 s[48:49]
.LBB4_3372:                             ;   in Loop: Header=BB4_305 Depth=3
	s_or_b32 exec_lo, exec_lo, s34
	s_cbranch_execz .LBB4_3373
; %bb.10880:
	s_getpc_b64 s[48:49]
.Lpost_getpc217:
	s_add_u32 s48, s48, (.LBB4_10470-.Lpost_getpc217)&4294967295
	s_addc_u32 s49, s49, (.LBB4_10470-.Lpost_getpc217)>>32
	s_setpc_b64 s[48:49]
.LBB4_3373:                             ;   in Loop: Header=BB4_305 Depth=3
	ds_load_b64 v[8:9], v0
	v_add_co_u32 v48, vcc_lo, v48, v97
	v_add_co_ci_u32_e32 v49, vcc_lo, 0, v49, vcc_lo
	s_mov_b32 s34, exec_lo
	s_waitcnt lgkmcnt(0)
	s_delay_alu instid0(VALU_DEP_1)
	v_cmpx_lt_u64_e64 v[8:9], v[48:49]
	s_cbranch_execz .LBB4_3384
; %bb.3374:                             ;   in Loop: Header=BB4_305 Depth=3
	s_mov_b32 s35, 0
	s_mov_b32 s38, 0
                                        ; implicit-def: $sgpr36
                                        ; implicit-def: $sgpr37
	s_branch .LBB4_3376
.LBB4_3375:                             ;   in Loop: Header=BB4_3376 Depth=4
	s_or_b32 exec_lo, exec_lo, s40
	s_delay_alu instid0(SALU_CYCLE_1) | instskip(NEXT) | instid1(SALU_CYCLE_1)
	s_and_b32 vcc_lo, exec_lo, vcc_lo
	s_or_b32 s35, vcc_lo, s35
	s_and_not1_b32 vcc_lo, s36, exec_lo
	s_and_b32 s36, s37, exec_lo
	s_delay_alu instid0(SALU_CYCLE_1)
	s_or_b32 s36, vcc_lo, s36
	s_and_not1_b32 exec_lo, exec_lo, s35
	s_cbranch_execz .LBB4_3382
.LBB4_3376:                             ;   Parent Loop BB4_51 Depth=1
                                        ;     Parent Loop BB4_303 Depth=2
                                        ;       Parent Loop BB4_305 Depth=3
                                        ; =>      This Inner Loop Header: Depth=4
	s_add_i32 s38, s38, 1
                                        ; implicit-def: $sgpr40
	s_delay_alu instid0(SALU_CYCLE_1) | instskip(SKIP_1) | instid1(SALU_CYCLE_1)
	s_cmpk_lg_i32 s38, 0x2710
	s_cselect_b32 s39, -1, 0
	s_and_b32 vcc_lo, exec_lo, s39
	s_cbranch_vccz .LBB4_3380
.LBB4_3377:                             ;   in Loop: Header=BB4_3376 Depth=4
	s_and_not1_b32 s37, s37, exec_lo
	s_and_b32 s40, s40, exec_lo
	s_mov_b32 vcc_lo, -1
	s_or_b32 s37, s37, s40
	s_and_saveexec_b32 s40, s39
	s_cbranch_execz .LBB4_3375
; %bb.3378:                             ;   in Loop: Header=BB4_3376 Depth=4
	s_sleep 1
	s_cbranch_execz .LBB4_3379
; %bb.10882:
	s_getpc_b64 s[48:49]
.Lpost_getpc218:
	s_add_u32 s48, s48, (.LBB4_10550-.Lpost_getpc218)&4294967295
	s_addc_u32 s49, s49, (.LBB4_10550-.Lpost_getpc218)>>32
	s_setpc_b64 s[48:49]
.LBB4_3379:                             ;   in Loop: Header=BB4_3376 Depth=4
	ds_load_b64 v[8:9], v0
	s_and_not1_b32 s37, s37, exec_lo
	s_waitcnt lgkmcnt(0)
	v_cmp_ge_u64_e32 vcc_lo, v[8:9], v[48:49]
	s_or_not1_b32 vcc_lo, vcc_lo, exec_lo
	s_branch .LBB4_3375
.LBB4_3380:                             ;   in Loop: Header=BB4_3376 Depth=4
	s_cbranch_execz .LBB4_3381
; %bb.10884:
	s_getpc_b64 s[48:49]
.Lpost_getpc219:
	s_add_u32 s48, s48, (.LBB4_10572-.Lpost_getpc219)&4294967295
	s_addc_u32 s49, s49, (.LBB4_10572-.Lpost_getpc219)>>32
	s_setpc_b64 s[48:49]
.LBB4_3381:                             ;   in Loop: Header=BB4_3376 Depth=4
	ds_load_b64 v[8:9], v0
	s_and_not1_b32 s39, s39, exec_lo
	s_mov_b32 s38, 0
	s_mov_b32 s40, -1
	s_waitcnt vmcnt(0) lgkmcnt(0)
	s_waitcnt_vscnt null, 0x0
	flat_load_b32 v2, v[8:9] glc
	s_waitcnt vmcnt(0) lgkmcnt(0)
	buffer_gl1_inv
	buffer_gl0_inv
	v_cmp_eq_u32_e32 vcc_lo, 0, v2
	s_and_b32 vcc_lo, vcc_lo, exec_lo
	s_delay_alu instid0(SALU_CYCLE_1)
	s_or_b32 s39, s39, vcc_lo
	s_branch .LBB4_3377
.LBB4_3382:                             ;   in Loop: Header=BB4_305 Depth=3
	s_or_b32 exec_lo, exec_lo, s35
	s_and_saveexec_b32 vcc_lo, s36
	s_delay_alu instid0(SALU_CYCLE_1)
	s_xor_b32 vcc_lo, exec_lo, vcc_lo
	s_cbranch_execz .LBB4_3384
; %bb.3383:                             ;   in Loop: Header=BB4_305 Depth=3
	ds_store_b32 v0, v134
	s_cbranch_execz .LBB4_3384
; %bb.10886:
	s_getpc_b64 s[48:49]
.Lpost_getpc220:
	s_add_u32 s48, s48, (.LBB4_10686-.Lpost_getpc220)&4294967295
	s_addc_u32 s49, s49, (.LBB4_10686-.Lpost_getpc220)>>32
	s_setpc_b64 s[48:49]
.LBB4_3384:                             ;   in Loop: Header=BB4_305 Depth=3
	s_or_b32 exec_lo, exec_lo, s34
	;;#ASMSTART
	s_wakeup
	;;#ASMEND
.LBB4_3385:                             ;   in Loop: Header=BB4_305 Depth=3
	s_or_b32 exec_lo, exec_lo, s31
.LBB4_3386:                             ;   in Loop: Header=BB4_305 Depth=3
	s_and_not1_saveexec_b32 s14, s14
	s_cbranch_execz .LBB4_3388
; %bb.3387:                             ;   in Loop: Header=BB4_305 Depth=3
	;;#ASMSTART
	s_waitcnt lgkmcnt(0) vmcnt(0)
	;;#ASMEND
	s_waitcnt vmcnt(0) lgkmcnt(0)
	s_waitcnt_vscnt null, 0x0
	s_barrier
.LBB4_3388:                             ;   in Loop: Header=BB4_305 Depth=3
	s_or_b32 exec_lo, exec_lo, s14
	v_and_b32_e32 v2, 16, v30
.LBB4_3389:                             ;   in Loop: Header=BB4_305 Depth=3
	s_or_b32 exec_lo, exec_lo, s13
	s_delay_alu instid0(VALU_DEP_1) | instskip(SKIP_1) | instid1(SALU_CYCLE_1)
	v_cmp_ne_u32_e32 vcc_lo, 0, v2
	s_xor_b32 s13, s10, -1
	s_and_b32 s14, vcc_lo, s13
	s_delay_alu instid0(SALU_CYCLE_1)
	s_and_saveexec_b32 s13, s14
	s_cbranch_execz .LBB4_3391
; %bb.3390:                             ;   in Loop: Header=BB4_305 Depth=3
	s_waitcnt vmcnt(0) lgkmcnt(0)
	s_waitcnt_vscnt null, 0x0
	flat_store_b32 v[38:39], v134
.LBB4_3391:                             ;   in Loop: Header=BB4_305 Depth=3
	s_or_b32 exec_lo, exec_lo, s13
	v_and_b32_e32 v2, 48, v30
	s_mov_b32 s13, exec_lo
	s_delay_alu instid0(VALU_DEP_1)
	v_cmpx_ne_u32_e32 0, v2
	s_cbranch_execz .LBB4_3393
; %bb.3392:                             ;   in Loop: Header=BB4_305 Depth=3
	v_add_co_u32 v34, vcc_lo, v34, 2
	v_add_co_ci_u32_e32 v35, vcc_lo, 0, v35, vcc_lo
	s_waitcnt vmcnt(0) lgkmcnt(0)
	s_waitcnt_vscnt null, 0x0
	flat_store_b64 v[32:33], v[34:35]
.LBB4_3393:                             ;   in Loop: Header=BB4_305 Depth=3
	s_or_b32 exec_lo, exec_lo, s13
	v_add_nc_u32_e32 v146, v68, v146
	v_readlane_b32 s13, v56, 10
	s_mov_b32 s36, s30
	v_readlane_b32 s34, v56, 5
	v_readlane_b32 s31, v56, 6
	v_cmp_ge_i32_e32 vcc_lo, v146, v145
	s_xor_b32 s13, s13, -1
	v_readlane_b32 s30, v56, 8
	v_readlane_b32 s35, v56, 7
	s_mov_b32 s37, 0
	s_or_b32 s13, s13, vcc_lo
	s_delay_alu instid0(SALU_CYCLE_1) | instskip(SKIP_3) | instid1(VALU_DEP_1)
	s_and_b32 s14, exec_lo, s13
	v_readlane_b32 s13, v56, 9
	s_or_b32 s17, s14, s17
	s_mov_b32 s14, 2
	v_mov_b32_e32 v2, s13
	s_and_not1_b32 exec_lo, exec_lo, s17
	s_cbranch_execnz .LBB4_305
; %bb.3394:                             ;   in Loop: Header=BB4_303 Depth=2
	s_or_b32 exec_lo, exec_lo, s17
.LBB4_3395:                             ;   in Loop: Header=BB4_303 Depth=2
	s_delay_alu instid0(SALU_CYCLE_1) | instskip(NEXT) | instid1(SALU_CYCLE_1)
	s_or_b32 exec_lo, exec_lo, s16
	s_mov_b32 s14, exec_lo
	v_cmpx_gt_i32_e32 2, v2
	s_cbranch_execz .LBB4_3481
; %bb.3396:                             ;   in Loop: Header=BB4_303 Depth=2
	v_cmp_eq_u32_e64 s13, 0, v2
	s_mov_b32 s16, 0
.LBB4_3397:                             ;   Parent Loop BB4_51 Depth=1
                                        ;     Parent Loop BB4_303 Depth=2
                                        ; =>    This Loop Header: Depth=3
                                        ;         Child Loop BB4_3403 Depth 4
                                        ;         Child Loop BB4_3435 Depth 4
	;; [unrolled: 1-line block ×3, first 2 shown]
	v_and_b32_e32 v2, 12, v30
	s_mov_b32 s37, -1
	s_mov_b32 s17, exec_lo
	s_delay_alu instid0(VALU_DEP_1)
	v_cmpx_ne_u32_e32 0, v2
	s_cbranch_execz .LBB4_3411
; %bb.3398:                             ;   in Loop: Header=BB4_3397 Depth=3
	v_and_b32_e32 v2, 8, v30
	s_delay_alu instid0(VALU_DEP_1) | instskip(SKIP_3) | instid1(VALU_DEP_1)
	v_add_co_u32 v10, vcc_lo, v50, v2
	v_add_co_ci_u32_e32 v11, vcc_lo, 0, v51, vcc_lo
	v_add_co_u32 v8, vcc_lo, v34, 2
	v_add_co_ci_u32_e32 v9, vcc_lo, 0, v35, vcc_lo
	v_cmp_lt_u64_e32 vcc_lo, v[10:11], v[8:9]
	v_mov_b32_e32 v10, 1
	s_and_saveexec_b32 s37, vcc_lo
	s_cbranch_execz .LBB4_3410
; %bb.3399:                             ;   in Loop: Header=BB4_3397 Depth=3
	v_mov_b32_e32 v10, 0
	s_mov_b32 s38, 0
                                        ; implicit-def: $sgpr39
	s_branch .LBB4_3403
.LBB4_3400:                             ;   in Loop: Header=BB4_3403 Depth=4
	s_or_b32 exec_lo, exec_lo, s43
	v_mov_b32_e32 v11, 0
	s_or_not1_b32 s42, s42, exec_lo
.LBB4_3401:                             ;   in Loop: Header=BB4_3403 Depth=4
	s_or_b32 exec_lo, exec_lo, s41
	s_delay_alu instid0(VALU_DEP_1) | instskip(SKIP_2) | instid1(SALU_CYCLE_1)
	v_mov_b32_e32 v10, v11
	s_and_not1_b32 vcc_lo, s39, exec_lo
	s_and_b32 s39, s42, exec_lo
	s_or_b32 s39, vcc_lo, s39
.LBB4_3402:                             ;   in Loop: Header=BB4_3403 Depth=4
	s_or_b32 exec_lo, exec_lo, s40
	s_waitcnt vmcnt(0) lgkmcnt(0)
	v_add_co_u32 v11, vcc_lo, v50, v2
	v_add_co_ci_u32_e32 v12, vcc_lo, 0, v51, vcc_lo
	s_xor_b32 s40, s39, -1
	s_delay_alu instid0(VALU_DEP_1) | instskip(SKIP_1) | instid1(SALU_CYCLE_1)
	v_cmp_ge_u64_e32 vcc_lo, v[11:12], v[8:9]
	s_or_b32 vcc_lo, s40, vcc_lo
	s_and_b32 vcc_lo, exec_lo, vcc_lo
	s_delay_alu instid0(SALU_CYCLE_1) | instskip(NEXT) | instid1(SALU_CYCLE_1)
	s_or_b32 s38, vcc_lo, s38
	s_and_not1_b32 exec_lo, exec_lo, s38
	s_cbranch_execz .LBB4_3409
.LBB4_3403:                             ;   Parent Loop BB4_51 Depth=1
                                        ;     Parent Loop BB4_303 Depth=2
                                        ;       Parent Loop BB4_3397 Depth=3
                                        ; =>      This Inner Loop Header: Depth=4
	s_sleep 1
	flat_load_b64 v[50:51], v[32:33] glc
	v_and_b32_e32 v11, 64, v30
	s_and_not1_b32 s39, s39, exec_lo
	s_mov_b32 s40, exec_lo
	s_delay_alu instid0(VALU_DEP_1)
	v_cmpx_eq_u32_e32 0, v11
	s_cbranch_execz .LBB4_3402
; %bb.3404:                             ;   in Loop: Header=BB4_3403 Depth=4
	v_add_nc_u32_e32 v11, 1, v10
	s_mov_b32 s42, -1
	s_mov_b32 s41, exec_lo
	v_cmpx_lt_i32_e32 0x270e, v10
	s_cbranch_execz .LBB4_3401
; %bb.3405:                             ;   in Loop: Header=BB4_3403 Depth=4
	s_cbranch_execz .LBB4_3406
; %bb.10888:
	s_getpc_b64 s[48:49]
.Lpost_getpc221:
	s_add_u32 s48, s48, (.LBB4_10276-.Lpost_getpc221)&4294967295
	s_addc_u32 s49, s49, (.LBB4_10276-.Lpost_getpc221)>>32
	s_setpc_b64 s[48:49]
.LBB4_3406:                             ;   in Loop: Header=BB4_3403 Depth=4
	ds_load_b64 v[10:11], v0
	s_mov_b32 s43, exec_lo
	s_waitcnt vmcnt(0) lgkmcnt(0)
	s_waitcnt_vscnt null, 0x0
	flat_load_b32 v10, v[10:11] glc
	s_waitcnt vmcnt(0) lgkmcnt(0)
	buffer_gl1_inv
	buffer_gl0_inv
	v_cmpx_ne_u32_e32 0, v10
	s_cbranch_execz .LBB4_3400
; %bb.3407:                             ;   in Loop: Header=BB4_3403 Depth=4
	ds_store_b32 v0, v10
	s_cbranch_execz .LBB4_3408
; %bb.10890:
	s_getpc_b64 s[48:49]
.Lpost_getpc222:
	s_add_u32 s48, s48, (.LBB4_10324-.Lpost_getpc222)&4294967295
	s_addc_u32 s49, s49, (.LBB4_10324-.Lpost_getpc222)>>32
	s_setpc_b64 s[48:49]
.LBB4_3408:                             ;   in Loop: Header=BB4_3403 Depth=4
	v_or_b32_e32 v30, 64, v30
	s_xor_b32 s42, exec_lo, -1
	s_branch .LBB4_3400
.LBB4_3409:                             ;   in Loop: Header=BB4_3397 Depth=3
	s_or_b32 exec_lo, exec_lo, s38
	v_and_b32_e32 v10, 12, v30
.LBB4_3410:                             ;   in Loop: Header=BB4_3397 Depth=3
	s_or_b32 exec_lo, exec_lo, s37
	s_delay_alu instid0(VALU_DEP_1)
	v_cmp_eq_u32_e32 vcc_lo, 0, v10
	;;#ASMSTART
	s_wakeup
	;;#ASMEND
	s_or_not1_b32 s37, vcc_lo, exec_lo
.LBB4_3411:                             ;   in Loop: Header=BB4_3397 Depth=3
	s_or_b32 exec_lo, exec_lo, s17
	v_sub_nc_u32_e32 v2, v145, v146
	s_xor_b32 s13, s13, -1
	s_delay_alu instid0(SALU_CYCLE_1) | instskip(NEXT) | instid1(SALU_CYCLE_1)
	s_and_b32 s13, exec_lo, s13
	s_or_b32 s16, s13, s16
	s_delay_alu instid0(VALU_DEP_1) | instskip(SKIP_1) | instid1(SALU_CYCLE_1)
	v_min_i32_e32 v68, v68, v2
	s_xor_b32 s13, s37, -1
	s_and_saveexec_b32 s17, s13
	s_cbranch_execz .LBB4_3426
; %bb.3412:                             ;   in Loop: Header=BB4_3397 Depth=3
	v_and_b32_e32 v2, 0x108, v30
	s_mov_b32 s13, exec_lo
	s_delay_alu instid0(VALU_DEP_1)
	v_cmpx_ne_u32_e32 0x108, v2
	s_xor_b32 s13, exec_lo, s13
                                        ; implicit-def: $vgpr8_vgpr9
; %bb.3413:                             ;   in Loop: Header=BB4_3397 Depth=3
	v_and_b32_e32 v8, 7, v34
; %bb.3414:                             ;   in Loop: Header=BB4_3397 Depth=3
	s_and_not1_saveexec_b32 s13, s13
	s_cbranch_execz .LBB4_3416
; %bb.3415:                             ;   in Loop: Header=BB4_3397 Depth=3
	v_and_b32_e32 v8, 7, v34
	v_ashrrev_i32_e32 v69, 31, v68
	s_delay_alu instid0(VALU_DEP_2)
	v_mad_u64_u32 v[9:10], null, v8, 24, v[6:7]
	flat_store_b64 v[9:10], v[68:69] offset:8
.LBB4_3416:                             ;   in Loop: Header=BB4_3397 Depth=3
	s_or_b32 exec_lo, exec_lo, s13
	v_and_b32_e32 v2, 0x100, v30
	s_mov_b32 s13, -1
	s_mov_b32 s37, exec_lo
                                        ; implicit-def: $vgpr9_vgpr10
	s_delay_alu instid0(VALU_DEP_1)
	v_cmpx_ne_u32_e32 0, v2
	s_cbranch_execnz .LBB4_3419
; %bb.3417:                             ;   in Loop: Header=BB4_3397 Depth=3
	s_or_b32 exec_lo, exec_lo, s37
	s_and_saveexec_b32 vcc_lo, s13
	s_cbranch_execnz .LBB4_3422
.LBB4_3418:                             ;   in Loop: Header=BB4_3397 Depth=3
	s_or_b32 exec_lo, exec_lo, vcc_lo
	s_cbranch_execz .LBB4_3423
; %bb.10892:
	s_getpc_b64 s[48:49]
.Lpost_getpc223:
	s_add_u32 s48, s48, (.LBB4_10268-.Lpost_getpc223)&4294967295
	s_addc_u32 s49, s49, (.LBB4_10268-.Lpost_getpc223)>>32
	s_setpc_b64 s[48:49]
.LBB4_3419:                             ;   in Loop: Header=BB4_3397 Depth=3
	v_mad_u64_u32 v[11:12], null, v8, 24, v[6:7]
	s_mov_b32 s38, exec_lo
	s_delay_alu instid0(VALU_DEP_1) | instskip(NEXT) | instid1(VALU_DEP_1)
	v_mov_b32_e32 v2, v12
	v_mad_u64_u32 v[9:10], null, v3, 24, v[2:3]
	s_delay_alu instid0(VALU_DEP_1)
	v_mov_b32_e32 v12, v9
                                        ; implicit-def: $vgpr9_vgpr10
	flat_load_b32 v2, v[11:12]
	s_waitcnt vmcnt(0) lgkmcnt(0)
	v_cmp_ne_u32_e32 vcc_lo, 1, v2
	v_cmpx_eq_u32_e32 1, v2
	s_cbranch_execz .LBB4_3421
; %bb.3420:                             ;   in Loop: Header=BB4_3397 Depth=3
	flat_load_b32 v9, v[11:12] offset:4 glc
	s_waitcnt vmcnt(0) lgkmcnt(0)
	v_ashrrev_i32_e32 v10, 31, v9
.LBB4_3421:                             ;   in Loop: Header=BB4_3397 Depth=3
	s_or_b32 exec_lo, exec_lo, s38
	s_delay_alu instid0(SALU_CYCLE_1)
	s_or_not1_b32 s13, vcc_lo, exec_lo
	s_or_b32 exec_lo, exec_lo, s37
	s_and_saveexec_b32 vcc_lo, s13
	s_cbranch_execz .LBB4_3418
.LBB4_3422:                             ;   in Loop: Header=BB4_3397 Depth=3
	v_mul_lo_u32 v2, v3, v86
	v_mul_lo_u32 v11, v8, v96
	v_mad_u64_u32 v[9:10], null, v8, v86, 0
	s_delay_alu instid0(VALU_DEP_1)
	v_add3_u32 v10, v10, v11, v2
	s_or_b32 exec_lo, exec_lo, vcc_lo
	s_cbranch_execz .LBB4_3423
; %bb.10894:
	s_getpc_b64 s[48:49]
.Lpost_getpc224:
	s_add_u32 s48, s48, (.LBB4_10268-.Lpost_getpc224)&4294967295
	s_addc_u32 s49, s49, (.LBB4_10268-.Lpost_getpc224)>>32
	s_setpc_b64 s[48:49]
.LBB4_3423:                             ;   in Loop: Header=BB4_3397 Depth=3
	s_delay_alu instid0(VALU_DEP_2)
	v_add_co_u32 v8, vcc_lo, v36, v9
	v_and_b32_e32 v2, 0x2000, v30
	v_add_co_ci_u32_e32 v9, vcc_lo, v37, v10, vcc_lo
	s_mov_b32 s13, exec_lo
	ds_store_b64 v0, v[8:9]
	v_cmpx_ne_u32_e32 0, v2
	s_cbranch_execz .LBB4_3425
; %bb.3424:                             ;   in Loop: Header=BB4_3397 Depth=3
	ds_load_b64 v[8:9], v0 offset:584
	s_waitcnt lgkmcnt(0)
	v_add_co_u32 v8, vcc_lo, v8, 1
	v_add_co_ci_u32_e32 v9, vcc_lo, 0, v9, vcc_lo
	ds_store_b64 v0, v[8:9] offset:584
.LBB4_3425:                             ;   in Loop: Header=BB4_3397 Depth=3
	s_or_b32 exec_lo, exec_lo, s13
	v_add_co_u32 v34, vcc_lo, v34, 2
	v_add_co_ci_u32_e32 v35, vcc_lo, 0, v35, vcc_lo
.LBB4_3426:                             ;   in Loop: Header=BB4_3397 Depth=3
	s_or_b32 exec_lo, exec_lo, s17
	s_and_saveexec_b32 s13, s3
	s_cbranch_execz .LBB4_3448
; %bb.3427:                             ;   in Loop: Header=BB4_3397 Depth=3
	s_and_saveexec_b32 s17, s4
	s_delay_alu instid0(SALU_CYCLE_1)
	s_xor_b32 s17, exec_lo, s17
	s_cbranch_execz .LBB4_3445
; %bb.3428:                             ;   in Loop: Header=BB4_3397 Depth=3
	s_and_saveexec_b32 s37, s1
	s_cbranch_execz .LBB4_3444
; %bb.3429:                             ;   in Loop: Header=BB4_3397 Depth=3
	s_mov_b32 s39, exec_lo
	s_mov_b32 s38, exec_lo
	v_mbcnt_lo_u32_b32 v2, s39, 0
	s_waitcnt vmcnt(0) lgkmcnt(0)
	s_waitcnt_vscnt null, 0x0
	buffer_gl1_inv
	buffer_gl0_inv
	v_cmpx_eq_u32_e32 0, v2
	s_cbranch_execz .LBB4_3431
; %bb.3430:                             ;   in Loop: Header=BB4_3397 Depth=3
	s_bcnt1_i32_b32 vcc_lo, s39
	s_delay_alu instid0(SALU_CYCLE_1)
	v_mov_b32_e32 v2, vcc_lo
	ds_add_u64 v0, v[2:3]
	s_cbranch_execz .LBB4_3431
; %bb.10896:
	s_getpc_b64 s[48:49]
.Lpost_getpc225:
	s_add_u32 s48, s48, (.LBB4_10380-.Lpost_getpc225)&4294967295
	s_addc_u32 s49, s49, (.LBB4_10380-.Lpost_getpc225)>>32
	s_setpc_b64 s[48:49]
.LBB4_3431:                             ;   in Loop: Header=BB4_3397 Depth=3
	s_or_b32 exec_lo, exec_lo, s38
	s_cbranch_execz .LBB4_3432
; %bb.10898:
	s_getpc_b64 s[48:49]
.Lpost_getpc226:
	s_add_u32 s48, s48, (.LBB4_10346-.Lpost_getpc226)&4294967295
	s_addc_u32 s49, s49, (.LBB4_10346-.Lpost_getpc226)>>32
	s_setpc_b64 s[48:49]
.LBB4_3432:                             ;   in Loop: Header=BB4_3397 Depth=3
	ds_load_b64 v[8:9], v0
	v_add_co_u32 v48, vcc_lo, v48, v97
	v_add_co_ci_u32_e32 v49, vcc_lo, 0, v49, vcc_lo
	s_mov_b32 s38, exec_lo
	s_waitcnt lgkmcnt(0)
	s_delay_alu instid0(VALU_DEP_1)
	v_cmpx_lt_u64_e64 v[8:9], v[48:49]
	s_cbranch_execz .LBB4_3443
; %bb.3433:                             ;   in Loop: Header=BB4_3397 Depth=3
	s_mov_b32 s39, 0
	s_mov_b32 s42, 0
                                        ; implicit-def: $sgpr40
                                        ; implicit-def: $sgpr41
	s_branch .LBB4_3435
.LBB4_3434:                             ;   in Loop: Header=BB4_3435 Depth=4
	s_or_b32 exec_lo, exec_lo, s44
	s_delay_alu instid0(SALU_CYCLE_1) | instskip(NEXT) | instid1(SALU_CYCLE_1)
	s_and_b32 vcc_lo, exec_lo, vcc_lo
	s_or_b32 s39, vcc_lo, s39
	s_and_not1_b32 vcc_lo, s40, exec_lo
	s_and_b32 s40, s41, exec_lo
	s_delay_alu instid0(SALU_CYCLE_1)
	s_or_b32 s40, vcc_lo, s40
	s_and_not1_b32 exec_lo, exec_lo, s39
	s_cbranch_execz .LBB4_3441
.LBB4_3435:                             ;   Parent Loop BB4_51 Depth=1
                                        ;     Parent Loop BB4_303 Depth=2
                                        ;       Parent Loop BB4_3397 Depth=3
                                        ; =>      This Inner Loop Header: Depth=4
	s_add_i32 s42, s42, 1
                                        ; implicit-def: $sgpr44
	s_delay_alu instid0(SALU_CYCLE_1) | instskip(SKIP_1) | instid1(SALU_CYCLE_1)
	s_cmpk_lg_i32 s42, 0x2710
	s_cselect_b32 s43, -1, 0
	s_and_b32 vcc_lo, exec_lo, s43
	s_cbranch_vccz .LBB4_3439
.LBB4_3436:                             ;   in Loop: Header=BB4_3435 Depth=4
	s_and_not1_b32 s41, s41, exec_lo
	s_and_b32 s44, s44, exec_lo
	s_mov_b32 vcc_lo, -1
	s_or_b32 s41, s41, s44
	s_and_saveexec_b32 s44, s43
	s_cbranch_execz .LBB4_3434
; %bb.3437:                             ;   in Loop: Header=BB4_3435 Depth=4
	s_sleep 1
	s_cbranch_execz .LBB4_3438
; %bb.10900:
	s_getpc_b64 s[48:49]
.Lpost_getpc227:
	s_add_u32 s48, s48, (.LBB4_10428-.Lpost_getpc227)&4294967295
	s_addc_u32 s49, s49, (.LBB4_10428-.Lpost_getpc227)>>32
	s_setpc_b64 s[48:49]
.LBB4_3438:                             ;   in Loop: Header=BB4_3435 Depth=4
	ds_load_b64 v[8:9], v0
	s_and_not1_b32 s41, s41, exec_lo
	s_waitcnt lgkmcnt(0)
	v_cmp_ge_u64_e32 vcc_lo, v[8:9], v[48:49]
	s_or_not1_b32 vcc_lo, vcc_lo, exec_lo
	s_branch .LBB4_3434
.LBB4_3439:                             ;   in Loop: Header=BB4_3435 Depth=4
	s_cbranch_execz .LBB4_3440
; %bb.10902:
	s_getpc_b64 s[48:49]
.Lpost_getpc228:
	s_add_u32 s48, s48, (.LBB4_10436-.Lpost_getpc228)&4294967295
	s_addc_u32 s49, s49, (.LBB4_10436-.Lpost_getpc228)>>32
	s_setpc_b64 s[48:49]
.LBB4_3440:                             ;   in Loop: Header=BB4_3435 Depth=4
	ds_load_b64 v[8:9], v0
	s_and_not1_b32 s43, s43, exec_lo
	s_mov_b32 s42, 0
	s_mov_b32 s44, -1
	s_waitcnt lgkmcnt(0)
	flat_load_b32 v2, v[8:9] glc
	s_waitcnt vmcnt(0) lgkmcnt(0)
	buffer_gl1_inv
	buffer_gl0_inv
	v_cmp_eq_u32_e32 vcc_lo, 0, v2
	s_and_b32 vcc_lo, vcc_lo, exec_lo
	s_delay_alu instid0(SALU_CYCLE_1)
	s_or_b32 s43, s43, vcc_lo
	s_branch .LBB4_3436
.LBB4_3441:                             ;   in Loop: Header=BB4_3397 Depth=3
	s_or_b32 exec_lo, exec_lo, s39
	s_and_saveexec_b32 vcc_lo, s40
	s_delay_alu instid0(SALU_CYCLE_1)
	s_xor_b32 vcc_lo, exec_lo, vcc_lo
	s_cbranch_execz .LBB4_3443
; %bb.3442:                             ;   in Loop: Header=BB4_3397 Depth=3
	ds_store_b32 v0, v134
	s_cbranch_execz .LBB4_3443
; %bb.10904:
	s_getpc_b64 s[48:49]
.Lpost_getpc229:
	s_add_u32 s48, s48, (.LBB4_10638-.Lpost_getpc229)&4294967295
	s_addc_u32 s49, s49, (.LBB4_10638-.Lpost_getpc229)>>32
	s_setpc_b64 s[48:49]
.LBB4_3443:                             ;   in Loop: Header=BB4_3397 Depth=3
	s_or_b32 exec_lo, exec_lo, s38
	;;#ASMSTART
	s_wakeup
	;;#ASMEND
.LBB4_3444:                             ;   in Loop: Header=BB4_3397 Depth=3
	s_or_b32 exec_lo, exec_lo, s37
.LBB4_3445:                             ;   in Loop: Header=BB4_3397 Depth=3
	s_and_not1_saveexec_b32 s17, s17
	s_cbranch_execz .LBB4_3447
; %bb.3446:                             ;   in Loop: Header=BB4_3397 Depth=3
	s_waitcnt vmcnt(0) lgkmcnt(0)
	s_waitcnt_vscnt null, 0x0
	buffer_gl1_inv
	buffer_gl0_inv
	s_barrier
.LBB4_3447:                             ;   in Loop: Header=BB4_3397 Depth=3
	s_or_b32 exec_lo, exec_lo, s17
.LBB4_3448:                             ;   in Loop: Header=BB4_3397 Depth=3
	s_delay_alu instid0(SALU_CYCLE_1) | instskip(SKIP_1) | instid1(SALU_CYCLE_1)
	s_or_b32 exec_lo, exec_lo, s13
                                        ; implicit-def: $vgpr2
	s_and_saveexec_b32 s13, vcc_hi
	s_xor_b32 s13, exec_lo, s13
	s_cbranch_execz .LBB4_3470
; %bb.3449:                             ;   in Loop: Header=BB4_3397 Depth=3
	s_and_saveexec_b32 s17, s4
	s_delay_alu instid0(SALU_CYCLE_1)
	s_xor_b32 s17, exec_lo, s17
	s_cbranch_execz .LBB4_3467
; %bb.3450:                             ;   in Loop: Header=BB4_3397 Depth=3
	s_and_saveexec_b32 s37, s1
	s_cbranch_execz .LBB4_3466
; %bb.3451:                             ;   in Loop: Header=BB4_3397 Depth=3
	s_mov_b32 s39, exec_lo
	s_mov_b32 s38, exec_lo
	v_mbcnt_lo_u32_b32 v2, s39, 0
	;;#ASMSTART
	s_waitcnt lgkmcnt(0) vmcnt(0)
	;;#ASMEND
	s_delay_alu instid0(VALU_DEP_1)
	v_cmpx_eq_u32_e32 0, v2
	s_cbranch_execz .LBB4_3453
; %bb.3452:                             ;   in Loop: Header=BB4_3397 Depth=3
	s_bcnt1_i32_b32 vcc_lo, s39
	s_delay_alu instid0(SALU_CYCLE_1)
	v_mov_b32_e32 v2, vcc_lo
	ds_add_u64 v0, v[2:3]
	s_cbranch_execz .LBB4_3453
; %bb.10906:
	s_getpc_b64 s[48:49]
.Lpost_getpc230:
	s_add_u32 s48, s48, (.LBB4_10390-.Lpost_getpc230)&4294967295
	s_addc_u32 s49, s49, (.LBB4_10390-.Lpost_getpc230)>>32
	s_setpc_b64 s[48:49]
.LBB4_3453:                             ;   in Loop: Header=BB4_3397 Depth=3
	s_or_b32 exec_lo, exec_lo, s38
	s_cbranch_execz .LBB4_3454
; %bb.10908:
	s_getpc_b64 s[48:49]
.Lpost_getpc231:
	s_add_u32 s48, s48, (.LBB4_10356-.Lpost_getpc231)&4294967295
	s_addc_u32 s49, s49, (.LBB4_10356-.Lpost_getpc231)>>32
	s_setpc_b64 s[48:49]
.LBB4_3454:                             ;   in Loop: Header=BB4_3397 Depth=3
	ds_load_b64 v[8:9], v0
	v_add_co_u32 v48, vcc_lo, v48, v97
	v_add_co_ci_u32_e32 v49, vcc_lo, 0, v49, vcc_lo
	s_mov_b32 s38, exec_lo
	s_waitcnt lgkmcnt(0)
	s_delay_alu instid0(VALU_DEP_1)
	v_cmpx_lt_u64_e64 v[8:9], v[48:49]
	s_cbranch_execz .LBB4_3465
; %bb.3455:                             ;   in Loop: Header=BB4_3397 Depth=3
	s_mov_b32 s39, 0
	s_mov_b32 s42, 0
                                        ; implicit-def: $sgpr40
                                        ; implicit-def: $sgpr41
	s_branch .LBB4_3457
.LBB4_3456:                             ;   in Loop: Header=BB4_3457 Depth=4
	s_or_b32 exec_lo, exec_lo, s44
	s_delay_alu instid0(SALU_CYCLE_1) | instskip(NEXT) | instid1(SALU_CYCLE_1)
	s_and_b32 vcc_lo, exec_lo, vcc_lo
	s_or_b32 s39, vcc_lo, s39
	s_and_not1_b32 vcc_lo, s40, exec_lo
	s_and_b32 s40, s41, exec_lo
	s_delay_alu instid0(SALU_CYCLE_1)
	s_or_b32 s40, vcc_lo, s40
	s_and_not1_b32 exec_lo, exec_lo, s39
	s_cbranch_execz .LBB4_3463
.LBB4_3457:                             ;   Parent Loop BB4_51 Depth=1
                                        ;     Parent Loop BB4_303 Depth=2
                                        ;       Parent Loop BB4_3397 Depth=3
                                        ; =>      This Inner Loop Header: Depth=4
	s_add_i32 s42, s42, 1
                                        ; implicit-def: $sgpr44
	s_delay_alu instid0(SALU_CYCLE_1) | instskip(SKIP_1) | instid1(SALU_CYCLE_1)
	s_cmpk_lg_i32 s42, 0x2710
	s_cselect_b32 s43, -1, 0
	s_and_b32 vcc_lo, exec_lo, s43
	s_cbranch_vccz .LBB4_3461
.LBB4_3458:                             ;   in Loop: Header=BB4_3457 Depth=4
	s_and_not1_b32 s41, s41, exec_lo
	s_and_b32 s44, s44, exec_lo
	s_mov_b32 vcc_lo, -1
	s_or_b32 s41, s41, s44
	s_and_saveexec_b32 s44, s43
	s_cbranch_execz .LBB4_3456
; %bb.3459:                             ;   in Loop: Header=BB4_3457 Depth=4
	s_sleep 1
	s_cbranch_execz .LBB4_3460
; %bb.10910:
	s_getpc_b64 s[48:49]
.Lpost_getpc232:
	s_add_u32 s48, s48, (.LBB4_10430-.Lpost_getpc232)&4294967295
	s_addc_u32 s49, s49, (.LBB4_10430-.Lpost_getpc232)>>32
	s_setpc_b64 s[48:49]
.LBB4_3460:                             ;   in Loop: Header=BB4_3457 Depth=4
	ds_load_b64 v[8:9], v0
	s_and_not1_b32 s41, s41, exec_lo
	s_waitcnt lgkmcnt(0)
	v_cmp_ge_u64_e32 vcc_lo, v[8:9], v[48:49]
	s_or_not1_b32 vcc_lo, vcc_lo, exec_lo
	s_branch .LBB4_3456
.LBB4_3461:                             ;   in Loop: Header=BB4_3457 Depth=4
	s_cbranch_execz .LBB4_3462
; %bb.10912:
	s_getpc_b64 s[48:49]
.Lpost_getpc233:
	s_add_u32 s48, s48, (.LBB4_10446-.Lpost_getpc233)&4294967295
	s_addc_u32 s49, s49, (.LBB4_10446-.Lpost_getpc233)>>32
	s_setpc_b64 s[48:49]
.LBB4_3462:                             ;   in Loop: Header=BB4_3457 Depth=4
	ds_load_b64 v[8:9], v0
	s_and_not1_b32 s43, s43, exec_lo
	s_mov_b32 s42, 0
	s_mov_b32 s44, -1
	s_waitcnt vmcnt(0) lgkmcnt(0)
	s_waitcnt_vscnt null, 0x0
	flat_load_b32 v2, v[8:9] glc
	s_waitcnt vmcnt(0) lgkmcnt(0)
	buffer_gl1_inv
	buffer_gl0_inv
	v_cmp_eq_u32_e32 vcc_lo, 0, v2
	s_and_b32 vcc_lo, vcc_lo, exec_lo
	s_delay_alu instid0(SALU_CYCLE_1)
	s_or_b32 s43, s43, vcc_lo
	s_branch .LBB4_3458
.LBB4_3463:                             ;   in Loop: Header=BB4_3397 Depth=3
	s_or_b32 exec_lo, exec_lo, s39
	s_and_saveexec_b32 vcc_lo, s40
	s_delay_alu instid0(SALU_CYCLE_1)
	s_xor_b32 vcc_lo, exec_lo, vcc_lo
	s_cbranch_execz .LBB4_3465
; %bb.3464:                             ;   in Loop: Header=BB4_3397 Depth=3
	ds_store_b32 v0, v134
	s_cbranch_execz .LBB4_3465
; %bb.10914:
	s_getpc_b64 s[48:49]
.Lpost_getpc234:
	s_add_u32 s48, s48, (.LBB4_10642-.Lpost_getpc234)&4294967295
	s_addc_u32 s49, s49, (.LBB4_10642-.Lpost_getpc234)>>32
	s_setpc_b64 s[48:49]
.LBB4_3465:                             ;   in Loop: Header=BB4_3397 Depth=3
	s_or_b32 exec_lo, exec_lo, s38
	;;#ASMSTART
	s_wakeup
	;;#ASMEND
.LBB4_3466:                             ;   in Loop: Header=BB4_3397 Depth=3
	s_or_b32 exec_lo, exec_lo, s37
.LBB4_3467:                             ;   in Loop: Header=BB4_3397 Depth=3
	s_and_not1_saveexec_b32 s17, s17
	s_cbranch_execz .LBB4_3469
; %bb.3468:                             ;   in Loop: Header=BB4_3397 Depth=3
	;;#ASMSTART
	s_waitcnt lgkmcnt(0) vmcnt(0)
	;;#ASMEND
	s_waitcnt vmcnt(0) lgkmcnt(0)
	s_waitcnt_vscnt null, 0x0
	s_barrier
.LBB4_3469:                             ;   in Loop: Header=BB4_3397 Depth=3
	s_or_b32 exec_lo, exec_lo, s17
	v_and_b32_e32 v2, 16, v30
.LBB4_3470:                             ;   in Loop: Header=BB4_3397 Depth=3
	s_and_not1_saveexec_b32 s17, s13
	s_cbranch_execz .LBB4_3475
; %bb.3471:                             ;   in Loop: Header=BB4_3397 Depth=3
	s_cbranch_execz .LBB4_3472
; %bb.10916:
	s_getpc_b64 s[48:49]
.Lpost_getpc235:
	s_add_u32 s48, s48, (.LBB4_10290-.Lpost_getpc235)&4294967295
	s_addc_u32 s49, s49, (.LBB4_10290-.Lpost_getpc235)>>32
	s_setpc_b64 s[48:49]
.LBB4_3472:                             ;   in Loop: Header=BB4_3397 Depth=3
	ds_load_b32 v2, v0
	v_cmp_lt_i32_e32 vcc_lo, 0, v68
	s_waitcnt lgkmcnt(0)
	v_readfirstlane_b32 s13, v2
	v_and_b32_e32 v2, 16, v30
	s_delay_alu instid0(VALU_DEP_2) | instskip(NEXT) | instid1(VALU_DEP_1)
	s_cmp_eq_u32 s13, 0
	v_cmp_ne_u32_e64 s13, 0, v2
	s_cselect_b32 s37, -1, 0
	v_and_b32_e32 v2, 16, v30
	s_and_b32 vcc_lo, vcc_lo, s37
	s_delay_alu instid0(VALU_DEP_2) | instid1(SALU_CYCLE_1)
	s_and_b32 vcc_lo, s13, vcc_lo
	s_delay_alu instid0(SALU_CYCLE_1)
	s_and_saveexec_b32 s13, vcc_lo
	s_cbranch_execz .LBB4_3474
; %bb.3473:                             ;   in Loop: Header=BB4_3397 Depth=3
	v_mov_b32_e32 v2, 1
	s_waitcnt vmcnt(0)
	s_waitcnt_vscnt null, 0x0
	buffer_gl1_inv
	buffer_gl0_inv
.LBB4_3474:                             ;   in Loop: Header=BB4_3397 Depth=3
	s_or_b32 exec_lo, exec_lo, s13
.LBB4_3475:                             ;   in Loop: Header=BB4_3397 Depth=3
	s_delay_alu instid0(SALU_CYCLE_1) | instskip(NEXT) | instid1(VALU_DEP_1)
	s_or_b32 exec_lo, exec_lo, s17
	v_cmp_ne_u32_e32 vcc_lo, 0, v2
	s_xor_b32 s13, s10, -1
	s_delay_alu instid0(SALU_CYCLE_1) | instskip(NEXT) | instid1(SALU_CYCLE_1)
	s_and_b32 s17, vcc_lo, s13
	s_and_saveexec_b32 s13, s17
	s_cbranch_execz .LBB4_3477
; %bb.3476:                             ;   in Loop: Header=BB4_3397 Depth=3
	s_waitcnt vmcnt(0) lgkmcnt(0)
	s_waitcnt_vscnt null, 0x0
	flat_store_b32 v[38:39], v134
.LBB4_3477:                             ;   in Loop: Header=BB4_3397 Depth=3
	s_or_b32 exec_lo, exec_lo, s13
	v_and_b32_e32 v2, 48, v30
	s_mov_b32 s13, exec_lo
	s_delay_alu instid0(VALU_DEP_1)
	v_cmpx_ne_u32_e32 0, v2
	s_cbranch_execz .LBB4_3479
; %bb.3478:                             ;   in Loop: Header=BB4_3397 Depth=3
	v_add_co_u32 v34, vcc_lo, v34, 2
	v_add_co_ci_u32_e32 v35, vcc_lo, 0, v35, vcc_lo
	s_waitcnt vmcnt(0) lgkmcnt(0)
	s_waitcnt_vscnt null, 0x0
	flat_store_b64 v[32:33], v[34:35]
.LBB4_3479:                             ;   in Loop: Header=BB4_3397 Depth=3
	s_or_b32 exec_lo, exec_lo, s13
	v_add_nc_u32_e32 v146, v68, v146
	s_mov_b32 s13, 0
	s_and_not1_b32 exec_lo, exec_lo, s16
	s_cbranch_execnz .LBB4_3397
; %bb.3480:                             ;   in Loop: Header=BB4_303 Depth=2
	s_or_b32 exec_lo, exec_lo, s16
.LBB4_3481:                             ;   in Loop: Header=BB4_303 Depth=2
	s_delay_alu instid0(SALU_CYCLE_1) | instskip(SKIP_1) | instid1(SALU_CYCLE_1)
	s_or_b32 exec_lo, exec_lo, s14
	s_add_i32 s15, s15, 1
	s_cmp_eq_u32 s15, s19
	s_cbranch_scc0 .LBB4_303
.LBB4_3482:                             ;   in Loop: Header=BB4_51 Depth=1
	v_mul_lo_u32 v2, v65, s19
	v_mul_lo_u32 v10, v64, s21
	v_mad_u64_u32 v[8:9], null, v64, s19, 0
	s_mov_b32 s37, 0
	v_mov_b32_e32 v145, 0
	s_delay_alu instid0(VALU_DEP_2) | instskip(NEXT) | instid1(VALU_DEP_3)
	v_add3_u32 v9, v9, v10, v2
	v_sub_co_u32 v10, vcc_lo, v66, v8
	s_delay_alu instid0(VALU_DEP_2) | instskip(NEXT) | instid1(VALU_DEP_1)
	v_sub_co_ci_u32_e32 v11, vcc_lo, v67, v9, vcc_lo
	v_cmp_lt_i64_e32 vcc_lo, v[64:65], v[10:11]
	v_cndmask_b32_e32 v10, v10, v64, vcc_lo
	s_delay_alu instid0(VALU_DEP_1) | instskip(NEXT) | instid1(VALU_DEP_1)
	v_max_i32_e32 v71, 0, v10
	v_add_nc_u32_e32 v2, 31, v71
	s_delay_alu instid0(VALU_DEP_1) | instskip(NEXT) | instid1(VALU_DEP_1)
	v_lshrrev_b32_e32 v2, 1, v2
	v_and_b32_e32 v11, 0x3ffffff0, v2
	v_cmp_lt_i32_e32 vcc_lo, 0, v10
	v_mov_b32_e32 v2, 0
	s_delay_alu instid0(VALU_DEP_3) | instskip(SKIP_1) | instid1(SALU_CYCLE_1)
	v_max_i32_e32 v68, s28, v11
	s_and_b32 s14, s30, vcc_lo
	s_and_saveexec_b32 s13, s14
	s_cbranch_execnz .LBB4_3483
; %bb.10918:                            ;   in Loop: Header=BB4_51 Depth=1
	s_getpc_b64 s[48:49]
.Lpost_getpc236:
	s_add_u32 s48, s48, (.LBB4_9539-.Lpost_getpc236)&4294967295
	s_addc_u32 s49, s49, (.LBB4_9539-.Lpost_getpc236)>>32
	s_setpc_b64 s[48:49]
.LBB4_3483:                             ;   in Loop: Header=BB4_51 Depth=1
	v_add_co_u32 v146, vcc_lo, v8, v135
	v_add_co_ci_u32_e32 v147, vcc_lo, v9, v144, vcc_lo
	v_mov_b32_e32 v145, 0
	s_mov_b32 s16, 1
	s_mov_b32 s15, -1
	v_writelane_b32 v56, s13, 0
.LBB4_3484:                             ;   Parent Loop BB4_51 Depth=1
                                        ; =>  This Loop Header: Depth=2
                                        ;       Child Loop BB4_3493 Depth 3
                                        ;       Child Loop BB4_3523 Depth 3
	;; [unrolled: 1-line block ×5, first 2 shown]
                                        ;         Child Loop BB4_5483 Depth 4
                                        ;       Child Loop BB4_5753 Depth 3
                                        ;       Child Loop BB4_6476 Depth 3
                                        ;         Child Loop BB4_6506 Depth 4
                                        ;       Child Loop BB4_6538 Depth 3
                                        ;       Child Loop BB4_7984 Depth 3
	;; [unrolled: 1-line block ×6, first 2 shown]
	s_and_saveexec_b32 s14, s0
	s_cbranch_execz .LBB4_3487
; %bb.3485:                             ;   in Loop: Header=BB4_3484 Depth=2
	s_cbranch_execz .LBB4_3486
; %bb.10920:
	s_getpc_b64 s[48:49]
.Lpost_getpc237:
	s_add_u32 s48, s48, (.LBB4_10258-.Lpost_getpc237)&4294967295
	s_addc_u32 s49, s49, (.LBB4_10258-.Lpost_getpc237)>>32
	s_setpc_b64 s[48:49]
.LBB4_3486:                             ;   in Loop: Header=BB4_3484 Depth=2
	ds_load_2addr_b64 v[8:11], v0 offset1:1
	ds_load_b64 v[12:13], v0
	v_ashrrev_i32_e32 v2, 31, v145
	s_waitcnt lgkmcnt(1)
	v_add_co_u32 v8, vcc_lo, v8, v146
	v_add_co_ci_u32_e32 v9, vcc_lo, v9, v147, vcc_lo
	v_add_co_u32 v10, vcc_lo, v10, v146
	v_add_co_ci_u32_e32 v11, vcc_lo, v11, v147, vcc_lo
	s_waitcnt lgkmcnt(0)
	v_add_co_u32 v14, vcc_lo, v12, v146
	v_add_co_ci_u32_e32 v15, vcc_lo, v13, v147, vcc_lo
	v_add_co_u32 v8, vcc_lo, v8, v145
	v_add_co_ci_u32_e32 v9, vcc_lo, v9, v2, vcc_lo
	s_delay_alu instid0(VALU_DEP_4) | instskip(NEXT) | instid1(VALU_DEP_4)
	v_add_co_u32 v14, vcc_lo, v14, v145
	v_add_co_ci_u32_e32 v15, vcc_lo, v15, v2, vcc_lo
	v_cmp_ne_u64_e32 vcc_lo, 0, v[12:13]
	v_add_co_u32 v10, s13, v10, v145
	s_delay_alu instid0(VALU_DEP_1) | instskip(NEXT) | instid1(VALU_DEP_4)
	v_add_co_ci_u32_e64 v11, s13, v11, v2, s13
	v_dual_cndmask_b32 v13, 0, v15 :: v_dual_cndmask_b32 v12, 0, v14
	ds_store_b64 v0, v[8:9]
	ds_store_b64 v0, v[10:11]
	;; [unrolled: 1-line block ×3, first 2 shown]
.LBB4_3487:                             ;   in Loop: Header=BB4_3484 Depth=2
	s_or_b32 exec_lo, exec_lo, s14
	v_and_b32_e32 v2, 12, v30
	s_mov_b32 s17, -1
	s_mov_b32 s13, exec_lo
	s_delay_alu instid0(VALU_DEP_1)
	v_cmpx_ne_u32_e32 0, v2
	s_cbranch_execz .LBB4_3501
; %bb.3488:                             ;   in Loop: Header=BB4_3484 Depth=2
	v_and_b32_e32 v2, 8, v30
	s_mov_b32 s14, s16
	s_mov_b32 s16, s37
	s_delay_alu instid0(VALU_DEP_1) | instskip(SKIP_3) | instid1(VALU_DEP_1)
	v_add_co_u32 v10, vcc_lo, v50, v2
	v_add_co_ci_u32_e32 v11, vcc_lo, 0, v51, vcc_lo
	v_add_co_u32 v8, vcc_lo, v34, 2
	v_add_co_ci_u32_e32 v9, vcc_lo, 0, v35, vcc_lo
	v_cmp_lt_u64_e32 vcc_lo, v[10:11], v[8:9]
	v_mov_b32_e32 v10, 1
	s_and_saveexec_b32 s17, vcc_lo
	s_cbranch_execz .LBB4_3500
; %bb.3489:                             ;   in Loop: Header=BB4_3484 Depth=2
	v_mov_b32_e32 v10, 0
	s_mov_b32 s37, 0
                                        ; implicit-def: $sgpr38
	s_branch .LBB4_3493
.LBB4_3490:                             ;   in Loop: Header=BB4_3493 Depth=3
	s_or_b32 exec_lo, exec_lo, s42
	v_mov_b32_e32 v11, 0
	s_or_not1_b32 s41, s41, exec_lo
.LBB4_3491:                             ;   in Loop: Header=BB4_3493 Depth=3
	s_or_b32 exec_lo, exec_lo, s40
	s_delay_alu instid0(VALU_DEP_1) | instskip(SKIP_2) | instid1(SALU_CYCLE_1)
	v_mov_b32_e32 v10, v11
	s_and_not1_b32 vcc_lo, s38, exec_lo
	s_and_b32 s38, s41, exec_lo
	s_or_b32 s38, vcc_lo, s38
.LBB4_3492:                             ;   in Loop: Header=BB4_3493 Depth=3
	s_or_b32 exec_lo, exec_lo, s39
	s_waitcnt vmcnt(0) lgkmcnt(0)
	v_add_co_u32 v11, vcc_lo, v50, v2
	v_add_co_ci_u32_e32 v12, vcc_lo, 0, v51, vcc_lo
	s_xor_b32 s39, s38, -1
	s_delay_alu instid0(VALU_DEP_1) | instskip(SKIP_1) | instid1(SALU_CYCLE_1)
	v_cmp_ge_u64_e32 vcc_lo, v[11:12], v[8:9]
	s_or_b32 vcc_lo, s39, vcc_lo
	s_and_b32 vcc_lo, exec_lo, vcc_lo
	s_delay_alu instid0(SALU_CYCLE_1) | instskip(NEXT) | instid1(SALU_CYCLE_1)
	s_or_b32 s37, vcc_lo, s37
	s_and_not1_b32 exec_lo, exec_lo, s37
	s_cbranch_execz .LBB4_3499
.LBB4_3493:                             ;   Parent Loop BB4_51 Depth=1
                                        ;     Parent Loop BB4_3484 Depth=2
                                        ; =>    This Inner Loop Header: Depth=3
	s_sleep 1
	flat_load_b64 v[50:51], v[32:33] glc
	v_and_b32_e32 v11, 64, v30
	s_and_not1_b32 s38, s38, exec_lo
	s_mov_b32 s39, exec_lo
	s_delay_alu instid0(VALU_DEP_1)
	v_cmpx_eq_u32_e32 0, v11
	s_cbranch_execz .LBB4_3492
; %bb.3494:                             ;   in Loop: Header=BB4_3493 Depth=3
	v_add_nc_u32_e32 v11, 1, v10
	s_mov_b32 s41, -1
	s_mov_b32 s40, exec_lo
	v_cmpx_lt_i32_e32 0x270e, v10
	s_cbranch_execz .LBB4_3491
; %bb.3495:                             ;   in Loop: Header=BB4_3493 Depth=3
	s_cbranch_execz .LBB4_3496
; %bb.10922:
	s_getpc_b64 s[48:49]
.Lpost_getpc238:
	s_add_u32 s48, s48, (.LBB4_10284-.Lpost_getpc238)&4294967295
	s_addc_u32 s49, s49, (.LBB4_10284-.Lpost_getpc238)>>32
	s_setpc_b64 s[48:49]
.LBB4_3496:                             ;   in Loop: Header=BB4_3493 Depth=3
	ds_load_b64 v[10:11], v0
	s_mov_b32 s42, exec_lo
	s_waitcnt vmcnt(0) lgkmcnt(0)
	s_waitcnt_vscnt null, 0x0
	flat_load_b32 v10, v[10:11] glc
	s_waitcnt vmcnt(0) lgkmcnt(0)
	buffer_gl1_inv
	buffer_gl0_inv
	v_cmpx_ne_u32_e32 0, v10
	s_cbranch_execz .LBB4_3490
; %bb.3497:                             ;   in Loop: Header=BB4_3493 Depth=3
	ds_store_b32 v0, v10
	s_cbranch_execz .LBB4_3498
; %bb.10924:
	s_getpc_b64 s[48:49]
.Lpost_getpc239:
	s_add_u32 s48, s48, (.LBB4_10338-.Lpost_getpc239)&4294967295
	s_addc_u32 s49, s49, (.LBB4_10338-.Lpost_getpc239)>>32
	s_setpc_b64 s[48:49]
.LBB4_3498:                             ;   in Loop: Header=BB4_3493 Depth=3
	v_or_b32_e32 v30, 64, v30
	s_xor_b32 s41, exec_lo, -1
	s_branch .LBB4_3490
.LBB4_3499:                             ;   in Loop: Header=BB4_3484 Depth=2
	s_or_b32 exec_lo, exec_lo, s37
	v_and_b32_e32 v10, 12, v30
.LBB4_3500:                             ;   in Loop: Header=BB4_3484 Depth=2
	s_or_b32 exec_lo, exec_lo, s17
	s_delay_alu instid0(VALU_DEP_1)
	v_cmp_eq_u32_e32 vcc_lo, 0, v10
	s_mov_b32 s37, s16
	s_mov_b32 s16, s14
	;;#ASMSTART
	s_wakeup
	;;#ASMEND
	s_or_not1_b32 s17, vcc_lo, exec_lo
.LBB4_3501:                             ;   in Loop: Header=BB4_3484 Depth=2
	s_or_b32 exec_lo, exec_lo, s13
	v_sub_nc_u32_e32 v2, v71, v145
	s_xor_b32 s13, s17, -1
	s_delay_alu instid0(VALU_DEP_1)
	v_min_i32_e32 v68, v68, v2
	s_and_saveexec_b32 s14, s13
	s_cbranch_execz .LBB4_3514
; %bb.3502:                             ;   in Loop: Header=BB4_3484 Depth=2
	v_and_b32_e32 v2, 0x108, v30
	s_mov_b32 s17, s15
	s_mov_b32 s15, s37
	s_delay_alu instid0(VALU_DEP_1) | instskip(SKIP_2) | instid1(SALU_CYCLE_1)
	v_cmp_ne_u32_e32 vcc_lo, 0x108, v2
	v_and_b32_e32 v2, 7, v34
	s_and_saveexec_b32 s13, vcc_lo
	s_xor_b32 s13, exec_lo, s13
	s_delay_alu instid0(SALU_CYCLE_1)
	s_and_not1_saveexec_b32 s13, s13
	s_cbranch_execz .LBB4_3504
; %bb.3503:                             ;   in Loop: Header=BB4_3484 Depth=2
	v_mad_u64_u32 v[8:9], null, v2, 24, v[6:7]
	v_ashrrev_i32_e32 v69, 31, v68
	flat_store_b64 v[8:9], v[68:69] offset:8
.LBB4_3504:                             ;   in Loop: Header=BB4_3484 Depth=2
	s_or_b32 exec_lo, exec_lo, s13
	v_and_b32_e32 v8, 0x100, v30
	s_mov_b32 s13, -1
	s_delay_alu instid0(VALU_DEP_1)
	v_cmp_ne_u32_e32 vcc_lo, 0, v8
                                        ; implicit-def: $vgpr8_vgpr9
	s_and_saveexec_b32 s37, vcc_lo
	s_cbranch_execnz .LBB4_3507
; %bb.3505:                             ;   in Loop: Header=BB4_3484 Depth=2
	s_or_b32 exec_lo, exec_lo, s37
	s_and_saveexec_b32 vcc_lo, s13
	s_cbranch_execnz .LBB4_3510
.LBB4_3506:                             ;   in Loop: Header=BB4_3484 Depth=2
	s_or_b32 exec_lo, exec_lo, vcc_lo
	s_cbranch_execz .LBB4_3511
; %bb.10926:
	s_getpc_b64 s[48:49]
.Lpost_getpc240:
	s_add_u32 s48, s48, (.LBB4_10278-.Lpost_getpc240)&4294967295
	s_addc_u32 s49, s49, (.LBB4_10278-.Lpost_getpc240)>>32
	s_setpc_b64 s[48:49]
.LBB4_3507:                             ;   in Loop: Header=BB4_3484 Depth=2
	v_mad_u64_u32 v[10:11], null, v2, 24, v[6:7]
	s_delay_alu instid0(VALU_DEP_1) | instskip(NEXT) | instid1(VALU_DEP_1)
	v_mov_b32_e32 v8, v11
	v_mad_u64_u32 v[11:12], null, v3, 24, v[8:9]
	flat_load_b32 v8, v[10:11]
	s_waitcnt vmcnt(0) lgkmcnt(0)
	v_cmp_ne_u32_e32 vcc_lo, 1, v8
	v_cmp_eq_u32_e64 s13, 1, v8
                                        ; implicit-def: $vgpr8_vgpr9
	s_delay_alu instid0(VALU_DEP_1)
	s_and_saveexec_b32 s38, s13
	s_cbranch_execz .LBB4_3509
; %bb.3508:                             ;   in Loop: Header=BB4_3484 Depth=2
	flat_load_b32 v8, v[10:11] offset:4 glc
	s_waitcnt vmcnt(0) lgkmcnt(0)
	v_ashrrev_i32_e32 v9, 31, v8
.LBB4_3509:                             ;   in Loop: Header=BB4_3484 Depth=2
	s_or_b32 exec_lo, exec_lo, s38
	s_delay_alu instid0(SALU_CYCLE_1)
	s_or_not1_b32 s13, vcc_lo, exec_lo
	s_or_b32 exec_lo, exec_lo, s37
	s_and_saveexec_b32 vcc_lo, s13
	s_cbranch_execz .LBB4_3506
.LBB4_3510:                             ;   in Loop: Header=BB4_3484 Depth=2
	v_mul_lo_u32 v10, v3, v86
	v_mul_lo_u32 v11, v2, v96
	v_mad_u64_u32 v[8:9], null, v2, v86, 0
	s_delay_alu instid0(VALU_DEP_1)
	v_add3_u32 v9, v9, v11, v10
	s_or_b32 exec_lo, exec_lo, vcc_lo
	s_cbranch_execz .LBB4_3511
; %bb.10928:
	s_getpc_b64 s[48:49]
.Lpost_getpc241:
	s_add_u32 s48, s48, (.LBB4_10278-.Lpost_getpc241)&4294967295
	s_addc_u32 s49, s49, (.LBB4_10278-.Lpost_getpc241)>>32
	s_setpc_b64 s[48:49]
.LBB4_3511:                             ;   in Loop: Header=BB4_3484 Depth=2
	s_delay_alu instid0(VALU_DEP_2)
	v_add_co_u32 v8, vcc_lo, v36, v8
	v_and_b32_e32 v2, 0x2000, v30
	v_add_co_ci_u32_e32 v9, vcc_lo, v37, v9, vcc_lo
	s_mov_b32 s13, exec_lo
	ds_store_b64 v0, v[8:9]
	v_cmpx_ne_u32_e32 0, v2
	s_cbranch_execz .LBB4_3513
; %bb.3512:                             ;   in Loop: Header=BB4_3484 Depth=2
	ds_load_b64 v[8:9], v0 offset:584
	s_waitcnt lgkmcnt(0)
	v_add_co_u32 v8, vcc_lo, v8, 1
	v_add_co_ci_u32_e32 v9, vcc_lo, 0, v9, vcc_lo
	ds_store_b64 v0, v[8:9] offset:584
.LBB4_3513:                             ;   in Loop: Header=BB4_3484 Depth=2
	s_or_b32 exec_lo, exec_lo, s13
	v_add_co_u32 v34, vcc_lo, v34, 2
	v_add_co_ci_u32_e32 v35, vcc_lo, 0, v35, vcc_lo
	s_mov_b32 s37, s15
	s_mov_b32 s15, s17
.LBB4_3514:                             ;   in Loop: Header=BB4_3484 Depth=2
	s_delay_alu instid0(SALU_CYCLE_1)
	v_writelane_b32 v56, s15, 1
	v_writelane_b32 v56, s16, 2
	;; [unrolled: 1-line block ×8, first 2 shown]
	s_or_b32 exec_lo, exec_lo, s14
	s_and_saveexec_b32 s13, s3
	s_cbranch_execz .LBB4_3536
; %bb.3515:                             ;   in Loop: Header=BB4_3484 Depth=2
	s_and_saveexec_b32 s14, s4
	s_delay_alu instid0(SALU_CYCLE_1)
	s_xor_b32 s14, exec_lo, s14
	s_cbranch_execz .LBB4_3533
; %bb.3516:                             ;   in Loop: Header=BB4_3484 Depth=2
	s_and_saveexec_b32 s15, s1
	s_cbranch_execz .LBB4_3532
; %bb.3517:                             ;   in Loop: Header=BB4_3484 Depth=2
	s_mov_b32 s17, exec_lo
	s_mov_b32 s16, exec_lo
	v_mbcnt_lo_u32_b32 v2, s17, 0
	s_waitcnt vmcnt(0) lgkmcnt(0)
	s_waitcnt_vscnt null, 0x0
	buffer_gl1_inv
	buffer_gl0_inv
	v_cmpx_eq_u32_e32 0, v2
	s_cbranch_execz .LBB4_3519
; %bb.3518:                             ;   in Loop: Header=BB4_3484 Depth=2
	s_bcnt1_i32_b32 s17, s17
	s_delay_alu instid0(SALU_CYCLE_1)
	v_mov_b32_e32 v2, s17
	ds_add_u64 v0, v[2:3]
	s_cbranch_execz .LBB4_3519
; %bb.10930:
	s_getpc_b64 s[48:49]
.Lpost_getpc242:
	s_add_u32 s48, s48, (.LBB4_10394-.Lpost_getpc242)&4294967295
	s_addc_u32 s49, s49, (.LBB4_10394-.Lpost_getpc242)>>32
	s_setpc_b64 s[48:49]
.LBB4_3519:                             ;   in Loop: Header=BB4_3484 Depth=2
	s_or_b32 exec_lo, exec_lo, s16
	s_cbranch_execz .LBB4_3520
; %bb.10932:
	s_getpc_b64 s[48:49]
.Lpost_getpc243:
	s_add_u32 s48, s48, (.LBB4_10368-.Lpost_getpc243)&4294967295
	s_addc_u32 s49, s49, (.LBB4_10368-.Lpost_getpc243)>>32
	s_setpc_b64 s[48:49]
.LBB4_3520:                             ;   in Loop: Header=BB4_3484 Depth=2
	ds_load_b64 v[8:9], v0
	v_add_co_u32 v48, vcc_lo, v48, v97
	v_add_co_ci_u32_e32 v49, vcc_lo, 0, v49, vcc_lo
	s_mov_b32 s16, exec_lo
	s_waitcnt lgkmcnt(0)
	s_delay_alu instid0(VALU_DEP_1)
	v_cmpx_lt_u64_e64 v[8:9], v[48:49]
	s_cbranch_execz .LBB4_3531
; %bb.3521:                             ;   in Loop: Header=BB4_3484 Depth=2
	s_mov_b32 s17, 0
	s_mov_b32 s34, 0
                                        ; implicit-def: $sgpr30
                                        ; implicit-def: $sgpr31
	s_branch .LBB4_3523
.LBB4_3522:                             ;   in Loop: Header=BB4_3523 Depth=3
	s_or_b32 exec_lo, exec_lo, s36
	s_delay_alu instid0(SALU_CYCLE_1) | instskip(NEXT) | instid1(SALU_CYCLE_1)
	s_and_b32 vcc_lo, exec_lo, vcc_lo
	s_or_b32 s17, vcc_lo, s17
	s_and_not1_b32 vcc_lo, s30, exec_lo
	s_and_b32 s30, s31, exec_lo
	s_delay_alu instid0(SALU_CYCLE_1)
	s_or_b32 s30, vcc_lo, s30
	s_and_not1_b32 exec_lo, exec_lo, s17
	s_cbranch_execz .LBB4_3529
.LBB4_3523:                             ;   Parent Loop BB4_51 Depth=1
                                        ;     Parent Loop BB4_3484 Depth=2
                                        ; =>    This Inner Loop Header: Depth=3
	s_add_i32 s34, s34, 1
                                        ; implicit-def: $sgpr36
	s_delay_alu instid0(SALU_CYCLE_1) | instskip(SKIP_1) | instid1(SALU_CYCLE_1)
	s_cmpk_lg_i32 s34, 0x2710
	s_cselect_b32 s35, -1, 0
	s_and_b32 vcc_lo, exec_lo, s35
	s_cbranch_vccz .LBB4_3527
.LBB4_3524:                             ;   in Loop: Header=BB4_3523 Depth=3
	s_and_not1_b32 s31, s31, exec_lo
	s_and_b32 s36, s36, exec_lo
	s_mov_b32 vcc_lo, -1
	s_or_b32 s31, s31, s36
	s_and_saveexec_b32 s36, s35
	s_cbranch_execz .LBB4_3522
; %bb.3525:                             ;   in Loop: Header=BB4_3523 Depth=3
	s_sleep 1
	s_cbranch_execz .LBB4_3526
; %bb.10934:
	s_getpc_b64 s[48:49]
.Lpost_getpc244:
	s_add_u32 s48, s48, (.LBB4_10438-.Lpost_getpc244)&4294967295
	s_addc_u32 s49, s49, (.LBB4_10438-.Lpost_getpc244)>>32
	s_setpc_b64 s[48:49]
.LBB4_3526:                             ;   in Loop: Header=BB4_3523 Depth=3
	ds_load_b64 v[8:9], v0
	s_and_not1_b32 s31, s31, exec_lo
	s_waitcnt lgkmcnt(0)
	v_cmp_ge_u64_e32 vcc_lo, v[8:9], v[48:49]
	s_or_not1_b32 vcc_lo, vcc_lo, exec_lo
	s_branch .LBB4_3522
.LBB4_3527:                             ;   in Loop: Header=BB4_3523 Depth=3
	s_cbranch_execz .LBB4_3528
; %bb.10936:
	s_getpc_b64 s[48:49]
.Lpost_getpc245:
	s_add_u32 s48, s48, (.LBB4_10450-.Lpost_getpc245)&4294967295
	s_addc_u32 s49, s49, (.LBB4_10450-.Lpost_getpc245)>>32
	s_setpc_b64 s[48:49]
.LBB4_3528:                             ;   in Loop: Header=BB4_3523 Depth=3
	ds_load_b64 v[8:9], v0
	s_and_not1_b32 s35, s35, exec_lo
	s_mov_b32 s34, 0
	s_mov_b32 s36, -1
	s_waitcnt lgkmcnt(0)
	flat_load_b32 v2, v[8:9] glc
	s_waitcnt vmcnt(0) lgkmcnt(0)
	buffer_gl1_inv
	buffer_gl0_inv
	v_cmp_eq_u32_e32 vcc_lo, 0, v2
	s_and_b32 vcc_lo, vcc_lo, exec_lo
	s_delay_alu instid0(SALU_CYCLE_1)
	s_or_b32 s35, s35, vcc_lo
	s_branch .LBB4_3524
.LBB4_3529:                             ;   in Loop: Header=BB4_3484 Depth=2
	s_or_b32 exec_lo, exec_lo, s17
	s_and_saveexec_b32 s17, s30
	s_delay_alu instid0(SALU_CYCLE_1)
	s_xor_b32 s17, exec_lo, s17
	s_cbranch_execz .LBB4_3531
; %bb.3530:                             ;   in Loop: Header=BB4_3484 Depth=2
	ds_store_b32 v0, v134
	s_cbranch_execz .LBB4_3531
; %bb.10938:
	s_getpc_b64 s[48:49]
.Lpost_getpc246:
	s_add_u32 s48, s48, (.LBB4_10648-.Lpost_getpc246)&4294967295
	s_addc_u32 s49, s49, (.LBB4_10648-.Lpost_getpc246)>>32
	s_setpc_b64 s[48:49]
.LBB4_3531:                             ;   in Loop: Header=BB4_3484 Depth=2
	s_or_b32 exec_lo, exec_lo, s16
	;;#ASMSTART
	s_wakeup
	;;#ASMEND
.LBB4_3532:                             ;   in Loop: Header=BB4_3484 Depth=2
	s_or_b32 exec_lo, exec_lo, s15
.LBB4_3533:                             ;   in Loop: Header=BB4_3484 Depth=2
	s_and_not1_saveexec_b32 s14, s14
	s_cbranch_execz .LBB4_3535
; %bb.3534:                             ;   in Loop: Header=BB4_3484 Depth=2
	s_waitcnt vmcnt(0) lgkmcnt(0)
	s_waitcnt_vscnt null, 0x0
	buffer_gl1_inv
	buffer_gl0_inv
	s_barrier
.LBB4_3535:                             ;   in Loop: Header=BB4_3484 Depth=2
	s_or_b32 exec_lo, exec_lo, s14
.LBB4_3536:                             ;   in Loop: Header=BB4_3484 Depth=2
	s_delay_alu instid0(SALU_CYCLE_1)
	s_or_b32 exec_lo, exec_lo, s13
	s_cbranch_execz .LBB4_3537
; %bb.10940:
	s_getpc_b64 s[48:49]
.Lpost_getpc247:
	s_add_u32 s48, s48, (.LBB4_10264-.Lpost_getpc247)&4294967295
	s_addc_u32 s49, s49, (.LBB4_10264-.Lpost_getpc247)>>32
	s_setpc_b64 s[48:49]
.LBB4_3537:                             ;   in Loop: Header=BB4_3484 Depth=2
	ds_load_b32 v8, v0
	v_and_b32_e32 v2, 0x4000, v30
	s_xor_b32 s13, s2, -1
	s_delay_alu instid0(VALU_DEP_1) | instskip(SKIP_1) | instid1(SALU_CYCLE_1)
	v_cmp_ne_u32_e32 vcc_lo, 0, v2
	s_and_b32 s14, s13, vcc_lo
	s_and_saveexec_b32 s13, s14
	s_cbranch_execz .LBB4_3559
; %bb.3538:                             ;   in Loop: Header=BB4_3484 Depth=2
	s_and_saveexec_b32 s14, s4
	s_delay_alu instid0(SALU_CYCLE_1)
	s_xor_b32 s14, exec_lo, s14
	s_cbranch_execz .LBB4_3556
; %bb.3539:                             ;   in Loop: Header=BB4_3484 Depth=2
	s_and_saveexec_b32 s15, s1
	s_cbranch_execz .LBB4_3555
; %bb.3540:                             ;   in Loop: Header=BB4_3484 Depth=2
	s_mov_b32 s17, exec_lo
	s_mov_b32 s16, exec_lo
	v_mbcnt_lo_u32_b32 v2, s17, 0
	s_waitcnt vmcnt(0) lgkmcnt(0)
	s_waitcnt_vscnt null, 0x0
	buffer_gl1_inv
	buffer_gl0_inv
	v_cmpx_eq_u32_e32 0, v2
	s_cbranch_execz .LBB4_3542
; %bb.3541:                             ;   in Loop: Header=BB4_3484 Depth=2
	s_bcnt1_i32_b32 s17, s17
	s_delay_alu instid0(SALU_CYCLE_1)
	v_mov_b32_e32 v2, s17
	ds_add_u64 v0, v[2:3]
	s_cbranch_execz .LBB4_3542
; %bb.10942:
	s_getpc_b64 s[48:49]
.Lpost_getpc248:
	s_add_u32 s48, s48, (.LBB4_10432-.Lpost_getpc248)&4294967295
	s_addc_u32 s49, s49, (.LBB4_10432-.Lpost_getpc248)>>32
	s_setpc_b64 s[48:49]
.LBB4_3542:                             ;   in Loop: Header=BB4_3484 Depth=2
	s_or_b32 exec_lo, exec_lo, s16
	s_cbranch_execz .LBB4_3543
; %bb.10944:
	s_getpc_b64 s[48:49]
.Lpost_getpc249:
	s_add_u32 s48, s48, (.LBB4_10404-.Lpost_getpc249)&4294967295
	s_addc_u32 s49, s49, (.LBB4_10404-.Lpost_getpc249)>>32
	s_setpc_b64 s[48:49]
.LBB4_3543:                             ;   in Loop: Header=BB4_3484 Depth=2
	ds_load_b64 v[9:10], v0
	v_add_co_u32 v48, vcc_lo, v48, v97
	v_add_co_ci_u32_e32 v49, vcc_lo, 0, v49, vcc_lo
	s_mov_b32 s16, exec_lo
	s_waitcnt lgkmcnt(0)
	s_delay_alu instid0(VALU_DEP_1)
	v_cmpx_lt_u64_e64 v[9:10], v[48:49]
	s_cbranch_execz .LBB4_3554
; %bb.3544:                             ;   in Loop: Header=BB4_3484 Depth=2
	s_mov_b32 s17, 0
	s_mov_b32 s34, 0
                                        ; implicit-def: $sgpr30
                                        ; implicit-def: $sgpr31
	s_branch .LBB4_3546
.LBB4_3545:                             ;   in Loop: Header=BB4_3546 Depth=3
	s_or_b32 exec_lo, exec_lo, s36
	s_delay_alu instid0(SALU_CYCLE_1) | instskip(NEXT) | instid1(SALU_CYCLE_1)
	s_and_b32 vcc_lo, exec_lo, vcc_lo
	s_or_b32 s17, vcc_lo, s17
	s_and_not1_b32 vcc_lo, s30, exec_lo
	s_and_b32 s30, s31, exec_lo
	s_delay_alu instid0(SALU_CYCLE_1)
	s_or_b32 s30, vcc_lo, s30
	s_and_not1_b32 exec_lo, exec_lo, s17
	s_cbranch_execz .LBB4_3552
.LBB4_3546:                             ;   Parent Loop BB4_51 Depth=1
                                        ;     Parent Loop BB4_3484 Depth=2
                                        ; =>    This Inner Loop Header: Depth=3
	s_add_i32 s34, s34, 1
                                        ; implicit-def: $sgpr36
	s_delay_alu instid0(SALU_CYCLE_1) | instskip(SKIP_1) | instid1(SALU_CYCLE_1)
	s_cmpk_lg_i32 s34, 0x2710
	s_cselect_b32 s35, -1, 0
	s_and_b32 vcc_lo, exec_lo, s35
	s_cbranch_vccz .LBB4_3550
.LBB4_3547:                             ;   in Loop: Header=BB4_3546 Depth=3
	s_and_not1_b32 s31, s31, exec_lo
	s_and_b32 s36, s36, exec_lo
	s_mov_b32 vcc_lo, -1
	s_or_b32 s31, s31, s36
	s_and_saveexec_b32 s36, s35
	s_cbranch_execz .LBB4_3545
; %bb.3548:                             ;   in Loop: Header=BB4_3546 Depth=3
	s_sleep 1
	s_cbranch_execz .LBB4_3549
; %bb.10946:
	s_getpc_b64 s[48:49]
.Lpost_getpc250:
	s_add_u32 s48, s48, (.LBB4_10492-.Lpost_getpc250)&4294967295
	s_addc_u32 s49, s49, (.LBB4_10492-.Lpost_getpc250)>>32
	s_setpc_b64 s[48:49]
.LBB4_3549:                             ;   in Loop: Header=BB4_3546 Depth=3
	ds_load_b64 v[9:10], v0
	s_and_not1_b32 s31, s31, exec_lo
	s_waitcnt lgkmcnt(0)
	v_cmp_ge_u64_e32 vcc_lo, v[9:10], v[48:49]
	s_or_not1_b32 vcc_lo, vcc_lo, exec_lo
	s_branch .LBB4_3545
.LBB4_3550:                             ;   in Loop: Header=BB4_3546 Depth=3
	s_cbranch_execz .LBB4_3551
; %bb.10948:
	s_getpc_b64 s[48:49]
.Lpost_getpc251:
	s_add_u32 s48, s48, (.LBB4_10506-.Lpost_getpc251)&4294967295
	s_addc_u32 s49, s49, (.LBB4_10506-.Lpost_getpc251)>>32
	s_setpc_b64 s[48:49]
.LBB4_3551:                             ;   in Loop: Header=BB4_3546 Depth=3
	ds_load_b64 v[9:10], v0
	s_and_not1_b32 s35, s35, exec_lo
	s_mov_b32 s34, 0
	s_mov_b32 s36, -1
	s_waitcnt lgkmcnt(0)
	flat_load_b32 v2, v[9:10] glc
	s_waitcnt vmcnt(0) lgkmcnt(0)
	buffer_gl1_inv
	buffer_gl0_inv
	v_cmp_eq_u32_e32 vcc_lo, 0, v2
	s_and_b32 vcc_lo, vcc_lo, exec_lo
	s_delay_alu instid0(SALU_CYCLE_1)
	s_or_b32 s35, s35, vcc_lo
	s_branch .LBB4_3547
.LBB4_3552:                             ;   in Loop: Header=BB4_3484 Depth=2
	s_or_b32 exec_lo, exec_lo, s17
	s_and_saveexec_b32 s17, s30
	s_delay_alu instid0(SALU_CYCLE_1)
	s_xor_b32 s17, exec_lo, s17
	s_cbranch_execz .LBB4_3554
; %bb.3553:                             ;   in Loop: Header=BB4_3484 Depth=2
	ds_store_b32 v0, v134
	s_cbranch_execz .LBB4_3554
; %bb.10950:
	s_getpc_b64 s[48:49]
.Lpost_getpc252:
	s_add_u32 s48, s48, (.LBB4_10672-.Lpost_getpc252)&4294967295
	s_addc_u32 s49, s49, (.LBB4_10672-.Lpost_getpc252)>>32
	s_setpc_b64 s[48:49]
.LBB4_3554:                             ;   in Loop: Header=BB4_3484 Depth=2
	s_or_b32 exec_lo, exec_lo, s16
	;;#ASMSTART
	s_wakeup
	;;#ASMEND
.LBB4_3555:                             ;   in Loop: Header=BB4_3484 Depth=2
	s_or_b32 exec_lo, exec_lo, s15
.LBB4_3556:                             ;   in Loop: Header=BB4_3484 Depth=2
	s_and_not1_saveexec_b32 s14, s14
	s_cbranch_execz .LBB4_3558
; %bb.3557:                             ;   in Loop: Header=BB4_3484 Depth=2
	s_waitcnt vmcnt(0) lgkmcnt(0)
	s_waitcnt_vscnt null, 0x0
	buffer_gl1_inv
	buffer_gl0_inv
	s_barrier
.LBB4_3558:                             ;   in Loop: Header=BB4_3484 Depth=2
	s_or_b32 exec_lo, exec_lo, s14
.LBB4_3559:                             ;   in Loop: Header=BB4_3484 Depth=2
	s_delay_alu instid0(SALU_CYCLE_1)
	s_or_b32 exec_lo, exec_lo, s13
	s_cbranch_execz .LBB4_3560
; %bb.10952:
	s_getpc_b64 s[48:49]
.Lpost_getpc253:
	s_add_u32 s48, s48, (.LBB4_10298-.Lpost_getpc253)&4294967295
	s_addc_u32 s49, s49, (.LBB4_10298-.Lpost_getpc253)>>32
	s_setpc_b64 s[48:49]
.LBB4_3560:                             ;   in Loop: Header=BB4_3484 Depth=2
	ds_load_b64 v[9:10], v0
	v_mov_b32_e32 v148, 0
	s_waitcnt lgkmcnt(0)
	v_cmp_eq_u64_e32 vcc_lo, 0, v[9:10]
	s_or_b32 s13, vcc_lo, vcc_lo
	s_delay_alu instid0(SALU_CYCLE_1)
	s_and_b32 vcc_lo, exec_lo, s13
	s_cbranch_vccz .LBB4_3561
; %bb.10954:                            ;   in Loop: Header=BB4_3484 Depth=2
	s_getpc_b64 s[48:49]
.Lpost_getpc254:
	s_add_u32 s48, s48, (.LBB4_9485-.Lpost_getpc254)&4294967295
	s_addc_u32 s49, s49, (.LBB4_9485-.Lpost_getpc254)>>32
	s_setpc_b64 s[48:49]
.LBB4_3561:                             ;   in Loop: Header=BB4_3484 Depth=2
	v_cmp_eq_u32_e32 vcc_lo, 0, v8
	s_cbranch_execz .LBB4_3562
; %bb.10956:
	s_getpc_b64 s[48:49]
.Lpost_getpc255:
	s_add_u32 s48, s48, (.LBB4_10360-.Lpost_getpc255)&4294967295
	s_addc_u32 s49, s49, (.LBB4_10360-.Lpost_getpc255)>>32
	s_setpc_b64 s[48:49]
.LBB4_3562:                             ;   in Loop: Header=BB4_3484 Depth=2
	ds_load_b64 v[8:9], v0
	v_cndmask_b32_e32 v148, 0, v68, vcc_lo
	s_waitcnt lgkmcnt(0)
	v_cmp_ne_u64_e64 s13, 0, v[8:9]
	v_readfirstlane_b32 s30, v8
	s_delay_alu instid0(VALU_DEP_2)
	s_and_b32 vcc_lo, exec_lo, s13
	s_cbranch_vccz .LBB4_5012
; %bb.3563:                             ;   in Loop: Header=BB4_3484 Depth=2
	s_mov_b32 s13, -1
	s_and_saveexec_b32 s14, s12
	s_cbranch_execz .LBB4_3565
; %bb.3564:                             ;   in Loop: Header=BB4_3484 Depth=2
	ds_load_b32 v2, v0 offset:720
	s_waitcnt lgkmcnt(0)
	v_and_b32_e32 v2, 15, v2
	s_delay_alu instid0(VALU_DEP_1)
	v_cmp_eq_u32_e32 vcc_lo, 0, v2
	s_or_not1_b32 s13, vcc_lo, exec_lo
.LBB4_3565:                             ;   in Loop: Header=BB4_3484 Depth=2
	s_or_b32 exec_lo, exec_lo, s14
	s_and_saveexec_b32 s14, s12
	s_cbranch_execz .LBB4_3567
; %bb.3566:                             ;   in Loop: Header=BB4_3484 Depth=2
	ds_load_b32 v2, v0 offset:784
	s_waitcnt lgkmcnt(0)
	v_and_b32_e32 v2, 15, v2
	s_delay_alu instid0(VALU_DEP_1) | instskip(SKIP_3) | instid1(SALU_CYCLE_1)
	v_cmp_eq_u32_e32 vcc_lo, 0, v2
	s_and_b32 s15, s13, vcc_lo
	s_and_not1_b32 s13, s13, exec_lo
	s_and_b32 s15, s15, exec_lo
	s_or_b32 s13, s13, s15
.LBB4_3567:                             ;   in Loop: Header=BB4_3484 Depth=2
	s_or_b32 exec_lo, exec_lo, s14
	s_xor_b32 s13, s13, -1
	s_waitcnt vmcnt(0)
	v_dual_mov_b32 v16, 0 :: v_dual_mov_b32 v17, v148
	v_cndmask_b32_e64 v2, 0, 1, s13
	;;#ASMSTART
	;;#ASMEND
	s_delay_alu instid0(VALU_DEP_1)
	v_cmp_ne_u32_e32 vcc_lo, 0, v2
	v_mov_b32_e32 v18, v0
	v_mov_b32_e32 v8, v99
	s_mov_b32 s13, -1
	s_cbranch_vccnz .LBB4_5746
; %bb.3568:                             ;   in Loop: Header=BB4_3484 Depth=2
	v_ashrrev_i32_e32 v2, 31, v148
	s_mov_b32 s14, exec_lo
	s_delay_alu instid0(VALU_DEP_1) | instskip(NEXT) | instid1(VALU_DEP_1)
	v_lshrrev_b32_e32 v2, 22, v2
	v_add_nc_u32_e32 v2, v148, v2
	s_delay_alu instid0(VALU_DEP_1) | instskip(NEXT) | instid1(VALU_DEP_1)
	v_ashrrev_i32_e32 v149, 10, v2
	v_sub_nc_u32_e32 v2, v149, v99
	s_delay_alu instid0(VALU_DEP_1)
	v_cmpx_lt_i32_e32 0, v2
	s_cbranch_execz .LBB4_5014
; %bb.3569:                             ;   in Loop: Header=BB4_3484 Depth=2
	s_cbranch_execz .LBB4_3570
; %bb.10958:
	s_getpc_b64 s[48:49]
.Lpost_getpc256:
	s_add_u32 s48, s48, (.LBB4_10526-.Lpost_getpc256)&4294967295
	s_addc_u32 s49, s49, (.LBB4_10526-.Lpost_getpc256)>>32
	s_setpc_b64 s[48:49]
.LBB4_3570:                             ;   in Loop: Header=BB4_3484 Depth=2
	ds_load_b128 v[8:11], v0
	s_bitcmp1_b32 s30, 0
	s_mov_b32 s15, 0
	s_cselect_b32 s16, -1, 0
	s_waitcnt lgkmcnt(0)
	v_add_co_u32 v69, vcc_lo, v8, v130
	v_add_co_ci_u32_e32 v70, vcc_lo, v9, v131, vcc_lo
	v_add_co_u32 v80, vcc_lo, v10, v130
	v_add_co_ci_u32_e32 v81, vcc_lo, v11, v131, vcc_lo
	s_delay_alu instid0(VALU_DEP_3) | instskip(NEXT) | instid1(VALU_DEP_2)
	v_dual_mov_b32 v83, v70 :: v_dual_mov_b32 v82, v69
	v_dual_mov_b32 v85, v81 :: v_dual_mov_b32 v84, v80
	s_branch .LBB4_3574
.LBB4_3571:                             ;   in Loop: Header=BB4_3574 Depth=3
	s_or_b32 exec_lo, exec_lo, s13
	s_delay_alu instid0(VALU_DEP_1) | instskip(NEXT) | instid1(VALU_DEP_2)
	v_lshrrev_b32_e32 v15, 20, v15
	v_min_i32_e32 v183, 15, v11
	v_cmp_gt_i32_e32 vcc_lo, 16, v11
	v_lshrrev_b32_e32 v40, 24, v41
	s_delay_alu instid0(VALU_DEP_3) | instskip(NEXT) | instid1(VALU_DEP_2)
	v_lshlrev_b32_e32 v183, 3, v183
	v_dual_cndmask_b32 v15, 7, v15 :: v_dual_and_b32 v40, 0x80, v40
	s_delay_alu instid0(VALU_DEP_2) | instskip(NEXT) | instid1(VALU_DEP_2)
	v_and_b32_e32 v183, 0xf8, v183
	v_and_b32_e32 v41, 7, v15
	v_or_b32_e32 v11, v11, v15
	s_delay_alu instid0(VALU_DEP_2) | instskip(NEXT) | instid1(VALU_DEP_2)
	v_or3_b32 v183, v40, v183, v41
	v_cmp_ne_u32_e32 vcc_lo, 0, v11
	s_delay_alu instid0(VALU_DEP_2) | instskip(NEXT) | instid1(VALU_DEP_1)
	v_lshlrev_b32_e32 v15, 8, v183
	v_cndmask_b32_e32 v11, 0, v15, vcc_lo
.LBB4_3572:                             ;   in Loop: Header=BB4_3574 Depth=3
	s_or_b32 exec_lo, exec_lo, s31
.LBB4_3573:                             ;   in Loop: Header=BB4_3574 Depth=3
	s_delay_alu instid0(SALU_CYCLE_1)
	s_or_b32 exec_lo, exec_lo, s17
	v_lshlrev_b32_e32 v15, 8, v161
	v_lshlrev_b32_e32 v161, 24, v16
	;; [unrolled: 1-line block ×4, first 2 shown]
	v_or_b32_e32 v17, v17, v162
	v_perm_b32 v15, v15, v20, 0xc0c0500
	v_and_b32_e32 v20, 0xff, v164
	v_and_b32_e32 v160, 0xff, v160
	v_lshlrev_b32_e32 v18, 24, v18
	v_perm_b32 v21, v151, v21, 0xc0c0500
	v_perm_b32 v150, v16, v150, 0xc0c0500
	v_lshlrev_b32_e32 v20, 16, v20
	v_lshlrev_b32_e32 v160, 16, v160
	;; [unrolled: 1-line block ×3, first 2 shown]
	v_lshl_or_b32 v16, v17, 16, v15
	v_or_b32_e32 v19, v19, v166
	v_or3_b32 v17, v18, v20, v21
	v_lshlrev_b32_e32 v18, 8, v177
	v_or3_b32 v15, v161, v160, v150
	v_perm_b32 v20, v151, v22, 0xc0c0500
	v_and_b32_e32 v21, 0xff, v176
	v_and_b32_e32 v22, 0xff, v180
	v_perm_b32 v12, v18, v12, 0xc0c0500
	v_lshlrev_b32_e32 v18, 8, v167
	v_lshlrev_b32_e32 v150, 8, v179
	;; [unrolled: 1-line block ×3, first 2 shown]
	v_or_b32_e32 v9, v9, v178
	v_lshlrev_b32_e32 v8, 24, v8
	v_lshlrev_b32_e32 v21, 16, v21
	v_perm_b32 v23, v18, v23, 0xc0c0500
	v_lshlrev_b32_e32 v10, 24, v10
	v_lshlrev_b32_e32 v22, 16, v22
	v_perm_b32 v13, v150, v13, 0xc0c0500
	v_perm_b32 v14, v151, v14, 0xc0c0500
	v_or_b32_e32 v11, v11, v182
	v_add_co_u32 v69, vcc_lo, v69, v132
	v_lshl_or_b32 v18, v19, 16, v20
	v_lshl_or_b32 v9, v9, 16, v12
	v_or3_b32 v8, v8, v21, v23
	v_or3_b32 v10, v10, v22, v13
	v_lshl_or_b32 v11, v11, 16, v14
	v_add_co_ci_u32_e32 v70, vcc_lo, v70, v133, vcc_lo
	v_add_co_u32 v80, vcc_lo, v80, v132
	v_sub_nc_u32_e32 v2, v2, v97
	v_add_co_ci_u32_e32 v81, vcc_lo, v81, v133, vcc_lo
	s_clause 0x1
	global_store_b128 v[82:83], v[15:18], off glc slc dlc
	global_store_b128 v[82:83], v[8:11], off offset:512 glc slc dlc
	s_clause 0x1
	global_store_b128 v[84:85], v[15:18], off glc slc dlc
	global_store_b128 v[84:85], v[8:11], off offset:512 glc slc dlc
	v_add_co_u32 v82, vcc_lo, v82, v132
	v_add_co_ci_u32_e32 v83, vcc_lo, v83, v133, vcc_lo
	v_cmp_gt_i32_e32 vcc_lo, 1, v2
	v_add_co_u32 v84, s13, v84, v132
	s_delay_alu instid0(VALU_DEP_1) | instskip(SKIP_1) | instid1(SALU_CYCLE_1)
	v_add_co_ci_u32_e64 v85, s13, v85, v133, s13
	s_or_b32 s15, vcc_lo, s15
	s_and_not1_b32 exec_lo, exec_lo, s15
	s_cbranch_execz .LBB4_5013
.LBB4_3574:                             ;   Parent Loop BB4_51 Depth=1
                                        ;     Parent Loop BB4_3484 Depth=2
                                        ; =>    This Inner Loop Header: Depth=3
	s_clause 0x1
	global_load_b128 v[20:23], v[69:70], off slc dlc
	global_load_b128 v[12:15], v[69:70], off offset:512 slc dlc
	s_clause 0x1
	global_load_b128 v[16:19], v[80:81], off slc dlc
	global_load_b128 v[8:11], v[80:81], off offset:512 slc dlc
	s_and_b32 vcc_lo, exec_lo, s16
	s_waitcnt vmcnt(3)
	v_and_b32_e32 v150, 0xff, v20
	s_delay_alu instid0(VALU_DEP_1)
	v_cmp_lt_i16_e64 s13, 0x7f, v150
	s_cbranch_vccz .LBB4_3584
; %bb.3575:                             ;   in Loop: Header=BB4_3574 Depth=3
	s_mov_b32 s17, 0
                                        ; implicit-def: $sgpr31
	s_delay_alu instid0(VALU_DEP_1) | instskip(NEXT) | instid1(SALU_CYCLE_1)
	s_and_saveexec_b32 vcc_lo, s13
	s_xor_b32 s13, exec_lo, vcc_lo
	s_cbranch_execnz .LBB4_4500
; %bb.3576:                             ;   in Loop: Header=BB4_3574 Depth=3
	s_or_saveexec_b32 s13, s13
	v_mov_b32_e32 v151, s31
	s_xor_b32 exec_lo, exec_lo, s13
	s_cbranch_execnz .LBB4_4503
.LBB4_3577:                             ;   in Loop: Header=BB4_3574 Depth=3
	s_or_b32 exec_lo, exec_lo, s13
	s_and_saveexec_b32 s13, s17
	s_cbranch_execz .LBB4_3579
.LBB4_3578:                             ;   in Loop: Header=BB4_3574 Depth=3
	v_and_b32_e32 v151, 7, v20
	v_bfe_u32 v162, v20, 3, 4
	v_lshlrev_b32_e32 v163, 24, v20
	s_delay_alu instid0(VALU_DEP_3) | instskip(NEXT) | instid1(VALU_DEP_3)
	v_clz_i32_u32_e32 v160, v151
	v_cmp_eq_u32_e32 vcc_lo, 0, v162
	s_delay_alu instid0(VALU_DEP_2) | instskip(NEXT) | instid1(VALU_DEP_1)
	v_min_u32_e32 v160, 32, v160
	v_subrev_nc_u32_e32 v161, 28, v160
	v_sub_nc_u32_e32 v160, 29, v160
	s_delay_alu instid0(VALU_DEP_2) | instskip(NEXT) | instid1(VALU_DEP_1)
	v_lshlrev_b32_e32 v161, v161, v20
	v_dual_cndmask_b32 v160, v162, v160 :: v_dual_and_b32 v161, 7, v161
	s_delay_alu instid0(VALU_DEP_1) | instskip(NEXT) | instid1(VALU_DEP_2)
	v_lshl_add_u32 v160, v160, 23, 0x3b800000
	v_cndmask_b32_e32 v151, v151, v161, vcc_lo
	v_and_b32_e32 v161, 0x80000000, v163
	s_delay_alu instid0(VALU_DEP_2) | instskip(NEXT) | instid1(VALU_DEP_1)
	v_lshlrev_b32_e32 v151, 20, v151
	v_or3_b32 v151, v161, v160, v151
.LBB4_3579:                             ;   in Loop: Header=BB4_3574 Depth=3
	s_or_b32 exec_lo, exec_lo, s13
	s_waitcnt vmcnt(1)
	v_and_b32_e32 v161, 0xff, v16
	s_mov_b32 s13, 0
	s_mov_b32 s31, exec_lo
                                        ; implicit-def: $sgpr17
	s_delay_alu instid0(VALU_DEP_1)
	v_cmpx_lt_i16_e64 0x7f, v161
	s_xor_b32 s31, exec_lo, s31
	s_cbranch_execnz .LBB4_4504
; %bb.3580:                             ;   in Loop: Header=BB4_3574 Depth=3
	s_or_saveexec_b32 s31, s31
	v_mov_b32_e32 v160, s17
	s_xor_b32 exec_lo, exec_lo, s31
	s_cbranch_execnz .LBB4_4507
.LBB4_3581:                             ;   in Loop: Header=BB4_3574 Depth=3
	s_or_b32 exec_lo, exec_lo, s31
	s_and_saveexec_b32 s17, s13
	s_cbranch_execz .LBB4_3583
.LBB4_3582:                             ;   in Loop: Header=BB4_3574 Depth=3
	v_bfe_u32 v163, v16, 3, 4
	v_lshlrev_b32_e32 v164, 24, v16
	s_delay_alu instid0(VALU_DEP_2) | instskip(SKIP_1) | instid1(VALU_DEP_1)
	v_cmp_eq_u32_e32 vcc_lo, 0, v163
	v_and_b32_e32 v160, 7, v16
	v_clz_i32_u32_e32 v161, v160
	s_delay_alu instid0(VALU_DEP_1) | instskip(NEXT) | instid1(VALU_DEP_1)
	v_min_u32_e32 v161, 32, v161
	v_subrev_nc_u32_e32 v162, 28, v161
	v_sub_nc_u32_e32 v161, 29, v161
	s_delay_alu instid0(VALU_DEP_1) | instskip(NEXT) | instid1(VALU_DEP_1)
	v_dual_cndmask_b32 v161, v163, v161 :: v_dual_lshlrev_b32 v162, v162, v16
	v_and_b32_e32 v162, 7, v162
	s_delay_alu instid0(VALU_DEP_2) | instskip(NEXT) | instid1(VALU_DEP_2)
	v_lshl_add_u32 v161, v161, 23, 0x3b800000
	v_cndmask_b32_e32 v160, v160, v162, vcc_lo
	v_and_b32_e32 v162, 0x80000000, v164
	s_delay_alu instid0(VALU_DEP_2) | instskip(NEXT) | instid1(VALU_DEP_1)
	v_lshlrev_b32_e32 v160, 20, v160
	v_or3_b32 v160, v162, v161, v160
.LBB4_3583:                             ;   in Loop: Header=BB4_3574 Depth=3
	s_or_b32 exec_lo, exec_lo, s17
	s_delay_alu instid0(VALU_DEP_1) | instskip(SKIP_1) | instid1(VALU_DEP_1)
	v_dual_max_f32 v160, v160, v160 :: v_dual_max_f32 v151, v151, v151
	s_mov_b32 s13, 0
	v_max_f32_e32 v151, v151, v160
	s_branch .LBB4_3585
.LBB4_3584:                             ;   in Loop: Header=BB4_3574 Depth=3
	s_mov_b32 s13, -1
                                        ; implicit-def: $vgpr151
.LBB4_3585:                             ;   in Loop: Header=BB4_3574 Depth=3
	s_delay_alu instid0(SALU_CYCLE_1)
	s_and_b32 vcc_lo, exec_lo, s13
	s_cbranch_vccz .LBB4_3595
; %bb.3586:                             ;   in Loop: Header=BB4_3574 Depth=3
	s_mov_b32 s13, 0
	s_mov_b32 s31, exec_lo
                                        ; implicit-def: $sgpr17
	v_cmpx_lt_i16_e64 0x7f, v150
	s_xor_b32 s31, exec_lo, s31
	s_cbranch_execnz .LBB4_4508
; %bb.3587:                             ;   in Loop: Header=BB4_3574 Depth=3
	s_or_saveexec_b32 s31, s31
	v_mov_b32_e32 v151, s17
	s_xor_b32 exec_lo, exec_lo, s31
	s_cbranch_execnz .LBB4_4511
.LBB4_3588:                             ;   in Loop: Header=BB4_3574 Depth=3
	s_or_b32 exec_lo, exec_lo, s31
	s_and_saveexec_b32 s17, s13
	s_cbranch_execz .LBB4_3590
.LBB4_3589:                             ;   in Loop: Header=BB4_3574 Depth=3
	v_bfe_u32 v161, v20, 3, 4
	v_lshlrev_b32_e32 v162, 24, v20
	s_delay_alu instid0(VALU_DEP_2) | instskip(SKIP_1) | instid1(VALU_DEP_1)
	v_cmp_eq_u32_e32 vcc_lo, 0, v161
	v_and_b32_e32 v150, 7, v20
	v_clz_i32_u32_e32 v151, v150
	s_delay_alu instid0(VALU_DEP_1) | instskip(NEXT) | instid1(VALU_DEP_1)
	v_min_u32_e32 v151, 32, v151
	v_subrev_nc_u32_e32 v160, 28, v151
	v_sub_nc_u32_e32 v151, 29, v151
	s_delay_alu instid0(VALU_DEP_1) | instskip(NEXT) | instid1(VALU_DEP_1)
	v_dual_cndmask_b32 v151, v161, v151 :: v_dual_lshlrev_b32 v160, v160, v20
	v_and_b32_e32 v160, 7, v160
	s_delay_alu instid0(VALU_DEP_2) | instskip(NEXT) | instid1(VALU_DEP_2)
	v_lshl_add_u32 v151, v151, 23, 0x3b800000
	v_cndmask_b32_e32 v150, v150, v160, vcc_lo
	v_and_b32_e32 v160, 0x80000000, v162
	s_delay_alu instid0(VALU_DEP_2) | instskip(NEXT) | instid1(VALU_DEP_1)
	v_lshlrev_b32_e32 v150, 20, v150
	v_or3_b32 v151, v160, v151, v150
.LBB4_3590:                             ;   in Loop: Header=BB4_3574 Depth=3
	s_or_b32 exec_lo, exec_lo, s17
	s_waitcnt vmcnt(1)
	v_and_b32_e32 v160, 0xff, v16
	s_mov_b32 s13, 0
	s_mov_b32 s31, exec_lo
                                        ; implicit-def: $sgpr17
	s_delay_alu instid0(VALU_DEP_1)
	v_cmpx_lt_i16_e64 0x7f, v160
	s_xor_b32 s31, exec_lo, s31
	s_cbranch_execnz .LBB4_4512
; %bb.3591:                             ;   in Loop: Header=BB4_3574 Depth=3
	s_or_saveexec_b32 s31, s31
	v_mov_b32_e32 v150, s17
	s_xor_b32 exec_lo, exec_lo, s31
	s_cbranch_execnz .LBB4_4515
.LBB4_3592:                             ;   in Loop: Header=BB4_3574 Depth=3
	s_or_b32 exec_lo, exec_lo, s31
	s_and_saveexec_b32 s17, s13
	s_cbranch_execz .LBB4_3594
.LBB4_3593:                             ;   in Loop: Header=BB4_3574 Depth=3
	v_and_b32_e32 v150, 7, v16
	v_bfe_u32 v162, v16, 3, 4
	s_delay_alu instid0(VALU_DEP_2) | instskip(NEXT) | instid1(VALU_DEP_2)
	v_clz_i32_u32_e32 v160, v150
	v_cmp_eq_u32_e32 vcc_lo, 0, v162
	s_delay_alu instid0(VALU_DEP_2) | instskip(NEXT) | instid1(VALU_DEP_1)
	v_min_u32_e32 v160, 32, v160
	v_subrev_nc_u32_e32 v161, 28, v160
	v_sub_nc_u32_e32 v160, 29, v160
	s_delay_alu instid0(VALU_DEP_2) | instskip(NEXT) | instid1(VALU_DEP_1)
	v_lshlrev_b32_e32 v161, v161, v16
	v_dual_cndmask_b32 v160, v162, v160 :: v_dual_and_b32 v161, 7, v161
	v_lshlrev_b32_e32 v163, 24, v16
	s_delay_alu instid0(VALU_DEP_2) | instskip(NEXT) | instid1(VALU_DEP_2)
	v_lshl_add_u32 v160, v160, 23, 0x3b800000
	v_dual_cndmask_b32 v150, v150, v161 :: v_dual_and_b32 v161, 0x80000000, v163
	s_delay_alu instid0(VALU_DEP_1) | instskip(NEXT) | instid1(VALU_DEP_1)
	v_lshlrev_b32_e32 v150, 20, v150
	v_or3_b32 v150, v161, v160, v150
.LBB4_3594:                             ;   in Loop: Header=BB4_3574 Depth=3
	s_or_b32 exec_lo, exec_lo, s17
	s_delay_alu instid0(VALU_DEP_1) | instskip(NEXT) | instid1(VALU_DEP_1)
	v_dual_max_f32 v150, v150, v150 :: v_dual_max_f32 v151, v151, v151
	v_min_f32_e32 v151, v151, v150
.LBB4_3595:                             ;   in Loop: Header=BB4_3574 Depth=3
	s_delay_alu instid0(VALU_DEP_1) | instskip(NEXT) | instid1(VALU_DEP_1)
	v_and_b32_e32 v150, 0x7f800000, v151
	v_cmp_ne_u32_e32 vcc_lo, 0x7f800000, v150
	v_mov_b32_e32 v150, 0x80
	s_and_saveexec_b32 s17, vcc_lo
	s_cbranch_execz .LBB4_3603
; %bb.3596:                             ;   in Loop: Header=BB4_3574 Depth=3
	v_mov_b32_e32 v150, 0
	s_mov_b32 s31, exec_lo
	v_cmpx_ne_u32_e32 0, v151
	s_cbranch_execz .LBB4_3602
; %bb.3597:                             ;   in Loop: Header=BB4_3574 Depth=3
	v_bfe_u32 v150, v151, 23, 8
	s_delay_alu instid0(VALU_DEP_1) | instskip(SKIP_1) | instid1(VALU_DEP_2)
	v_sub_nc_u32_e32 v161, 0x78, v150
	v_cmp_gt_u32_e32 vcc_lo, 0x79, v150
	v_dual_cndmask_b32 v161, 0, v161 :: v_dual_and_b32 v160, 0x7fffff, v151
	s_delay_alu instid0(VALU_DEP_1) | instskip(SKIP_2) | instid1(VALU_DEP_4)
	v_or_b32_e32 v162, 0x800000, v160
	v_cmp_eq_u32_e32 vcc_lo, 0, v150
	v_add_nc_u32_e32 v150, 0xffffff89, v150
	v_cndmask_b32_e64 v161, v161, 0x77, vcc_lo
	s_delay_alu instid0(VALU_DEP_2) | instskip(SKIP_1) | instid1(VALU_DEP_3)
	v_cndmask_b32_e64 v150, v150, 0xffffff8a, vcc_lo
	v_cndmask_b32_e32 v160, v162, v160, vcc_lo
	v_lshl_add_u32 v162, 0x100000, v161, -1
	v_lshlrev_b32_e64 v165, v161, 0x80000
	s_delay_alu instid0(VALU_DEP_3) | instskip(SKIP_1) | instid1(VALU_DEP_4)
	v_lshrrev_b32_e32 v163, v161, v160
	v_add_nc_u32_e32 v161, v161, v150
	v_and_b32_e32 v160, v162, v160
	s_delay_alu instid0(VALU_DEP_3) | instskip(NEXT) | instid1(VALU_DEP_2)
	v_bfe_u32 v164, v163, 20, 1
	v_cmp_eq_u32_e64 s13, v160, v165
	s_delay_alu instid0(VALU_DEP_2) | instskip(NEXT) | instid1(VALU_DEP_1)
	v_add_nc_u32_e32 v162, -1, v164
	v_cndmask_b32_e64 v160, 0, v162, s13
	v_lshrrev_b32_e32 v162, 23, v163
	s_mov_b32 s13, exec_lo
	s_delay_alu instid0(VALU_DEP_2) | instskip(NEXT) | instid1(VALU_DEP_2)
	v_add_nc_u32_e32 v160, v160, v163
	v_xor_b32_e32 v162, 1, v162
	s_delay_alu instid0(VALU_DEP_2) | instskip(NEXT) | instid1(VALU_DEP_1)
	v_and_b32_e32 v150, 0xfffff, v160
	v_add_nc_u32_e32 v160, v150, v163
                                        ; implicit-def: $vgpr150
	s_delay_alu instid0(VALU_DEP_3)
	v_cmpx_ne_u32_e64 v161, v162
	s_xor_b32 s13, exec_lo, s13
; %bb.3598:                             ;   in Loop: Header=BB4_3574 Depth=3
	s_delay_alu instid0(VALU_DEP_2) | instskip(SKIP_2) | instid1(VALU_DEP_2)
	v_cmp_lt_u32_e32 vcc_lo, 0xffffff, v160
	v_sub_nc_u32_e32 v150, v161, v162
	v_cndmask_b32_e64 v161, 0, 1, vcc_lo
	v_add_co_ci_u32_e32 v150, vcc_lo, 0, v150, vcc_lo
	s_delay_alu instid0(VALU_DEP_2)
	v_lshrrev_b32_e32 v160, v161, v160
; %bb.3599:                             ;   in Loop: Header=BB4_3574 Depth=3
	s_and_not1_saveexec_b32 s13, s13
; %bb.3600:                             ;   in Loop: Header=BB4_3574 Depth=3
	s_delay_alu instid0(VALU_DEP_1)
	v_bfe_u32 v150, v160, 23, 1
; %bb.3601:                             ;   in Loop: Header=BB4_3574 Depth=3
	s_or_b32 exec_lo, exec_lo, s13
	v_lshrrev_b32_e32 v160, 20, v160
	s_delay_alu instid0(VALU_DEP_2) | instskip(SKIP_2) | instid1(VALU_DEP_2)
	v_cmp_gt_i32_e32 vcc_lo, 16, v150
	v_lshrrev_b32_e32 v151, 24, v151
	v_min_i32_e32 v161, 15, v150
	v_dual_cndmask_b32 v160, 7, v160 :: v_dual_and_b32 v151, 0x80, v151
	s_delay_alu instid0(VALU_DEP_1) | instskip(SKIP_1) | instid1(VALU_DEP_2)
	v_or_b32_e32 v150, v150, v160
	v_and_b32_e32 v162, 7, v160
	v_cmp_ne_u32_e32 vcc_lo, 0, v150
	v_lshlrev_b32_e32 v161, 3, v161
	s_delay_alu instid0(VALU_DEP_1) | instskip(NEXT) | instid1(VALU_DEP_1)
	v_or3_b32 v151, v161, v151, v162
	v_cndmask_b32_e32 v150, 0, v151, vcc_lo
.LBB4_3602:                             ;   in Loop: Header=BB4_3574 Depth=3
	s_or_b32 exec_lo, exec_lo, s31
.LBB4_3603:                             ;   in Loop: Header=BB4_3574 Depth=3
	s_delay_alu instid0(SALU_CYCLE_1) | instskip(SKIP_4) | instid1(VALU_DEP_2)
	s_or_b32 exec_lo, exec_lo, s17
	v_lshrrev_b16 v160, 8, v20
	s_waitcnt vmcnt(1)
	v_lshrrev_b16 v151, 8, v16
	s_and_b32 vcc_lo, exec_lo, s16
	v_cmp_lt_i16_e64 s13, 0x7f, v160
	s_cbranch_vccz .LBB4_3613
; %bb.3604:                             ;   in Loop: Header=BB4_3574 Depth=3
	s_mov_b32 s17, 0
                                        ; implicit-def: $sgpr31
	s_delay_alu instid0(VALU_DEP_1) | instskip(NEXT) | instid1(SALU_CYCLE_1)
	s_and_saveexec_b32 vcc_lo, s13
	s_xor_b32 s13, exec_lo, vcc_lo
	s_cbranch_execnz .LBB4_4516
; %bb.3605:                             ;   in Loop: Header=BB4_3574 Depth=3
	s_or_saveexec_b32 s13, s13
	v_mov_b32_e32 v161, s31
	s_xor_b32 exec_lo, exec_lo, s13
	s_cbranch_execnz .LBB4_4519
.LBB4_3606:                             ;   in Loop: Header=BB4_3574 Depth=3
	s_or_b32 exec_lo, exec_lo, s13
	s_and_saveexec_b32 s13, s17
	s_cbranch_execz .LBB4_3608
.LBB4_3607:                             ;   in Loop: Header=BB4_3574 Depth=3
	v_and_b32_e32 v161, 0xffff, v160
	v_lshlrev_b32_e32 v165, 16, v20
	s_delay_alu instid0(VALU_DEP_2) | instskip(NEXT) | instid1(VALU_DEP_1)
	v_and_b32_e32 v162, 7, v161
	v_clz_i32_u32_e32 v163, v162
	s_delay_alu instid0(VALU_DEP_1) | instskip(NEXT) | instid1(VALU_DEP_1)
	v_min_u32_e32 v163, 32, v163
	v_subrev_nc_u32_e32 v164, 28, v163
	v_sub_nc_u32_e32 v163, 29, v163
	s_delay_alu instid0(VALU_DEP_2) | instskip(SKIP_1) | instid1(VALU_DEP_2)
	v_lshlrev_b32_e32 v164, v164, v161
	v_bfe_u32 v161, v161, 3, 4
	v_and_b32_e32 v164, 7, v164
	s_delay_alu instid0(VALU_DEP_2) | instskip(NEXT) | instid1(VALU_DEP_2)
	v_cmp_eq_u32_e32 vcc_lo, 0, v161
	v_dual_cndmask_b32 v161, v161, v163 :: v_dual_cndmask_b32 v162, v162, v164
	v_and_b32_e32 v163, 0x80000000, v165
	s_delay_alu instid0(VALU_DEP_2) | instskip(NEXT) | instid1(VALU_DEP_3)
	v_lshl_add_u32 v161, v161, 23, 0x3b800000
	v_lshlrev_b32_e32 v162, 20, v162
	s_delay_alu instid0(VALU_DEP_1)
	v_or3_b32 v161, v163, v161, v162
.LBB4_3608:                             ;   in Loop: Header=BB4_3574 Depth=3
	s_or_b32 exec_lo, exec_lo, s13
	s_mov_b32 s13, 0
	s_mov_b32 s31, exec_lo
                                        ; implicit-def: $sgpr17
	v_cmpx_lt_i16_e64 0x7f, v151
	s_xor_b32 s31, exec_lo, s31
	s_cbranch_execnz .LBB4_4520
; %bb.3609:                             ;   in Loop: Header=BB4_3574 Depth=3
	s_or_saveexec_b32 s31, s31
	v_mov_b32_e32 v162, s17
	s_xor_b32 exec_lo, exec_lo, s31
	s_cbranch_execnz .LBB4_4523
.LBB4_3610:                             ;   in Loop: Header=BB4_3574 Depth=3
	s_or_b32 exec_lo, exec_lo, s31
	s_and_saveexec_b32 s17, s13
	s_cbranch_execz .LBB4_3612
.LBB4_3611:                             ;   in Loop: Header=BB4_3574 Depth=3
	v_and_b32_e32 v162, 0xffff, v151
	v_lshlrev_b32_e32 v166, 16, v16
	s_delay_alu instid0(VALU_DEP_2) | instskip(NEXT) | instid1(VALU_DEP_1)
	v_and_b32_e32 v163, 7, v162
	v_clz_i32_u32_e32 v164, v163
	s_delay_alu instid0(VALU_DEP_1) | instskip(NEXT) | instid1(VALU_DEP_1)
	v_min_u32_e32 v164, 32, v164
	v_subrev_nc_u32_e32 v165, 28, v164
	v_sub_nc_u32_e32 v164, 29, v164
	s_delay_alu instid0(VALU_DEP_2) | instskip(SKIP_1) | instid1(VALU_DEP_2)
	v_lshlrev_b32_e32 v165, v165, v162
	v_bfe_u32 v162, v162, 3, 4
	v_and_b32_e32 v165, 7, v165
	s_delay_alu instid0(VALU_DEP_2) | instskip(NEXT) | instid1(VALU_DEP_2)
	v_cmp_eq_u32_e32 vcc_lo, 0, v162
	v_dual_cndmask_b32 v162, v162, v164 :: v_dual_cndmask_b32 v163, v163, v165
	v_and_b32_e32 v164, 0x80000000, v166
	s_delay_alu instid0(VALU_DEP_2) | instskip(NEXT) | instid1(VALU_DEP_3)
	v_lshl_add_u32 v162, v162, 23, 0x3b800000
	v_lshlrev_b32_e32 v163, 20, v163
	s_delay_alu instid0(VALU_DEP_1)
	v_or3_b32 v162, v164, v162, v163
.LBB4_3612:                             ;   in Loop: Header=BB4_3574 Depth=3
	s_or_b32 exec_lo, exec_lo, s17
	s_delay_alu instid0(VALU_DEP_1) | instskip(SKIP_1) | instid1(VALU_DEP_1)
	v_dual_max_f32 v162, v162, v162 :: v_dual_max_f32 v161, v161, v161
	s_mov_b32 s13, 0
	v_max_f32_e32 v161, v161, v162
	s_branch .LBB4_3614
.LBB4_3613:                             ;   in Loop: Header=BB4_3574 Depth=3
	s_mov_b32 s13, -1
                                        ; implicit-def: $vgpr161
.LBB4_3614:                             ;   in Loop: Header=BB4_3574 Depth=3
	s_delay_alu instid0(SALU_CYCLE_1)
	s_and_b32 vcc_lo, exec_lo, s13
	s_cbranch_vccz .LBB4_3624
; %bb.3615:                             ;   in Loop: Header=BB4_3574 Depth=3
	s_mov_b32 s13, 0
	s_mov_b32 s31, exec_lo
                                        ; implicit-def: $sgpr17
	v_cmpx_lt_i16_e64 0x7f, v160
	s_xor_b32 s31, exec_lo, s31
	s_cbranch_execnz .LBB4_4524
; %bb.3616:                             ;   in Loop: Header=BB4_3574 Depth=3
	s_or_saveexec_b32 s31, s31
	v_mov_b32_e32 v161, s17
	s_xor_b32 exec_lo, exec_lo, s31
	s_cbranch_execnz .LBB4_4527
.LBB4_3617:                             ;   in Loop: Header=BB4_3574 Depth=3
	s_or_b32 exec_lo, exec_lo, s31
	s_and_saveexec_b32 s17, s13
	s_cbranch_execz .LBB4_3619
.LBB4_3618:                             ;   in Loop: Header=BB4_3574 Depth=3
	v_and_b32_e32 v160, 0xffff, v160
	v_lshlrev_b32_e32 v164, 16, v20
	s_delay_alu instid0(VALU_DEP_2) | instskip(NEXT) | instid1(VALU_DEP_1)
	v_and_b32_e32 v161, 7, v160
	v_clz_i32_u32_e32 v162, v161
	s_delay_alu instid0(VALU_DEP_1) | instskip(NEXT) | instid1(VALU_DEP_1)
	v_min_u32_e32 v162, 32, v162
	v_subrev_nc_u32_e32 v163, 28, v162
	v_sub_nc_u32_e32 v162, 29, v162
	s_delay_alu instid0(VALU_DEP_2) | instskip(SKIP_1) | instid1(VALU_DEP_2)
	v_lshlrev_b32_e32 v163, v163, v160
	v_bfe_u32 v160, v160, 3, 4
	v_and_b32_e32 v163, 7, v163
	s_delay_alu instid0(VALU_DEP_2) | instskip(NEXT) | instid1(VALU_DEP_2)
	v_cmp_eq_u32_e32 vcc_lo, 0, v160
	v_dual_cndmask_b32 v160, v160, v162 :: v_dual_cndmask_b32 v161, v161, v163
	v_and_b32_e32 v162, 0x80000000, v164
	s_delay_alu instid0(VALU_DEP_2) | instskip(NEXT) | instid1(VALU_DEP_3)
	v_lshl_add_u32 v160, v160, 23, 0x3b800000
	v_lshlrev_b32_e32 v161, 20, v161
	s_delay_alu instid0(VALU_DEP_1)
	v_or3_b32 v161, v162, v160, v161
.LBB4_3619:                             ;   in Loop: Header=BB4_3574 Depth=3
	s_or_b32 exec_lo, exec_lo, s17
	s_mov_b32 s13, 0
	s_mov_b32 s31, exec_lo
                                        ; implicit-def: $sgpr17
	v_cmpx_lt_i16_e64 0x7f, v151
	s_xor_b32 s31, exec_lo, s31
	s_cbranch_execnz .LBB4_4528
; %bb.3620:                             ;   in Loop: Header=BB4_3574 Depth=3
	s_or_saveexec_b32 s31, s31
	v_mov_b32_e32 v160, s17
	s_xor_b32 exec_lo, exec_lo, s31
	s_cbranch_execnz .LBB4_4531
.LBB4_3621:                             ;   in Loop: Header=BB4_3574 Depth=3
	s_or_b32 exec_lo, exec_lo, s31
	s_and_saveexec_b32 s17, s13
	s_cbranch_execz .LBB4_3623
.LBB4_3622:                             ;   in Loop: Header=BB4_3574 Depth=3
	v_and_b32_e32 v151, 0xffff, v151
	v_lshlrev_b32_e32 v164, 16, v16
	s_delay_alu instid0(VALU_DEP_2) | instskip(NEXT) | instid1(VALU_DEP_1)
	v_and_b32_e32 v160, 7, v151
	v_clz_i32_u32_e32 v162, v160
	s_delay_alu instid0(VALU_DEP_1) | instskip(NEXT) | instid1(VALU_DEP_1)
	v_min_u32_e32 v162, 32, v162
	v_subrev_nc_u32_e32 v163, 28, v162
	v_sub_nc_u32_e32 v162, 29, v162
	s_delay_alu instid0(VALU_DEP_2) | instskip(SKIP_1) | instid1(VALU_DEP_2)
	v_lshlrev_b32_e32 v163, v163, v151
	v_bfe_u32 v151, v151, 3, 4
	v_and_b32_e32 v163, 7, v163
	s_delay_alu instid0(VALU_DEP_2) | instskip(NEXT) | instid1(VALU_DEP_2)
	v_cmp_eq_u32_e32 vcc_lo, 0, v151
	v_dual_cndmask_b32 v151, v151, v162 :: v_dual_cndmask_b32 v160, v160, v163
	v_and_b32_e32 v162, 0x80000000, v164
	s_delay_alu instid0(VALU_DEP_2) | instskip(NEXT) | instid1(VALU_DEP_3)
	v_lshl_add_u32 v151, v151, 23, 0x3b800000
	v_lshlrev_b32_e32 v160, 20, v160
	s_delay_alu instid0(VALU_DEP_1)
	v_or3_b32 v160, v162, v151, v160
.LBB4_3623:                             ;   in Loop: Header=BB4_3574 Depth=3
	s_or_b32 exec_lo, exec_lo, s17
	s_delay_alu instid0(VALU_DEP_1) | instskip(NEXT) | instid1(VALU_DEP_1)
	v_dual_max_f32 v151, v160, v160 :: v_dual_max_f32 v160, v161, v161
	v_min_f32_e32 v161, v160, v151
.LBB4_3624:                             ;   in Loop: Header=BB4_3574 Depth=3
	s_delay_alu instid0(VALU_DEP_1) | instskip(NEXT) | instid1(VALU_DEP_1)
	v_and_b32_e32 v151, 0x7f800000, v161
	v_cmp_ne_u32_e32 vcc_lo, 0x7f800000, v151
	v_mov_b32_e32 v151, 0x80
	s_and_saveexec_b32 s17, vcc_lo
	s_cbranch_execz .LBB4_3632
; %bb.3625:                             ;   in Loop: Header=BB4_3574 Depth=3
	v_mov_b32_e32 v151, 0
	s_mov_b32 s31, exec_lo
	v_cmpx_ne_u32_e32 0, v161
	s_cbranch_execz .LBB4_3631
; %bb.3626:                             ;   in Loop: Header=BB4_3574 Depth=3
	v_bfe_u32 v151, v161, 23, 8
	v_and_b32_e32 v160, 0x7fffff, v161
	s_delay_alu instid0(VALU_DEP_2) | instskip(SKIP_1) | instid1(VALU_DEP_3)
	v_sub_nc_u32_e32 v162, 0x78, v151
	v_cmp_gt_u32_e32 vcc_lo, 0x79, v151
	v_or_b32_e32 v163, 0x800000, v160
	s_delay_alu instid0(VALU_DEP_3) | instskip(SKIP_2) | instid1(VALU_DEP_3)
	v_cndmask_b32_e32 v162, 0, v162, vcc_lo
	v_cmp_eq_u32_e32 vcc_lo, 0, v151
	v_add_nc_u32_e32 v151, 0xffffff89, v151
	v_cndmask_b32_e64 v162, v162, 0x77, vcc_lo
	v_cndmask_b32_e32 v160, v163, v160, vcc_lo
	s_delay_alu instid0(VALU_DEP_3) | instskip(NEXT) | instid1(VALU_DEP_3)
	v_cndmask_b32_e64 v151, v151, 0xffffff8a, vcc_lo
	v_lshl_add_u32 v163, 0x100000, v162, -1
	s_delay_alu instid0(VALU_DEP_3) | instskip(SKIP_1) | instid1(VALU_DEP_4)
	v_lshrrev_b32_e32 v164, v162, v160
	v_lshlrev_b32_e64 v166, v162, 0x80000
	v_add_nc_u32_e32 v162, v162, v151
	s_delay_alu instid0(VALU_DEP_4) | instskip(NEXT) | instid1(VALU_DEP_4)
	v_and_b32_e32 v160, v163, v160
	v_bfe_u32 v165, v164, 20, 1
	s_delay_alu instid0(VALU_DEP_2) | instskip(NEXT) | instid1(VALU_DEP_2)
	v_cmp_eq_u32_e64 s13, v160, v166
	v_add_nc_u32_e32 v163, -1, v165
	s_delay_alu instid0(VALU_DEP_1) | instskip(SKIP_2) | instid1(VALU_DEP_2)
	v_cndmask_b32_e64 v160, 0, v163, s13
	v_lshrrev_b32_e32 v163, 23, v164
	s_mov_b32 s13, exec_lo
	v_add_nc_u32_e32 v160, v160, v164
	s_delay_alu instid0(VALU_DEP_2) | instskip(NEXT) | instid1(VALU_DEP_2)
	v_xor_b32_e32 v163, 1, v163
	v_and_b32_e32 v151, 0xfffff, v160
	s_delay_alu instid0(VALU_DEP_1) | instskip(NEXT) | instid1(VALU_DEP_3)
	v_add_nc_u32_e32 v160, v151, v164
                                        ; implicit-def: $vgpr151
	v_cmpx_ne_u32_e64 v162, v163
	s_xor_b32 s13, exec_lo, s13
; %bb.3627:                             ;   in Loop: Header=BB4_3574 Depth=3
	s_delay_alu instid0(VALU_DEP_2) | instskip(SKIP_2) | instid1(VALU_DEP_2)
	v_cmp_lt_u32_e32 vcc_lo, 0xffffff, v160
	v_sub_nc_u32_e32 v151, v162, v163
	v_cndmask_b32_e64 v162, 0, 1, vcc_lo
	v_add_co_ci_u32_e32 v151, vcc_lo, 0, v151, vcc_lo
	s_delay_alu instid0(VALU_DEP_2)
	v_lshrrev_b32_e32 v160, v162, v160
; %bb.3628:                             ;   in Loop: Header=BB4_3574 Depth=3
	s_and_not1_saveexec_b32 s13, s13
; %bb.3629:                             ;   in Loop: Header=BB4_3574 Depth=3
	s_delay_alu instid0(VALU_DEP_1)
	v_bfe_u32 v151, v160, 23, 1
; %bb.3630:                             ;   in Loop: Header=BB4_3574 Depth=3
	s_or_b32 exec_lo, exec_lo, s13
	v_lshrrev_b32_e32 v160, 20, v160
	s_delay_alu instid0(VALU_DEP_2) | instskip(SKIP_2) | instid1(VALU_DEP_2)
	v_cmp_gt_i32_e32 vcc_lo, 16, v151
	v_lshrrev_b32_e32 v161, 24, v161
	v_min_i32_e32 v162, 15, v151
	v_dual_cndmask_b32 v160, 7, v160 :: v_dual_and_b32 v161, 0x80, v161
	s_delay_alu instid0(VALU_DEP_1) | instskip(SKIP_1) | instid1(VALU_DEP_2)
	v_or_b32_e32 v151, v151, v160
	v_and_b32_e32 v163, 7, v160
	v_cmp_ne_u32_e32 vcc_lo, 0, v151
	v_lshlrev_b32_e32 v162, 3, v162
	s_delay_alu instid0(VALU_DEP_1) | instskip(NEXT) | instid1(VALU_DEP_1)
	v_or3_b32 v160, v162, v161, v163
	v_cndmask_b32_e32 v151, 0, v160, vcc_lo
.LBB4_3631:                             ;   in Loop: Header=BB4_3574 Depth=3
	s_or_b32 exec_lo, exec_lo, s31
.LBB4_3632:                             ;   in Loop: Header=BB4_3574 Depth=3
	s_delay_alu instid0(SALU_CYCLE_1) | instskip(SKIP_3) | instid1(VALU_DEP_2)
	s_or_b32 exec_lo, exec_lo, s17
	v_lshrrev_b32_e32 v161, 16, v20
	v_lshrrev_b32_e32 v160, 16, v16
	s_and_b32 vcc_lo, exec_lo, s16
	v_and_b32_e32 v162, 0xff, v161
	s_delay_alu instid0(VALU_DEP_1)
	v_cmp_lt_i16_e64 s13, 0x7f, v162
	s_cbranch_vccz .LBB4_3642
; %bb.3633:                             ;   in Loop: Header=BB4_3574 Depth=3
	s_mov_b32 s17, 0
                                        ; implicit-def: $sgpr31
	s_delay_alu instid0(VALU_DEP_1) | instskip(NEXT) | instid1(SALU_CYCLE_1)
	s_and_saveexec_b32 vcc_lo, s13
	s_xor_b32 s13, exec_lo, vcc_lo
	s_cbranch_execnz .LBB4_4532
; %bb.3634:                             ;   in Loop: Header=BB4_3574 Depth=3
	s_or_saveexec_b32 s13, s13
	v_mov_b32_e32 v163, s31
	s_xor_b32 exec_lo, exec_lo, s13
	s_cbranch_execnz .LBB4_4535
.LBB4_3635:                             ;   in Loop: Header=BB4_3574 Depth=3
	s_or_b32 exec_lo, exec_lo, s13
	s_and_saveexec_b32 s13, s17
	s_cbranch_execz .LBB4_3637
.LBB4_3636:                             ;   in Loop: Header=BB4_3574 Depth=3
	v_bfe_u32 v163, v20, 16, 3
	v_bfe_u32 v166, v20, 19, 4
	v_lshlrev_b32_e32 v167, 24, v161
	s_delay_alu instid0(VALU_DEP_3) | instskip(NEXT) | instid1(VALU_DEP_3)
	v_clz_i32_u32_e32 v164, v163
	v_cmp_eq_u32_e32 vcc_lo, 0, v166
	s_delay_alu instid0(VALU_DEP_2) | instskip(NEXT) | instid1(VALU_DEP_1)
	v_min_u32_e32 v164, 32, v164
	v_subrev_nc_u32_e32 v165, 28, v164
	v_sub_nc_u32_e32 v164, 29, v164
	s_delay_alu instid0(VALU_DEP_1) | instskip(NEXT) | instid1(VALU_DEP_1)
	v_dual_cndmask_b32 v164, v166, v164 :: v_dual_lshlrev_b32 v165, v165, v161
	v_and_b32_e32 v165, 7, v165
	s_delay_alu instid0(VALU_DEP_2) | instskip(NEXT) | instid1(VALU_DEP_2)
	v_lshl_add_u32 v164, v164, 23, 0x3b800000
	v_cndmask_b32_e32 v163, v163, v165, vcc_lo
	v_and_b32_e32 v165, 0x80000000, v167
	s_delay_alu instid0(VALU_DEP_2) | instskip(NEXT) | instid1(VALU_DEP_1)
	v_lshlrev_b32_e32 v163, 20, v163
	v_or3_b32 v163, v165, v164, v163
.LBB4_3637:                             ;   in Loop: Header=BB4_3574 Depth=3
	s_or_b32 exec_lo, exec_lo, s13
	v_and_b32_e32 v165, 0xff, v160
	s_mov_b32 s13, 0
	s_mov_b32 s31, exec_lo
                                        ; implicit-def: $sgpr17
	s_delay_alu instid0(VALU_DEP_1)
	v_cmpx_lt_i16_e64 0x7f, v165
	s_xor_b32 s31, exec_lo, s31
	s_cbranch_execnz .LBB4_4536
; %bb.3638:                             ;   in Loop: Header=BB4_3574 Depth=3
	s_or_saveexec_b32 s31, s31
	v_mov_b32_e32 v164, s17
	s_xor_b32 exec_lo, exec_lo, s31
	s_cbranch_execnz .LBB4_4539
.LBB4_3639:                             ;   in Loop: Header=BB4_3574 Depth=3
	s_or_b32 exec_lo, exec_lo, s31
	s_and_saveexec_b32 s17, s13
	s_cbranch_execz .LBB4_3641
.LBB4_3640:                             ;   in Loop: Header=BB4_3574 Depth=3
	v_bfe_u32 v164, v16, 16, 3
	v_bfe_u32 v167, v16, 19, 4
	v_lshlrev_b32_e32 v176, 24, v160
	s_delay_alu instid0(VALU_DEP_3) | instskip(NEXT) | instid1(VALU_DEP_3)
	v_clz_i32_u32_e32 v165, v164
	v_cmp_eq_u32_e32 vcc_lo, 0, v167
	s_delay_alu instid0(VALU_DEP_2) | instskip(NEXT) | instid1(VALU_DEP_1)
	v_min_u32_e32 v165, 32, v165
	v_subrev_nc_u32_e32 v166, 28, v165
	v_sub_nc_u32_e32 v165, 29, v165
	s_delay_alu instid0(VALU_DEP_1) | instskip(NEXT) | instid1(VALU_DEP_1)
	v_dual_cndmask_b32 v165, v167, v165 :: v_dual_lshlrev_b32 v166, v166, v160
	v_and_b32_e32 v166, 7, v166
	s_delay_alu instid0(VALU_DEP_2) | instskip(NEXT) | instid1(VALU_DEP_2)
	v_lshl_add_u32 v165, v165, 23, 0x3b800000
	v_cndmask_b32_e32 v164, v164, v166, vcc_lo
	v_and_b32_e32 v166, 0x80000000, v176
	s_delay_alu instid0(VALU_DEP_2) | instskip(NEXT) | instid1(VALU_DEP_1)
	v_lshlrev_b32_e32 v164, 20, v164
	v_or3_b32 v164, v166, v165, v164
.LBB4_3641:                             ;   in Loop: Header=BB4_3574 Depth=3
	s_or_b32 exec_lo, exec_lo, s17
	s_delay_alu instid0(VALU_DEP_1) | instskip(SKIP_1) | instid1(VALU_DEP_1)
	v_dual_max_f32 v164, v164, v164 :: v_dual_max_f32 v163, v163, v163
	s_mov_b32 s13, 0
	v_max_f32_e32 v163, v163, v164
	s_branch .LBB4_3643
.LBB4_3642:                             ;   in Loop: Header=BB4_3574 Depth=3
	s_mov_b32 s13, -1
                                        ; implicit-def: $vgpr163
.LBB4_3643:                             ;   in Loop: Header=BB4_3574 Depth=3
	s_delay_alu instid0(SALU_CYCLE_1)
	s_and_b32 vcc_lo, exec_lo, s13
	s_cbranch_vccz .LBB4_3653
; %bb.3644:                             ;   in Loop: Header=BB4_3574 Depth=3
	s_mov_b32 s13, 0
	s_mov_b32 s31, exec_lo
                                        ; implicit-def: $sgpr17
	v_cmpx_lt_i16_e64 0x7f, v162
	s_xor_b32 s31, exec_lo, s31
	s_cbranch_execnz .LBB4_4540
; %bb.3645:                             ;   in Loop: Header=BB4_3574 Depth=3
	s_or_saveexec_b32 s31, s31
	v_mov_b32_e32 v163, s17
	s_xor_b32 exec_lo, exec_lo, s31
	s_cbranch_execnz .LBB4_4543
.LBB4_3646:                             ;   in Loop: Header=BB4_3574 Depth=3
	s_or_b32 exec_lo, exec_lo, s31
	s_and_saveexec_b32 s17, s13
	s_cbranch_execz .LBB4_3648
.LBB4_3647:                             ;   in Loop: Header=BB4_3574 Depth=3
	v_bfe_u32 v162, v20, 16, 3
	v_bfe_u32 v165, v20, 19, 4
	s_delay_alu instid0(VALU_DEP_2) | instskip(NEXT) | instid1(VALU_DEP_2)
	v_clz_i32_u32_e32 v163, v162
	v_cmp_eq_u32_e32 vcc_lo, 0, v165
	s_delay_alu instid0(VALU_DEP_2) | instskip(NEXT) | instid1(VALU_DEP_1)
	v_min_u32_e32 v163, 32, v163
	v_subrev_nc_u32_e32 v164, 28, v163
	v_sub_nc_u32_e32 v163, 29, v163
	s_delay_alu instid0(VALU_DEP_1) | instskip(NEXT) | instid1(VALU_DEP_1)
	v_dual_cndmask_b32 v163, v165, v163 :: v_dual_lshlrev_b32 v164, v164, v161
	v_and_b32_e32 v164, 7, v164
	v_lshlrev_b32_e32 v161, 24, v161
	s_delay_alu instid0(VALU_DEP_3) | instskip(NEXT) | instid1(VALU_DEP_2)
	v_lshl_add_u32 v163, v163, 23, 0x3b800000
	v_dual_cndmask_b32 v162, v162, v164 :: v_dual_and_b32 v161, 0x80000000, v161
	s_delay_alu instid0(VALU_DEP_1) | instskip(NEXT) | instid1(VALU_DEP_1)
	v_lshlrev_b32_e32 v162, 20, v162
	v_or3_b32 v163, v161, v163, v162
.LBB4_3648:                             ;   in Loop: Header=BB4_3574 Depth=3
	s_or_b32 exec_lo, exec_lo, s17
	v_and_b32_e32 v162, 0xff, v160
	s_mov_b32 s13, 0
	s_mov_b32 s31, exec_lo
                                        ; implicit-def: $sgpr17
	s_delay_alu instid0(VALU_DEP_1)
	v_cmpx_lt_i16_e64 0x7f, v162
	s_xor_b32 s31, exec_lo, s31
	s_cbranch_execnz .LBB4_4544
; %bb.3649:                             ;   in Loop: Header=BB4_3574 Depth=3
	s_or_saveexec_b32 s31, s31
	v_mov_b32_e32 v161, s17
	s_xor_b32 exec_lo, exec_lo, s31
	s_cbranch_execnz .LBB4_4547
.LBB4_3650:                             ;   in Loop: Header=BB4_3574 Depth=3
	s_or_b32 exec_lo, exec_lo, s31
	s_and_saveexec_b32 s17, s13
	s_cbranch_execz .LBB4_3652
.LBB4_3651:                             ;   in Loop: Header=BB4_3574 Depth=3
	v_bfe_u32 v161, v16, 16, 3
	v_bfe_u32 v165, v16, 19, 4
	s_delay_alu instid0(VALU_DEP_2) | instskip(NEXT) | instid1(VALU_DEP_2)
	v_clz_i32_u32_e32 v162, v161
	v_cmp_eq_u32_e32 vcc_lo, 0, v165
	s_delay_alu instid0(VALU_DEP_2) | instskip(NEXT) | instid1(VALU_DEP_1)
	v_min_u32_e32 v162, 32, v162
	v_subrev_nc_u32_e32 v164, 28, v162
	v_sub_nc_u32_e32 v162, 29, v162
	s_delay_alu instid0(VALU_DEP_2) | instskip(SKIP_1) | instid1(VALU_DEP_2)
	v_lshlrev_b32_e32 v164, v164, v160
	v_lshlrev_b32_e32 v160, 24, v160
	v_and_b32_e32 v164, 7, v164
	s_delay_alu instid0(VALU_DEP_2) | instskip(NEXT) | instid1(VALU_DEP_2)
	v_and_b32_e32 v160, 0x80000000, v160
	v_cndmask_b32_e32 v161, v161, v164, vcc_lo
	s_delay_alu instid0(VALU_DEP_1) | instskip(NEXT) | instid1(VALU_DEP_1)
	v_dual_cndmask_b32 v162, v165, v162 :: v_dual_lshlrev_b32 v161, 20, v161
	v_lshl_add_u32 v162, v162, 23, 0x3b800000
	s_delay_alu instid0(VALU_DEP_1)
	v_or3_b32 v161, v160, v162, v161
.LBB4_3652:                             ;   in Loop: Header=BB4_3574 Depth=3
	s_or_b32 exec_lo, exec_lo, s17
	s_delay_alu instid0(VALU_DEP_1) | instskip(NEXT) | instid1(VALU_DEP_1)
	v_dual_max_f32 v160, v161, v161 :: v_dual_max_f32 v161, v163, v163
	v_min_f32_e32 v163, v161, v160
.LBB4_3653:                             ;   in Loop: Header=BB4_3574 Depth=3
	s_delay_alu instid0(VALU_DEP_1) | instskip(NEXT) | instid1(VALU_DEP_1)
	v_and_b32_e32 v160, 0x7f800000, v163
	v_cmp_ne_u32_e32 vcc_lo, 0x7f800000, v160
	v_mov_b32_e32 v160, 0x80
	s_and_saveexec_b32 s17, vcc_lo
	s_cbranch_execz .LBB4_3661
; %bb.3654:                             ;   in Loop: Header=BB4_3574 Depth=3
	v_mov_b32_e32 v160, 0
	s_mov_b32 s31, exec_lo
	v_cmpx_ne_u32_e32 0, v163
	s_cbranch_execz .LBB4_3660
; %bb.3655:                             ;   in Loop: Header=BB4_3574 Depth=3
	v_bfe_u32 v160, v163, 23, 8
	s_delay_alu instid0(VALU_DEP_1) | instskip(SKIP_1) | instid1(VALU_DEP_2)
	v_sub_nc_u32_e32 v162, 0x78, v160
	v_cmp_gt_u32_e32 vcc_lo, 0x79, v160
	v_dual_cndmask_b32 v162, 0, v162 :: v_dual_and_b32 v161, 0x7fffff, v163
	s_delay_alu instid0(VALU_DEP_1) | instskip(SKIP_2) | instid1(VALU_DEP_4)
	v_or_b32_e32 v164, 0x800000, v161
	v_cmp_eq_u32_e32 vcc_lo, 0, v160
	v_add_nc_u32_e32 v160, 0xffffff89, v160
	v_cndmask_b32_e64 v162, v162, 0x77, vcc_lo
	s_delay_alu instid0(VALU_DEP_4) | instskip(NEXT) | instid1(VALU_DEP_3)
	v_cndmask_b32_e32 v161, v164, v161, vcc_lo
	v_cndmask_b32_e64 v160, v160, 0xffffff8a, vcc_lo
	s_delay_alu instid0(VALU_DEP_3) | instskip(NEXT) | instid1(VALU_DEP_3)
	v_lshl_add_u32 v164, 0x100000, v162, -1
	v_lshrrev_b32_e32 v165, v162, v161
	v_lshlrev_b32_e64 v167, v162, 0x80000
	s_delay_alu instid0(VALU_DEP_4) | instskip(NEXT) | instid1(VALU_DEP_4)
	v_add_nc_u32_e32 v162, v162, v160
	v_and_b32_e32 v161, v164, v161
	s_delay_alu instid0(VALU_DEP_4) | instskip(NEXT) | instid1(VALU_DEP_2)
	v_bfe_u32 v166, v165, 20, 1
	v_cmp_eq_u32_e64 s13, v161, v167
	s_delay_alu instid0(VALU_DEP_2) | instskip(NEXT) | instid1(VALU_DEP_1)
	v_add_nc_u32_e32 v164, -1, v166
	v_cndmask_b32_e64 v161, 0, v164, s13
	v_lshrrev_b32_e32 v164, 23, v165
	s_mov_b32 s13, exec_lo
	s_delay_alu instid0(VALU_DEP_2) | instskip(NEXT) | instid1(VALU_DEP_2)
	v_add_nc_u32_e32 v161, v161, v165
	v_xor_b32_e32 v164, 1, v164
	s_delay_alu instid0(VALU_DEP_2) | instskip(NEXT) | instid1(VALU_DEP_1)
	v_and_b32_e32 v160, 0xfffff, v161
	v_add_nc_u32_e32 v161, v160, v165
                                        ; implicit-def: $vgpr160
	s_delay_alu instid0(VALU_DEP_3)
	v_cmpx_ne_u32_e64 v162, v164
	s_xor_b32 s13, exec_lo, s13
; %bb.3656:                             ;   in Loop: Header=BB4_3574 Depth=3
	s_delay_alu instid0(VALU_DEP_2) | instskip(SKIP_2) | instid1(VALU_DEP_2)
	v_cmp_lt_u32_e32 vcc_lo, 0xffffff, v161
	v_sub_nc_u32_e32 v160, v162, v164
	v_cndmask_b32_e64 v162, 0, 1, vcc_lo
	v_add_co_ci_u32_e32 v160, vcc_lo, 0, v160, vcc_lo
	s_delay_alu instid0(VALU_DEP_2)
	v_lshrrev_b32_e32 v161, v162, v161
; %bb.3657:                             ;   in Loop: Header=BB4_3574 Depth=3
	s_and_not1_saveexec_b32 s13, s13
; %bb.3658:                             ;   in Loop: Header=BB4_3574 Depth=3
	s_delay_alu instid0(VALU_DEP_1)
	v_bfe_u32 v160, v161, 23, 1
; %bb.3659:                             ;   in Loop: Header=BB4_3574 Depth=3
	s_or_b32 exec_lo, exec_lo, s13
	v_lshrrev_b32_e32 v161, 20, v161
	s_delay_alu instid0(VALU_DEP_2) | instskip(SKIP_2) | instid1(VALU_DEP_2)
	v_cmp_gt_i32_e32 vcc_lo, 16, v160
	v_lshrrev_b32_e32 v162, 24, v163
	v_min_i32_e32 v163, 15, v160
	v_dual_cndmask_b32 v161, 7, v161 :: v_dual_and_b32 v162, 0x80, v162
	s_delay_alu instid0(VALU_DEP_1) | instskip(SKIP_1) | instid1(VALU_DEP_2)
	v_or_b32_e32 v160, v160, v161
	v_and_b32_e32 v164, 7, v161
	v_cmp_ne_u32_e32 vcc_lo, 0, v160
	v_lshlrev_b32_e32 v163, 3, v163
	s_delay_alu instid0(VALU_DEP_1) | instskip(NEXT) | instid1(VALU_DEP_1)
	v_or3_b32 v161, v163, v162, v164
	v_cndmask_b32_e32 v160, 0, v161, vcc_lo
.LBB4_3660:                             ;   in Loop: Header=BB4_3574 Depth=3
	s_or_b32 exec_lo, exec_lo, s31
.LBB4_3661:                             ;   in Loop: Header=BB4_3574 Depth=3
	s_delay_alu instid0(SALU_CYCLE_1) | instskip(SKIP_3) | instid1(VALU_DEP_2)
	s_or_b32 exec_lo, exec_lo, s17
	v_lshrrev_b32_e32 v162, 24, v20
	v_lshrrev_b32_e32 v161, 24, v16
	s_and_b32 vcc_lo, exec_lo, s16
	v_cmp_lt_i16_e64 s13, 0x7f, v162
	s_cbranch_vccz .LBB4_3671
; %bb.3662:                             ;   in Loop: Header=BB4_3574 Depth=3
	s_mov_b32 s17, 0
                                        ; implicit-def: $sgpr31
	s_delay_alu instid0(VALU_DEP_1) | instskip(NEXT) | instid1(SALU_CYCLE_1)
	s_and_saveexec_b32 vcc_lo, s13
	s_xor_b32 s13, exec_lo, vcc_lo
	s_cbranch_execnz .LBB4_4548
; %bb.3663:                             ;   in Loop: Header=BB4_3574 Depth=3
	s_or_saveexec_b32 s13, s13
	v_mov_b32_e32 v163, s31
	s_xor_b32 exec_lo, exec_lo, s13
	s_cbranch_execnz .LBB4_4551
.LBB4_3664:                             ;   in Loop: Header=BB4_3574 Depth=3
	s_or_b32 exec_lo, exec_lo, s13
	s_and_saveexec_b32 s13, s17
	s_cbranch_execz .LBB4_3666
.LBB4_3665:                             ;   in Loop: Header=BB4_3574 Depth=3
	v_bfe_u32 v163, v20, 24, 3
	v_bfe_u32 v166, v20, 27, 4
	s_delay_alu instid0(VALU_DEP_2) | instskip(NEXT) | instid1(VALU_DEP_2)
	v_clz_i32_u32_e32 v164, v163
	v_cmp_eq_u32_e32 vcc_lo, 0, v166
	s_delay_alu instid0(VALU_DEP_2) | instskip(NEXT) | instid1(VALU_DEP_1)
	v_min_u32_e32 v164, 32, v164
	v_subrev_nc_u32_e32 v165, 28, v164
	v_sub_nc_u32_e32 v164, 29, v164
	s_delay_alu instid0(VALU_DEP_1) | instskip(NEXT) | instid1(VALU_DEP_1)
	v_dual_cndmask_b32 v164, v166, v164 :: v_dual_lshlrev_b32 v165, v165, v162
	v_and_b32_e32 v165, 7, v165
	s_delay_alu instid0(VALU_DEP_2) | instskip(NEXT) | instid1(VALU_DEP_2)
	v_lshl_add_u32 v164, v164, 23, 0x3b800000
	v_cndmask_b32_e32 v163, v163, v165, vcc_lo
	v_and_b32_e32 v165, 0x80000000, v20
	s_delay_alu instid0(VALU_DEP_2) | instskip(NEXT) | instid1(VALU_DEP_1)
	v_lshlrev_b32_e32 v163, 20, v163
	v_or3_b32 v163, v165, v164, v163
.LBB4_3666:                             ;   in Loop: Header=BB4_3574 Depth=3
	s_or_b32 exec_lo, exec_lo, s13
	s_mov_b32 s13, 0
	s_mov_b32 s31, exec_lo
                                        ; implicit-def: $sgpr17
	v_cmpx_lt_i16_e64 0x7f, v161
	s_xor_b32 s31, exec_lo, s31
	s_cbranch_execnz .LBB4_4552
; %bb.3667:                             ;   in Loop: Header=BB4_3574 Depth=3
	s_or_saveexec_b32 s31, s31
	v_mov_b32_e32 v164, s17
	s_xor_b32 exec_lo, exec_lo, s31
	s_cbranch_execnz .LBB4_4555
.LBB4_3668:                             ;   in Loop: Header=BB4_3574 Depth=3
	s_or_b32 exec_lo, exec_lo, s31
	s_and_saveexec_b32 s17, s13
	s_cbranch_execz .LBB4_3670
.LBB4_3669:                             ;   in Loop: Header=BB4_3574 Depth=3
	v_bfe_u32 v164, v16, 24, 3
	v_bfe_u32 v167, v16, 27, 4
	s_delay_alu instid0(VALU_DEP_2) | instskip(NEXT) | instid1(VALU_DEP_2)
	v_clz_i32_u32_e32 v165, v164
	v_cmp_eq_u32_e32 vcc_lo, 0, v167
	s_delay_alu instid0(VALU_DEP_2) | instskip(NEXT) | instid1(VALU_DEP_1)
	v_min_u32_e32 v165, 32, v165
	v_subrev_nc_u32_e32 v166, 28, v165
	v_sub_nc_u32_e32 v165, 29, v165
	s_delay_alu instid0(VALU_DEP_2) | instskip(NEXT) | instid1(VALU_DEP_1)
	v_lshlrev_b32_e32 v166, v166, v161
	v_dual_cndmask_b32 v165, v167, v165 :: v_dual_and_b32 v166, 7, v166
	s_delay_alu instid0(VALU_DEP_1) | instskip(NEXT) | instid1(VALU_DEP_2)
	v_lshl_add_u32 v165, v165, 23, 0x3b800000
	v_cndmask_b32_e32 v164, v164, v166, vcc_lo
	v_and_b32_e32 v166, 0x80000000, v16
	s_delay_alu instid0(VALU_DEP_2) | instskip(NEXT) | instid1(VALU_DEP_1)
	v_lshlrev_b32_e32 v164, 20, v164
	v_or3_b32 v164, v166, v165, v164
.LBB4_3670:                             ;   in Loop: Header=BB4_3574 Depth=3
	s_or_b32 exec_lo, exec_lo, s17
	s_delay_alu instid0(VALU_DEP_1) | instskip(SKIP_1) | instid1(VALU_DEP_1)
	v_dual_max_f32 v164, v164, v164 :: v_dual_max_f32 v163, v163, v163
	s_mov_b32 s13, 0
	v_max_f32_e32 v163, v163, v164
	s_branch .LBB4_3672
.LBB4_3671:                             ;   in Loop: Header=BB4_3574 Depth=3
	s_mov_b32 s13, -1
                                        ; implicit-def: $vgpr163
.LBB4_3672:                             ;   in Loop: Header=BB4_3574 Depth=3
	s_delay_alu instid0(SALU_CYCLE_1)
	s_and_b32 vcc_lo, exec_lo, s13
	s_cbranch_vccz .LBB4_3682
; %bb.3673:                             ;   in Loop: Header=BB4_3574 Depth=3
	s_mov_b32 s13, 0
	s_mov_b32 s31, exec_lo
                                        ; implicit-def: $sgpr17
	v_cmpx_lt_i16_e64 0x7f, v162
	s_xor_b32 s31, exec_lo, s31
	s_cbranch_execnz .LBB4_4556
; %bb.3674:                             ;   in Loop: Header=BB4_3574 Depth=3
	s_or_saveexec_b32 s31, s31
	v_mov_b32_e32 v163, s17
	s_xor_b32 exec_lo, exec_lo, s31
	s_cbranch_execnz .LBB4_4559
.LBB4_3675:                             ;   in Loop: Header=BB4_3574 Depth=3
	s_or_b32 exec_lo, exec_lo, s31
	s_and_saveexec_b32 s17, s13
	s_cbranch_execz .LBB4_3677
.LBB4_3676:                             ;   in Loop: Header=BB4_3574 Depth=3
	v_bfe_u32 v163, v20, 24, 3
	s_delay_alu instid0(VALU_DEP_1) | instskip(NEXT) | instid1(VALU_DEP_1)
	v_clz_i32_u32_e32 v164, v163
	v_min_u32_e32 v164, 32, v164
	s_delay_alu instid0(VALU_DEP_1) | instskip(SKIP_1) | instid1(VALU_DEP_2)
	v_subrev_nc_u32_e32 v165, 28, v164
	v_sub_nc_u32_e32 v164, 29, v164
	v_lshlrev_b32_e32 v162, v165, v162
	v_bfe_u32 v165, v20, 27, 4
	v_and_b32_e32 v20, 0x80000000, v20
	s_delay_alu instid0(VALU_DEP_3) | instskip(NEXT) | instid1(VALU_DEP_3)
	v_and_b32_e32 v162, 7, v162
	v_cmp_eq_u32_e32 vcc_lo, 0, v165
	v_cndmask_b32_e32 v164, v165, v164, vcc_lo
	s_delay_alu instid0(VALU_DEP_3) | instskip(NEXT) | instid1(VALU_DEP_2)
	v_cndmask_b32_e32 v162, v163, v162, vcc_lo
	v_lshl_add_u32 v163, v164, 23, 0x3b800000
	s_delay_alu instid0(VALU_DEP_2) | instskip(NEXT) | instid1(VALU_DEP_1)
	v_lshlrev_b32_e32 v162, 20, v162
	v_or3_b32 v163, v20, v163, v162
.LBB4_3677:                             ;   in Loop: Header=BB4_3574 Depth=3
	s_or_b32 exec_lo, exec_lo, s17
	s_mov_b32 s13, 0
	s_mov_b32 s31, exec_lo
                                        ; implicit-def: $sgpr17
	v_cmpx_lt_i16_e64 0x7f, v161
	s_xor_b32 s31, exec_lo, s31
	s_cbranch_execnz .LBB4_4560
; %bb.3678:                             ;   in Loop: Header=BB4_3574 Depth=3
	s_or_saveexec_b32 s31, s31
	v_mov_b32_e32 v20, s17
	s_xor_b32 exec_lo, exec_lo, s31
	s_cbranch_execnz .LBB4_4563
.LBB4_3679:                             ;   in Loop: Header=BB4_3574 Depth=3
	s_or_b32 exec_lo, exec_lo, s31
	s_and_saveexec_b32 s17, s13
	s_cbranch_execz .LBB4_3681
.LBB4_3680:                             ;   in Loop: Header=BB4_3574 Depth=3
	v_bfe_u32 v20, v16, 24, 3
	s_delay_alu instid0(VALU_DEP_1) | instskip(NEXT) | instid1(VALU_DEP_1)
	v_clz_i32_u32_e32 v162, v20
	v_min_u32_e32 v162, 32, v162
	s_delay_alu instid0(VALU_DEP_1) | instskip(SKIP_1) | instid1(VALU_DEP_2)
	v_subrev_nc_u32_e32 v164, 28, v162
	v_sub_nc_u32_e32 v162, 29, v162
	v_lshlrev_b32_e32 v161, v164, v161
	v_bfe_u32 v164, v16, 27, 4
	v_and_b32_e32 v16, 0x80000000, v16
	s_delay_alu instid0(VALU_DEP_2) | instskip(NEXT) | instid1(VALU_DEP_4)
	v_cmp_eq_u32_e32 vcc_lo, 0, v164
	v_dual_cndmask_b32 v162, v164, v162 :: v_dual_and_b32 v161, 7, v161
	s_delay_alu instid0(VALU_DEP_1) | instskip(NEXT) | instid1(VALU_DEP_2)
	v_cndmask_b32_e32 v20, v20, v161, vcc_lo
	v_lshl_add_u32 v161, v162, 23, 0x3b800000
	s_delay_alu instid0(VALU_DEP_2) | instskip(NEXT) | instid1(VALU_DEP_1)
	v_lshlrev_b32_e32 v20, 20, v20
	v_or3_b32 v20, v16, v161, v20
.LBB4_3681:                             ;   in Loop: Header=BB4_3574 Depth=3
	s_or_b32 exec_lo, exec_lo, s17
	s_delay_alu instid0(VALU_DEP_1) | instskip(SKIP_1) | instid1(VALU_DEP_1)
	v_max_f32_e32 v16, v20, v20
	v_max_f32_e32 v20, v163, v163
	v_min_f32_e32 v163, v20, v16
.LBB4_3682:                             ;   in Loop: Header=BB4_3574 Depth=3
	s_delay_alu instid0(VALU_DEP_1) | instskip(NEXT) | instid1(VALU_DEP_1)
	v_and_b32_e32 v16, 0x7f800000, v163
	v_cmp_ne_u32_e32 vcc_lo, 0x7f800000, v16
	v_mov_b32_e32 v16, 0x80
	s_and_saveexec_b32 s17, vcc_lo
	s_cbranch_execz .LBB4_3690
; %bb.3683:                             ;   in Loop: Header=BB4_3574 Depth=3
	v_mov_b32_e32 v16, 0
	s_mov_b32 s31, exec_lo
	v_cmpx_ne_u32_e32 0, v163
	s_cbranch_execz .LBB4_3689
; %bb.3684:                             ;   in Loop: Header=BB4_3574 Depth=3
	v_bfe_u32 v16, v163, 23, 8
	s_delay_alu instid0(VALU_DEP_1) | instskip(SKIP_1) | instid1(VALU_DEP_2)
	v_sub_nc_u32_e32 v161, 0x78, v16
	v_cmp_gt_u32_e32 vcc_lo, 0x79, v16
	v_dual_cndmask_b32 v161, 0, v161 :: v_dual_and_b32 v20, 0x7fffff, v163
	s_delay_alu instid0(VALU_DEP_1) | instskip(SKIP_2) | instid1(VALU_DEP_4)
	v_or_b32_e32 v162, 0x800000, v20
	v_cmp_eq_u32_e32 vcc_lo, 0, v16
	v_add_nc_u32_e32 v16, 0xffffff89, v16
	v_cndmask_b32_e64 v161, v161, 0x77, vcc_lo
	s_delay_alu instid0(VALU_DEP_4) | instskip(NEXT) | instid1(VALU_DEP_3)
	v_cndmask_b32_e32 v20, v162, v20, vcc_lo
	v_cndmask_b32_e64 v16, v16, 0xffffff8a, vcc_lo
	s_delay_alu instid0(VALU_DEP_3) | instskip(NEXT) | instid1(VALU_DEP_3)
	v_lshl_add_u32 v162, 0x100000, v161, -1
	v_lshrrev_b32_e32 v164, v161, v20
	v_lshlrev_b32_e64 v166, v161, 0x80000
	s_delay_alu instid0(VALU_DEP_4) | instskip(NEXT) | instid1(VALU_DEP_4)
	v_add_nc_u32_e32 v161, v161, v16
	v_and_b32_e32 v20, v162, v20
	s_delay_alu instid0(VALU_DEP_4) | instskip(NEXT) | instid1(VALU_DEP_2)
	v_bfe_u32 v165, v164, 20, 1
	v_cmp_eq_u32_e64 s13, v20, v166
	s_delay_alu instid0(VALU_DEP_2) | instskip(NEXT) | instid1(VALU_DEP_1)
	v_add_nc_u32_e32 v162, -1, v165
	v_cndmask_b32_e64 v20, 0, v162, s13
	v_lshrrev_b32_e32 v162, 23, v164
	s_mov_b32 s13, exec_lo
	s_delay_alu instid0(VALU_DEP_2) | instskip(NEXT) | instid1(VALU_DEP_2)
	v_add_nc_u32_e32 v20, v20, v164
	v_xor_b32_e32 v162, 1, v162
	s_delay_alu instid0(VALU_DEP_2) | instskip(NEXT) | instid1(VALU_DEP_1)
	v_and_b32_e32 v16, 0xfffff, v20
	v_add_nc_u32_e32 v20, v16, v164
                                        ; implicit-def: $vgpr16
	s_delay_alu instid0(VALU_DEP_3)
	v_cmpx_ne_u32_e64 v161, v162
	s_xor_b32 s13, exec_lo, s13
; %bb.3685:                             ;   in Loop: Header=BB4_3574 Depth=3
	s_delay_alu instid0(VALU_DEP_2) | instskip(SKIP_2) | instid1(VALU_DEP_2)
	v_cmp_lt_u32_e32 vcc_lo, 0xffffff, v20
	v_sub_nc_u32_e32 v16, v161, v162
	v_cndmask_b32_e64 v161, 0, 1, vcc_lo
	v_add_co_ci_u32_e32 v16, vcc_lo, 0, v16, vcc_lo
	s_delay_alu instid0(VALU_DEP_2)
	v_lshrrev_b32_e32 v20, v161, v20
; %bb.3686:                             ;   in Loop: Header=BB4_3574 Depth=3
	s_and_not1_saveexec_b32 s13, s13
; %bb.3687:                             ;   in Loop: Header=BB4_3574 Depth=3
	s_delay_alu instid0(VALU_DEP_1)
	v_bfe_u32 v16, v20, 23, 1
; %bb.3688:                             ;   in Loop: Header=BB4_3574 Depth=3
	s_or_b32 exec_lo, exec_lo, s13
	v_lshrrev_b32_e32 v20, 20, v20
	s_delay_alu instid0(VALU_DEP_2) | instskip(SKIP_2) | instid1(VALU_DEP_2)
	v_cmp_gt_i32_e32 vcc_lo, 16, v16
	v_lshrrev_b32_e32 v161, 24, v163
	v_min_i32_e32 v162, 15, v16
	v_dual_cndmask_b32 v20, 7, v20 :: v_dual_and_b32 v161, 0x80, v161
	s_delay_alu instid0(VALU_DEP_2) | instskip(NEXT) | instid1(VALU_DEP_2)
	v_lshlrev_b32_e32 v162, 3, v162
	v_and_b32_e32 v163, 7, v20
	v_or_b32_e32 v16, v16, v20
	s_delay_alu instid0(VALU_DEP_2) | instskip(NEXT) | instid1(VALU_DEP_2)
	v_or3_b32 v20, v162, v161, v163
	v_cmp_ne_u32_e32 vcc_lo, 0, v16
	s_delay_alu instid0(VALU_DEP_2)
	v_cndmask_b32_e32 v16, 0, v20, vcc_lo
.LBB4_3689:                             ;   in Loop: Header=BB4_3574 Depth=3
	s_or_b32 exec_lo, exec_lo, s31
.LBB4_3690:                             ;   in Loop: Header=BB4_3574 Depth=3
	s_delay_alu instid0(SALU_CYCLE_1) | instskip(SKIP_2) | instid1(VALU_DEP_1)
	s_or_b32 exec_lo, exec_lo, s17
	v_and_b32_e32 v20, 0xff, v21
	s_and_b32 vcc_lo, exec_lo, s16
	v_cmp_lt_i16_e64 s13, 0x7f, v20
	s_cbranch_vccz .LBB4_3700
; %bb.3691:                             ;   in Loop: Header=BB4_3574 Depth=3
	s_mov_b32 s17, 0
                                        ; implicit-def: $sgpr31
	s_delay_alu instid0(VALU_DEP_1) | instskip(NEXT) | instid1(SALU_CYCLE_1)
	s_and_saveexec_b32 vcc_lo, s13
	s_xor_b32 s13, exec_lo, vcc_lo
	s_cbranch_execnz .LBB4_4564
; %bb.3692:                             ;   in Loop: Header=BB4_3574 Depth=3
	s_or_saveexec_b32 s13, s13
	v_mov_b32_e32 v161, s31
	s_xor_b32 exec_lo, exec_lo, s13
	s_cbranch_execnz .LBB4_4567
.LBB4_3693:                             ;   in Loop: Header=BB4_3574 Depth=3
	s_or_b32 exec_lo, exec_lo, s13
	s_and_saveexec_b32 s13, s17
	s_cbranch_execz .LBB4_3695
.LBB4_3694:                             ;   in Loop: Header=BB4_3574 Depth=3
	v_bfe_u32 v164, v21, 3, 4
	v_lshlrev_b32_e32 v165, 24, v21
	s_delay_alu instid0(VALU_DEP_2) | instskip(SKIP_1) | instid1(VALU_DEP_1)
	v_cmp_eq_u32_e32 vcc_lo, 0, v164
	v_and_b32_e32 v161, 7, v21
	v_clz_i32_u32_e32 v162, v161
	s_delay_alu instid0(VALU_DEP_1) | instskip(NEXT) | instid1(VALU_DEP_1)
	v_min_u32_e32 v162, 32, v162
	v_subrev_nc_u32_e32 v163, 28, v162
	v_sub_nc_u32_e32 v162, 29, v162
	s_delay_alu instid0(VALU_DEP_1) | instskip(NEXT) | instid1(VALU_DEP_1)
	v_dual_cndmask_b32 v162, v164, v162 :: v_dual_lshlrev_b32 v163, v163, v21
	v_and_b32_e32 v163, 7, v163
	s_delay_alu instid0(VALU_DEP_2) | instskip(NEXT) | instid1(VALU_DEP_2)
	v_lshl_add_u32 v162, v162, 23, 0x3b800000
	v_cndmask_b32_e32 v161, v161, v163, vcc_lo
	v_and_b32_e32 v163, 0x80000000, v165
	s_delay_alu instid0(VALU_DEP_2) | instskip(NEXT) | instid1(VALU_DEP_1)
	v_lshlrev_b32_e32 v161, 20, v161
	v_or3_b32 v161, v163, v162, v161
.LBB4_3695:                             ;   in Loop: Header=BB4_3574 Depth=3
	s_or_b32 exec_lo, exec_lo, s13
	v_and_b32_e32 v163, 0xff, v17
	s_mov_b32 s13, 0
	s_mov_b32 s31, exec_lo
                                        ; implicit-def: $sgpr17
	s_delay_alu instid0(VALU_DEP_1)
	v_cmpx_lt_i16_e64 0x7f, v163
	s_xor_b32 s31, exec_lo, s31
	s_cbranch_execnz .LBB4_4568
; %bb.3696:                             ;   in Loop: Header=BB4_3574 Depth=3
	s_or_saveexec_b32 s31, s31
	v_mov_b32_e32 v162, s17
	s_xor_b32 exec_lo, exec_lo, s31
	s_cbranch_execnz .LBB4_4571
.LBB4_3697:                             ;   in Loop: Header=BB4_3574 Depth=3
	s_or_b32 exec_lo, exec_lo, s31
	s_and_saveexec_b32 s17, s13
	s_cbranch_execz .LBB4_3699
.LBB4_3698:                             ;   in Loop: Header=BB4_3574 Depth=3
	v_bfe_u32 v165, v17, 3, 4
	v_lshlrev_b32_e32 v166, 24, v17
	s_delay_alu instid0(VALU_DEP_2) | instskip(SKIP_1) | instid1(VALU_DEP_1)
	v_cmp_eq_u32_e32 vcc_lo, 0, v165
	v_and_b32_e32 v162, 7, v17
	v_clz_i32_u32_e32 v163, v162
	s_delay_alu instid0(VALU_DEP_1) | instskip(NEXT) | instid1(VALU_DEP_1)
	v_min_u32_e32 v163, 32, v163
	v_subrev_nc_u32_e32 v164, 28, v163
	v_sub_nc_u32_e32 v163, 29, v163
	s_delay_alu instid0(VALU_DEP_1) | instskip(NEXT) | instid1(VALU_DEP_1)
	v_dual_cndmask_b32 v163, v165, v163 :: v_dual_lshlrev_b32 v164, v164, v17
	v_and_b32_e32 v164, 7, v164
	s_delay_alu instid0(VALU_DEP_2) | instskip(NEXT) | instid1(VALU_DEP_2)
	v_lshl_add_u32 v163, v163, 23, 0x3b800000
	v_cndmask_b32_e32 v162, v162, v164, vcc_lo
	v_and_b32_e32 v164, 0x80000000, v166
	s_delay_alu instid0(VALU_DEP_2) | instskip(NEXT) | instid1(VALU_DEP_1)
	v_lshlrev_b32_e32 v162, 20, v162
	v_or3_b32 v162, v164, v163, v162
.LBB4_3699:                             ;   in Loop: Header=BB4_3574 Depth=3
	s_or_b32 exec_lo, exec_lo, s17
	s_delay_alu instid0(VALU_DEP_1) | instskip(SKIP_1) | instid1(VALU_DEP_1)
	v_dual_max_f32 v162, v162, v162 :: v_dual_max_f32 v161, v161, v161
	s_mov_b32 s13, 0
	v_max_f32_e32 v161, v161, v162
	s_branch .LBB4_3701
.LBB4_3700:                             ;   in Loop: Header=BB4_3574 Depth=3
	s_mov_b32 s13, -1
                                        ; implicit-def: $vgpr161
.LBB4_3701:                             ;   in Loop: Header=BB4_3574 Depth=3
	s_delay_alu instid0(SALU_CYCLE_1)
	s_and_b32 vcc_lo, exec_lo, s13
	s_cbranch_vccz .LBB4_3711
; %bb.3702:                             ;   in Loop: Header=BB4_3574 Depth=3
	s_mov_b32 s13, 0
	s_mov_b32 s31, exec_lo
                                        ; implicit-def: $sgpr17
	v_cmpx_lt_i16_e32 0x7f, v20
	s_xor_b32 s31, exec_lo, s31
	s_cbranch_execnz .LBB4_4572
; %bb.3703:                             ;   in Loop: Header=BB4_3574 Depth=3
	s_or_saveexec_b32 s31, s31
	v_mov_b32_e32 v161, s17
	s_xor_b32 exec_lo, exec_lo, s31
	s_cbranch_execnz .LBB4_4575
.LBB4_3704:                             ;   in Loop: Header=BB4_3574 Depth=3
	s_or_b32 exec_lo, exec_lo, s31
	s_and_saveexec_b32 s17, s13
	s_cbranch_execz .LBB4_3706
.LBB4_3705:                             ;   in Loop: Header=BB4_3574 Depth=3
	v_and_b32_e32 v20, 7, v21
	v_bfe_u32 v163, v21, 3, 4
	v_lshlrev_b32_e32 v164, 24, v21
	s_delay_alu instid0(VALU_DEP_3) | instskip(NEXT) | instid1(VALU_DEP_3)
	v_clz_i32_u32_e32 v161, v20
	v_cmp_eq_u32_e32 vcc_lo, 0, v163
	s_delay_alu instid0(VALU_DEP_2) | instskip(NEXT) | instid1(VALU_DEP_1)
	v_min_u32_e32 v161, 32, v161
	v_subrev_nc_u32_e32 v162, 28, v161
	v_sub_nc_u32_e32 v161, 29, v161
	s_delay_alu instid0(VALU_DEP_2) | instskip(NEXT) | instid1(VALU_DEP_1)
	v_lshlrev_b32_e32 v162, v162, v21
	v_dual_cndmask_b32 v161, v163, v161 :: v_dual_and_b32 v162, 7, v162
	s_delay_alu instid0(VALU_DEP_1) | instskip(NEXT) | instid1(VALU_DEP_2)
	v_lshl_add_u32 v161, v161, 23, 0x3b800000
	v_cndmask_b32_e32 v20, v20, v162, vcc_lo
	v_and_b32_e32 v162, 0x80000000, v164
	s_delay_alu instid0(VALU_DEP_2) | instskip(NEXT) | instid1(VALU_DEP_1)
	v_lshlrev_b32_e32 v20, 20, v20
	v_or3_b32 v161, v162, v161, v20
.LBB4_3706:                             ;   in Loop: Header=BB4_3574 Depth=3
	s_or_b32 exec_lo, exec_lo, s17
	v_and_b32_e32 v162, 0xff, v17
	s_mov_b32 s13, 0
	s_mov_b32 s31, exec_lo
                                        ; implicit-def: $sgpr17
	s_delay_alu instid0(VALU_DEP_1)
	v_cmpx_lt_i16_e64 0x7f, v162
	s_xor_b32 s31, exec_lo, s31
	s_cbranch_execnz .LBB4_4576
; %bb.3707:                             ;   in Loop: Header=BB4_3574 Depth=3
	s_or_saveexec_b32 s31, s31
	v_mov_b32_e32 v20, s17
	s_xor_b32 exec_lo, exec_lo, s31
	s_cbranch_execnz .LBB4_4579
.LBB4_3708:                             ;   in Loop: Header=BB4_3574 Depth=3
	s_or_b32 exec_lo, exec_lo, s31
	s_and_saveexec_b32 s17, s13
	s_cbranch_execz .LBB4_3710
.LBB4_3709:                             ;   in Loop: Header=BB4_3574 Depth=3
	v_and_b32_e32 v20, 7, v17
	v_bfe_u32 v164, v17, 3, 4
	s_delay_alu instid0(VALU_DEP_2) | instskip(NEXT) | instid1(VALU_DEP_2)
	v_clz_i32_u32_e32 v162, v20
	v_cmp_eq_u32_e32 vcc_lo, 0, v164
	s_delay_alu instid0(VALU_DEP_2) | instskip(NEXT) | instid1(VALU_DEP_1)
	v_min_u32_e32 v162, 32, v162
	v_subrev_nc_u32_e32 v163, 28, v162
	v_sub_nc_u32_e32 v162, 29, v162
	s_delay_alu instid0(VALU_DEP_1) | instskip(NEXT) | instid1(VALU_DEP_1)
	v_dual_cndmask_b32 v162, v164, v162 :: v_dual_lshlrev_b32 v163, v163, v17
	v_and_b32_e32 v163, 7, v163
	v_lshlrev_b32_e32 v165, 24, v17
	s_delay_alu instid0(VALU_DEP_3) | instskip(NEXT) | instid1(VALU_DEP_2)
	v_lshl_add_u32 v162, v162, 23, 0x3b800000
	v_dual_cndmask_b32 v20, v20, v163 :: v_dual_and_b32 v163, 0x80000000, v165
	s_delay_alu instid0(VALU_DEP_1) | instskip(NEXT) | instid1(VALU_DEP_1)
	v_lshlrev_b32_e32 v20, 20, v20
	v_or3_b32 v20, v163, v162, v20
.LBB4_3710:                             ;   in Loop: Header=BB4_3574 Depth=3
	s_or_b32 exec_lo, exec_lo, s17
	s_delay_alu instid0(VALU_DEP_1) | instskip(NEXT) | instid1(VALU_DEP_1)
	v_dual_max_f32 v20, v20, v20 :: v_dual_max_f32 v161, v161, v161
	v_min_f32_e32 v161, v161, v20
.LBB4_3711:                             ;   in Loop: Header=BB4_3574 Depth=3
	s_delay_alu instid0(VALU_DEP_1) | instskip(NEXT) | instid1(VALU_DEP_1)
	v_and_b32_e32 v20, 0x7f800000, v161
	v_cmp_ne_u32_e32 vcc_lo, 0x7f800000, v20
	v_mov_b32_e32 v20, 0x80
	s_and_saveexec_b32 s17, vcc_lo
	s_cbranch_execz .LBB4_3719
; %bb.3712:                             ;   in Loop: Header=BB4_3574 Depth=3
	v_mov_b32_e32 v20, 0
	s_mov_b32 s31, exec_lo
	v_cmpx_ne_u32_e32 0, v161
	s_cbranch_execz .LBB4_3718
; %bb.3713:                             ;   in Loop: Header=BB4_3574 Depth=3
	v_bfe_u32 v20, v161, 23, 8
	s_delay_alu instid0(VALU_DEP_1) | instskip(SKIP_1) | instid1(VALU_DEP_2)
	v_sub_nc_u32_e32 v163, 0x78, v20
	v_cmp_gt_u32_e32 vcc_lo, 0x79, v20
	v_dual_cndmask_b32 v163, 0, v163 :: v_dual_and_b32 v162, 0x7fffff, v161
	s_delay_alu instid0(VALU_DEP_1) | instskip(SKIP_2) | instid1(VALU_DEP_4)
	v_or_b32_e32 v164, 0x800000, v162
	v_cmp_eq_u32_e32 vcc_lo, 0, v20
	v_add_nc_u32_e32 v20, 0xffffff89, v20
	v_cndmask_b32_e64 v163, v163, 0x77, vcc_lo
	s_delay_alu instid0(VALU_DEP_2) | instskip(SKIP_1) | instid1(VALU_DEP_3)
	v_cndmask_b32_e64 v20, v20, 0xffffff8a, vcc_lo
	v_cndmask_b32_e32 v162, v164, v162, vcc_lo
	v_lshl_add_u32 v164, 0x100000, v163, -1
	v_lshlrev_b32_e64 v167, v163, 0x80000
	s_delay_alu instid0(VALU_DEP_3) | instskip(SKIP_1) | instid1(VALU_DEP_4)
	v_lshrrev_b32_e32 v165, v163, v162
	v_add_nc_u32_e32 v163, v163, v20
	v_and_b32_e32 v162, v164, v162
	s_delay_alu instid0(VALU_DEP_3) | instskip(NEXT) | instid1(VALU_DEP_2)
	v_bfe_u32 v166, v165, 20, 1
	v_cmp_eq_u32_e64 s13, v162, v167
	s_delay_alu instid0(VALU_DEP_2) | instskip(NEXT) | instid1(VALU_DEP_1)
	v_add_nc_u32_e32 v164, -1, v166
	v_cndmask_b32_e64 v162, 0, v164, s13
	v_lshrrev_b32_e32 v164, 23, v165
	s_mov_b32 s13, exec_lo
	s_delay_alu instid0(VALU_DEP_2) | instskip(NEXT) | instid1(VALU_DEP_2)
	v_add_nc_u32_e32 v162, v162, v165
	v_xor_b32_e32 v164, 1, v164
	s_delay_alu instid0(VALU_DEP_2) | instskip(NEXT) | instid1(VALU_DEP_1)
	v_and_b32_e32 v20, 0xfffff, v162
	v_add_nc_u32_e32 v162, v20, v165
                                        ; implicit-def: $vgpr20
	s_delay_alu instid0(VALU_DEP_3)
	v_cmpx_ne_u32_e64 v163, v164
	s_xor_b32 s13, exec_lo, s13
; %bb.3714:                             ;   in Loop: Header=BB4_3574 Depth=3
	s_delay_alu instid0(VALU_DEP_2) | instskip(SKIP_2) | instid1(VALU_DEP_2)
	v_cmp_lt_u32_e32 vcc_lo, 0xffffff, v162
	v_sub_nc_u32_e32 v20, v163, v164
	v_cndmask_b32_e64 v163, 0, 1, vcc_lo
	v_add_co_ci_u32_e32 v20, vcc_lo, 0, v20, vcc_lo
	s_delay_alu instid0(VALU_DEP_2)
	v_lshrrev_b32_e32 v162, v163, v162
; %bb.3715:                             ;   in Loop: Header=BB4_3574 Depth=3
	s_and_not1_saveexec_b32 s13, s13
; %bb.3716:                             ;   in Loop: Header=BB4_3574 Depth=3
	s_delay_alu instid0(VALU_DEP_1)
	v_bfe_u32 v20, v162, 23, 1
; %bb.3717:                             ;   in Loop: Header=BB4_3574 Depth=3
	s_or_b32 exec_lo, exec_lo, s13
	v_lshrrev_b32_e32 v162, 20, v162
	s_delay_alu instid0(VALU_DEP_2) | instskip(SKIP_2) | instid1(VALU_DEP_2)
	v_cmp_gt_i32_e32 vcc_lo, 16, v20
	v_lshrrev_b32_e32 v161, 24, v161
	v_min_i32_e32 v163, 15, v20
	v_dual_cndmask_b32 v162, 7, v162 :: v_dual_and_b32 v161, 0x80, v161
	s_delay_alu instid0(VALU_DEP_1) | instskip(SKIP_1) | instid1(VALU_DEP_2)
	v_or_b32_e32 v20, v20, v162
	v_and_b32_e32 v164, 7, v162
	v_cmp_ne_u32_e32 vcc_lo, 0, v20
	v_lshlrev_b32_e32 v163, 3, v163
	s_delay_alu instid0(VALU_DEP_1) | instskip(NEXT) | instid1(VALU_DEP_1)
	v_or3_b32 v161, v163, v161, v164
	v_cndmask_b32_e32 v20, 0, v161, vcc_lo
.LBB4_3718:                             ;   in Loop: Header=BB4_3574 Depth=3
	s_or_b32 exec_lo, exec_lo, s31
.LBB4_3719:                             ;   in Loop: Header=BB4_3574 Depth=3
	s_delay_alu instid0(SALU_CYCLE_1) | instskip(SKIP_3) | instid1(VALU_DEP_2)
	s_or_b32 exec_lo, exec_lo, s17
	v_lshrrev_b16 v162, 8, v21
	v_lshrrev_b16 v161, 8, v17
	s_and_b32 vcc_lo, exec_lo, s16
	v_cmp_lt_i16_e64 s13, 0x7f, v162
	s_cbranch_vccz .LBB4_3729
; %bb.3720:                             ;   in Loop: Header=BB4_3574 Depth=3
	s_mov_b32 s17, 0
                                        ; implicit-def: $sgpr31
	s_delay_alu instid0(VALU_DEP_1) | instskip(NEXT) | instid1(SALU_CYCLE_1)
	s_and_saveexec_b32 vcc_lo, s13
	s_xor_b32 s13, exec_lo, vcc_lo
	s_cbranch_execnz .LBB4_4580
; %bb.3721:                             ;   in Loop: Header=BB4_3574 Depth=3
	s_or_saveexec_b32 s13, s13
	v_mov_b32_e32 v163, s31
	s_xor_b32 exec_lo, exec_lo, s13
	s_cbranch_execnz .LBB4_4583
.LBB4_3722:                             ;   in Loop: Header=BB4_3574 Depth=3
	s_or_b32 exec_lo, exec_lo, s13
	s_and_saveexec_b32 s13, s17
	s_cbranch_execz .LBB4_3724
.LBB4_3723:                             ;   in Loop: Header=BB4_3574 Depth=3
	v_and_b32_e32 v163, 0xffff, v162
	s_delay_alu instid0(VALU_DEP_1) | instskip(NEXT) | instid1(VALU_DEP_1)
	v_and_b32_e32 v164, 7, v163
	v_clz_i32_u32_e32 v165, v164
	s_delay_alu instid0(VALU_DEP_1) | instskip(NEXT) | instid1(VALU_DEP_1)
	v_min_u32_e32 v165, 32, v165
	v_subrev_nc_u32_e32 v166, 28, v165
	v_sub_nc_u32_e32 v165, 29, v165
	s_delay_alu instid0(VALU_DEP_2) | instskip(SKIP_1) | instid1(VALU_DEP_2)
	v_lshlrev_b32_e32 v166, v166, v163
	v_bfe_u32 v163, v163, 3, 4
	v_and_b32_e32 v166, 7, v166
	s_delay_alu instid0(VALU_DEP_2) | instskip(SKIP_1) | instid1(VALU_DEP_3)
	v_cmp_eq_u32_e32 vcc_lo, 0, v163
	v_cndmask_b32_e32 v163, v163, v165, vcc_lo
	v_dual_cndmask_b32 v164, v164, v166 :: v_dual_lshlrev_b32 v167, 16, v21
	s_delay_alu instid0(VALU_DEP_2) | instskip(NEXT) | instid1(VALU_DEP_2)
	v_lshl_add_u32 v163, v163, 23, 0x3b800000
	v_and_b32_e32 v165, 0x80000000, v167
	s_delay_alu instid0(VALU_DEP_3) | instskip(NEXT) | instid1(VALU_DEP_1)
	v_lshlrev_b32_e32 v164, 20, v164
	v_or3_b32 v163, v165, v163, v164
.LBB4_3724:                             ;   in Loop: Header=BB4_3574 Depth=3
	s_or_b32 exec_lo, exec_lo, s13
	s_mov_b32 s13, 0
	s_mov_b32 s31, exec_lo
                                        ; implicit-def: $sgpr17
	v_cmpx_lt_i16_e64 0x7f, v161
	s_xor_b32 s31, exec_lo, s31
	s_cbranch_execnz .LBB4_4584
; %bb.3725:                             ;   in Loop: Header=BB4_3574 Depth=3
	s_or_saveexec_b32 s31, s31
	v_mov_b32_e32 v164, s17
	s_xor_b32 exec_lo, exec_lo, s31
	s_cbranch_execnz .LBB4_4587
.LBB4_3726:                             ;   in Loop: Header=BB4_3574 Depth=3
	s_or_b32 exec_lo, exec_lo, s31
	s_and_saveexec_b32 s17, s13
	s_cbranch_execz .LBB4_3728
.LBB4_3727:                             ;   in Loop: Header=BB4_3574 Depth=3
	v_and_b32_e32 v164, 0xffff, v161
	v_lshlrev_b32_e32 v176, 16, v17
	s_delay_alu instid0(VALU_DEP_2) | instskip(NEXT) | instid1(VALU_DEP_1)
	v_and_b32_e32 v165, 7, v164
	v_clz_i32_u32_e32 v166, v165
	s_delay_alu instid0(VALU_DEP_1) | instskip(NEXT) | instid1(VALU_DEP_1)
	v_min_u32_e32 v166, 32, v166
	v_subrev_nc_u32_e32 v167, 28, v166
	v_sub_nc_u32_e32 v166, 29, v166
	s_delay_alu instid0(VALU_DEP_2) | instskip(SKIP_1) | instid1(VALU_DEP_2)
	v_lshlrev_b32_e32 v167, v167, v164
	v_bfe_u32 v164, v164, 3, 4
	v_and_b32_e32 v167, 7, v167
	s_delay_alu instid0(VALU_DEP_2) | instskip(NEXT) | instid1(VALU_DEP_2)
	v_cmp_eq_u32_e32 vcc_lo, 0, v164
	v_dual_cndmask_b32 v164, v164, v166 :: v_dual_cndmask_b32 v165, v165, v167
	v_and_b32_e32 v166, 0x80000000, v176
	s_delay_alu instid0(VALU_DEP_2) | instskip(NEXT) | instid1(VALU_DEP_3)
	v_lshl_add_u32 v164, v164, 23, 0x3b800000
	v_lshlrev_b32_e32 v165, 20, v165
	s_delay_alu instid0(VALU_DEP_1)
	v_or3_b32 v164, v166, v164, v165
.LBB4_3728:                             ;   in Loop: Header=BB4_3574 Depth=3
	s_or_b32 exec_lo, exec_lo, s17
	s_delay_alu instid0(VALU_DEP_1) | instskip(SKIP_1) | instid1(VALU_DEP_1)
	v_dual_max_f32 v164, v164, v164 :: v_dual_max_f32 v163, v163, v163
	s_mov_b32 s13, 0
	v_max_f32_e32 v163, v163, v164
	s_branch .LBB4_3730
.LBB4_3729:                             ;   in Loop: Header=BB4_3574 Depth=3
	s_mov_b32 s13, -1
                                        ; implicit-def: $vgpr163
.LBB4_3730:                             ;   in Loop: Header=BB4_3574 Depth=3
	s_delay_alu instid0(SALU_CYCLE_1)
	s_and_b32 vcc_lo, exec_lo, s13
	s_cbranch_vccz .LBB4_3740
; %bb.3731:                             ;   in Loop: Header=BB4_3574 Depth=3
	s_mov_b32 s13, 0
	s_mov_b32 s31, exec_lo
                                        ; implicit-def: $sgpr17
	v_cmpx_lt_i16_e64 0x7f, v162
	s_xor_b32 s31, exec_lo, s31
	s_cbranch_execnz .LBB4_4588
; %bb.3732:                             ;   in Loop: Header=BB4_3574 Depth=3
	s_or_saveexec_b32 s31, s31
	v_mov_b32_e32 v163, s17
	s_xor_b32 exec_lo, exec_lo, s31
	s_cbranch_execnz .LBB4_4591
.LBB4_3733:                             ;   in Loop: Header=BB4_3574 Depth=3
	s_or_b32 exec_lo, exec_lo, s31
	s_and_saveexec_b32 s17, s13
	s_cbranch_execz .LBB4_3735
.LBB4_3734:                             ;   in Loop: Header=BB4_3574 Depth=3
	v_and_b32_e32 v162, 0xffff, v162
	v_lshlrev_b32_e32 v166, 16, v21
	s_delay_alu instid0(VALU_DEP_2) | instskip(NEXT) | instid1(VALU_DEP_1)
	v_and_b32_e32 v163, 7, v162
	v_clz_i32_u32_e32 v164, v163
	s_delay_alu instid0(VALU_DEP_1) | instskip(NEXT) | instid1(VALU_DEP_1)
	v_min_u32_e32 v164, 32, v164
	v_subrev_nc_u32_e32 v165, 28, v164
	v_sub_nc_u32_e32 v164, 29, v164
	s_delay_alu instid0(VALU_DEP_2) | instskip(SKIP_1) | instid1(VALU_DEP_2)
	v_lshlrev_b32_e32 v165, v165, v162
	v_bfe_u32 v162, v162, 3, 4
	v_and_b32_e32 v165, 7, v165
	s_delay_alu instid0(VALU_DEP_2) | instskip(NEXT) | instid1(VALU_DEP_2)
	v_cmp_eq_u32_e32 vcc_lo, 0, v162
	v_dual_cndmask_b32 v162, v162, v164 :: v_dual_cndmask_b32 v163, v163, v165
	v_and_b32_e32 v164, 0x80000000, v166
	s_delay_alu instid0(VALU_DEP_2) | instskip(NEXT) | instid1(VALU_DEP_3)
	v_lshl_add_u32 v162, v162, 23, 0x3b800000
	v_lshlrev_b32_e32 v163, 20, v163
	s_delay_alu instid0(VALU_DEP_1)
	v_or3_b32 v163, v164, v162, v163
.LBB4_3735:                             ;   in Loop: Header=BB4_3574 Depth=3
	s_or_b32 exec_lo, exec_lo, s17
	s_mov_b32 s13, 0
	s_mov_b32 s31, exec_lo
                                        ; implicit-def: $sgpr17
	v_cmpx_lt_i16_e64 0x7f, v161
	s_xor_b32 s31, exec_lo, s31
	s_cbranch_execnz .LBB4_4592
; %bb.3736:                             ;   in Loop: Header=BB4_3574 Depth=3
	s_or_saveexec_b32 s31, s31
	v_mov_b32_e32 v162, s17
	s_xor_b32 exec_lo, exec_lo, s31
	s_cbranch_execnz .LBB4_4595
.LBB4_3737:                             ;   in Loop: Header=BB4_3574 Depth=3
	s_or_b32 exec_lo, exec_lo, s31
	s_and_saveexec_b32 s17, s13
	s_cbranch_execz .LBB4_3739
.LBB4_3738:                             ;   in Loop: Header=BB4_3574 Depth=3
	v_and_b32_e32 v161, 0xffff, v161
	v_lshlrev_b32_e32 v166, 16, v17
	s_delay_alu instid0(VALU_DEP_2) | instskip(NEXT) | instid1(VALU_DEP_1)
	v_and_b32_e32 v162, 7, v161
	v_clz_i32_u32_e32 v164, v162
	s_delay_alu instid0(VALU_DEP_1) | instskip(NEXT) | instid1(VALU_DEP_1)
	v_min_u32_e32 v164, 32, v164
	v_subrev_nc_u32_e32 v165, 28, v164
	v_sub_nc_u32_e32 v164, 29, v164
	s_delay_alu instid0(VALU_DEP_2) | instskip(SKIP_1) | instid1(VALU_DEP_2)
	v_lshlrev_b32_e32 v165, v165, v161
	v_bfe_u32 v161, v161, 3, 4
	v_and_b32_e32 v165, 7, v165
	s_delay_alu instid0(VALU_DEP_2) | instskip(NEXT) | instid1(VALU_DEP_2)
	v_cmp_eq_u32_e32 vcc_lo, 0, v161
	v_dual_cndmask_b32 v161, v161, v164 :: v_dual_cndmask_b32 v162, v162, v165
	v_and_b32_e32 v164, 0x80000000, v166
	s_delay_alu instid0(VALU_DEP_2) | instskip(NEXT) | instid1(VALU_DEP_3)
	v_lshl_add_u32 v161, v161, 23, 0x3b800000
	v_lshlrev_b32_e32 v162, 20, v162
	s_delay_alu instid0(VALU_DEP_1)
	v_or3_b32 v162, v164, v161, v162
.LBB4_3739:                             ;   in Loop: Header=BB4_3574 Depth=3
	s_or_b32 exec_lo, exec_lo, s17
	s_delay_alu instid0(VALU_DEP_1) | instskip(NEXT) | instid1(VALU_DEP_1)
	v_dual_max_f32 v161, v162, v162 :: v_dual_max_f32 v162, v163, v163
	v_min_f32_e32 v163, v162, v161
.LBB4_3740:                             ;   in Loop: Header=BB4_3574 Depth=3
	s_delay_alu instid0(VALU_DEP_1) | instskip(NEXT) | instid1(VALU_DEP_1)
	v_and_b32_e32 v161, 0x7f800000, v163
	v_cmp_ne_u32_e32 vcc_lo, 0x7f800000, v161
	v_mov_b32_e32 v161, 0x80
	s_and_saveexec_b32 s17, vcc_lo
	s_cbranch_execz .LBB4_3748
; %bb.3741:                             ;   in Loop: Header=BB4_3574 Depth=3
	v_mov_b32_e32 v161, 0
	s_mov_b32 s31, exec_lo
	v_cmpx_ne_u32_e32 0, v163
	s_cbranch_execz .LBB4_3747
; %bb.3742:                             ;   in Loop: Header=BB4_3574 Depth=3
	v_bfe_u32 v161, v163, 23, 8
	v_and_b32_e32 v162, 0x7fffff, v163
	s_delay_alu instid0(VALU_DEP_2) | instskip(SKIP_1) | instid1(VALU_DEP_3)
	v_sub_nc_u32_e32 v164, 0x78, v161
	v_cmp_gt_u32_e32 vcc_lo, 0x79, v161
	v_or_b32_e32 v165, 0x800000, v162
	s_delay_alu instid0(VALU_DEP_3) | instskip(SKIP_2) | instid1(VALU_DEP_3)
	v_cndmask_b32_e32 v164, 0, v164, vcc_lo
	v_cmp_eq_u32_e32 vcc_lo, 0, v161
	v_add_nc_u32_e32 v161, 0xffffff89, v161
	v_cndmask_b32_e64 v164, v164, 0x77, vcc_lo
	v_cndmask_b32_e32 v162, v165, v162, vcc_lo
	s_delay_alu instid0(VALU_DEP_3) | instskip(NEXT) | instid1(VALU_DEP_3)
	v_cndmask_b32_e64 v161, v161, 0xffffff8a, vcc_lo
	v_lshl_add_u32 v165, 0x100000, v164, -1
	s_delay_alu instid0(VALU_DEP_3) | instskip(SKIP_1) | instid1(VALU_DEP_4)
	v_lshrrev_b32_e32 v166, v164, v162
	v_lshlrev_b32_e64 v176, v164, 0x80000
	v_add_nc_u32_e32 v164, v164, v161
	s_delay_alu instid0(VALU_DEP_4) | instskip(NEXT) | instid1(VALU_DEP_4)
	v_and_b32_e32 v162, v165, v162
	v_bfe_u32 v167, v166, 20, 1
	s_delay_alu instid0(VALU_DEP_2) | instskip(NEXT) | instid1(VALU_DEP_2)
	v_cmp_eq_u32_e64 s13, v162, v176
	v_add_nc_u32_e32 v165, -1, v167
	s_delay_alu instid0(VALU_DEP_1) | instskip(SKIP_2) | instid1(VALU_DEP_2)
	v_cndmask_b32_e64 v162, 0, v165, s13
	v_lshrrev_b32_e32 v165, 23, v166
	s_mov_b32 s13, exec_lo
	v_add_nc_u32_e32 v162, v162, v166
	s_delay_alu instid0(VALU_DEP_2) | instskip(NEXT) | instid1(VALU_DEP_2)
	v_xor_b32_e32 v165, 1, v165
	v_and_b32_e32 v161, 0xfffff, v162
	s_delay_alu instid0(VALU_DEP_1) | instskip(NEXT) | instid1(VALU_DEP_3)
	v_add_nc_u32_e32 v162, v161, v166
                                        ; implicit-def: $vgpr161
	v_cmpx_ne_u32_e64 v164, v165
	s_xor_b32 s13, exec_lo, s13
; %bb.3743:                             ;   in Loop: Header=BB4_3574 Depth=3
	s_delay_alu instid0(VALU_DEP_2) | instskip(SKIP_2) | instid1(VALU_DEP_2)
	v_cmp_lt_u32_e32 vcc_lo, 0xffffff, v162
	v_sub_nc_u32_e32 v161, v164, v165
	v_cndmask_b32_e64 v164, 0, 1, vcc_lo
	v_add_co_ci_u32_e32 v161, vcc_lo, 0, v161, vcc_lo
	s_delay_alu instid0(VALU_DEP_2)
	v_lshrrev_b32_e32 v162, v164, v162
; %bb.3744:                             ;   in Loop: Header=BB4_3574 Depth=3
	s_and_not1_saveexec_b32 s13, s13
; %bb.3745:                             ;   in Loop: Header=BB4_3574 Depth=3
	s_delay_alu instid0(VALU_DEP_1)
	v_bfe_u32 v161, v162, 23, 1
; %bb.3746:                             ;   in Loop: Header=BB4_3574 Depth=3
	s_or_b32 exec_lo, exec_lo, s13
	v_lshrrev_b32_e32 v162, 20, v162
	s_delay_alu instid0(VALU_DEP_2) | instskip(SKIP_2) | instid1(VALU_DEP_2)
	v_cmp_gt_i32_e32 vcc_lo, 16, v161
	v_lshrrev_b32_e32 v163, 24, v163
	v_min_i32_e32 v164, 15, v161
	v_dual_cndmask_b32 v162, 7, v162 :: v_dual_and_b32 v163, 0x80, v163
	s_delay_alu instid0(VALU_DEP_1) | instskip(SKIP_1) | instid1(VALU_DEP_2)
	v_or_b32_e32 v161, v161, v162
	v_and_b32_e32 v165, 7, v162
	v_cmp_ne_u32_e32 vcc_lo, 0, v161
	v_lshlrev_b32_e32 v164, 3, v164
	s_delay_alu instid0(VALU_DEP_1) | instskip(NEXT) | instid1(VALU_DEP_1)
	v_or3_b32 v162, v164, v163, v165
	v_cndmask_b32_e32 v161, 0, v162, vcc_lo
.LBB4_3747:                             ;   in Loop: Header=BB4_3574 Depth=3
	s_or_b32 exec_lo, exec_lo, s31
.LBB4_3748:                             ;   in Loop: Header=BB4_3574 Depth=3
	s_delay_alu instid0(SALU_CYCLE_1) | instskip(SKIP_3) | instid1(VALU_DEP_2)
	s_or_b32 exec_lo, exec_lo, s17
	v_lshrrev_b32_e32 v163, 16, v21
	v_lshrrev_b32_e32 v162, 16, v17
	s_and_b32 vcc_lo, exec_lo, s16
	v_and_b32_e32 v164, 0xff, v163
	s_delay_alu instid0(VALU_DEP_1)
	v_cmp_lt_i16_e64 s13, 0x7f, v164
	s_cbranch_vccz .LBB4_3758
; %bb.3749:                             ;   in Loop: Header=BB4_3574 Depth=3
	s_mov_b32 s17, 0
                                        ; implicit-def: $sgpr31
	s_delay_alu instid0(VALU_DEP_1) | instskip(NEXT) | instid1(SALU_CYCLE_1)
	s_and_saveexec_b32 vcc_lo, s13
	s_xor_b32 s13, exec_lo, vcc_lo
	s_cbranch_execnz .LBB4_4596
; %bb.3750:                             ;   in Loop: Header=BB4_3574 Depth=3
	s_or_saveexec_b32 s13, s13
	v_mov_b32_e32 v165, s31
	s_xor_b32 exec_lo, exec_lo, s13
	s_cbranch_execnz .LBB4_4599
.LBB4_3751:                             ;   in Loop: Header=BB4_3574 Depth=3
	s_or_b32 exec_lo, exec_lo, s13
	s_and_saveexec_b32 s13, s17
	s_cbranch_execz .LBB4_3753
.LBB4_3752:                             ;   in Loop: Header=BB4_3574 Depth=3
	v_bfe_u32 v165, v21, 16, 3
	v_bfe_u32 v176, v21, 19, 4
	v_lshlrev_b32_e32 v177, 24, v163
	s_delay_alu instid0(VALU_DEP_3) | instskip(NEXT) | instid1(VALU_DEP_3)
	v_clz_i32_u32_e32 v166, v165
	v_cmp_eq_u32_e32 vcc_lo, 0, v176
	s_delay_alu instid0(VALU_DEP_2) | instskip(NEXT) | instid1(VALU_DEP_1)
	v_min_u32_e32 v166, 32, v166
	v_subrev_nc_u32_e32 v167, 28, v166
	v_sub_nc_u32_e32 v166, 29, v166
	s_delay_alu instid0(VALU_DEP_1) | instskip(NEXT) | instid1(VALU_DEP_1)
	v_dual_cndmask_b32 v166, v176, v166 :: v_dual_lshlrev_b32 v167, v167, v163
	v_and_b32_e32 v167, 7, v167
	s_delay_alu instid0(VALU_DEP_2) | instskip(NEXT) | instid1(VALU_DEP_2)
	v_lshl_add_u32 v166, v166, 23, 0x3b800000
	v_cndmask_b32_e32 v165, v165, v167, vcc_lo
	v_and_b32_e32 v167, 0x80000000, v177
	s_delay_alu instid0(VALU_DEP_2) | instskip(NEXT) | instid1(VALU_DEP_1)
	v_lshlrev_b32_e32 v165, 20, v165
	v_or3_b32 v165, v167, v166, v165
.LBB4_3753:                             ;   in Loop: Header=BB4_3574 Depth=3
	s_or_b32 exec_lo, exec_lo, s13
	v_and_b32_e32 v167, 0xff, v162
	s_mov_b32 s13, 0
	s_mov_b32 s31, exec_lo
                                        ; implicit-def: $sgpr17
	s_delay_alu instid0(VALU_DEP_1)
	v_cmpx_lt_i16_e64 0x7f, v167
	s_xor_b32 s31, exec_lo, s31
	s_cbranch_execnz .LBB4_4600
; %bb.3754:                             ;   in Loop: Header=BB4_3574 Depth=3
	s_or_saveexec_b32 s31, s31
	v_mov_b32_e32 v166, s17
	s_xor_b32 exec_lo, exec_lo, s31
	s_cbranch_execnz .LBB4_4603
.LBB4_3755:                             ;   in Loop: Header=BB4_3574 Depth=3
	s_or_b32 exec_lo, exec_lo, s31
	s_and_saveexec_b32 s17, s13
	s_cbranch_execz .LBB4_3757
.LBB4_3756:                             ;   in Loop: Header=BB4_3574 Depth=3
	v_bfe_u32 v166, v17, 16, 3
	v_bfe_u32 v177, v17, 19, 4
	v_lshlrev_b32_e32 v178, 24, v162
	s_delay_alu instid0(VALU_DEP_3) | instskip(NEXT) | instid1(VALU_DEP_3)
	v_clz_i32_u32_e32 v167, v166
	v_cmp_eq_u32_e32 vcc_lo, 0, v177
	s_delay_alu instid0(VALU_DEP_2) | instskip(NEXT) | instid1(VALU_DEP_1)
	v_min_u32_e32 v167, 32, v167
	v_subrev_nc_u32_e32 v176, 28, v167
	v_sub_nc_u32_e32 v167, 29, v167
	s_delay_alu instid0(VALU_DEP_1) | instskip(NEXT) | instid1(VALU_DEP_1)
	v_dual_cndmask_b32 v167, v177, v167 :: v_dual_lshlrev_b32 v176, v176, v162
	v_and_b32_e32 v176, 7, v176
	s_delay_alu instid0(VALU_DEP_2) | instskip(NEXT) | instid1(VALU_DEP_2)
	v_lshl_add_u32 v167, v167, 23, 0x3b800000
	v_cndmask_b32_e32 v166, v166, v176, vcc_lo
	v_and_b32_e32 v176, 0x80000000, v178
	s_delay_alu instid0(VALU_DEP_2) | instskip(NEXT) | instid1(VALU_DEP_1)
	v_lshlrev_b32_e32 v166, 20, v166
	v_or3_b32 v166, v176, v167, v166
.LBB4_3757:                             ;   in Loop: Header=BB4_3574 Depth=3
	s_or_b32 exec_lo, exec_lo, s17
	s_delay_alu instid0(VALU_DEP_1) | instskip(SKIP_1) | instid1(VALU_DEP_1)
	v_dual_max_f32 v166, v166, v166 :: v_dual_max_f32 v165, v165, v165
	s_mov_b32 s13, 0
	v_max_f32_e32 v165, v165, v166
	s_branch .LBB4_3759
.LBB4_3758:                             ;   in Loop: Header=BB4_3574 Depth=3
	s_mov_b32 s13, -1
                                        ; implicit-def: $vgpr165
.LBB4_3759:                             ;   in Loop: Header=BB4_3574 Depth=3
	s_delay_alu instid0(SALU_CYCLE_1)
	s_and_b32 vcc_lo, exec_lo, s13
	s_cbranch_vccz .LBB4_3769
; %bb.3760:                             ;   in Loop: Header=BB4_3574 Depth=3
	s_mov_b32 s13, 0
	s_mov_b32 s31, exec_lo
                                        ; implicit-def: $sgpr17
	v_cmpx_lt_i16_e64 0x7f, v164
	s_xor_b32 s31, exec_lo, s31
	s_cbranch_execnz .LBB4_4604
; %bb.3761:                             ;   in Loop: Header=BB4_3574 Depth=3
	s_or_saveexec_b32 s31, s31
	v_mov_b32_e32 v165, s17
	s_xor_b32 exec_lo, exec_lo, s31
	s_cbranch_execnz .LBB4_4607
.LBB4_3762:                             ;   in Loop: Header=BB4_3574 Depth=3
	s_or_b32 exec_lo, exec_lo, s31
	s_and_saveexec_b32 s17, s13
	s_cbranch_execz .LBB4_3764
.LBB4_3763:                             ;   in Loop: Header=BB4_3574 Depth=3
	v_bfe_u32 v164, v21, 16, 3
	v_bfe_u32 v167, v21, 19, 4
	s_delay_alu instid0(VALU_DEP_2) | instskip(NEXT) | instid1(VALU_DEP_2)
	v_clz_i32_u32_e32 v165, v164
	v_cmp_eq_u32_e32 vcc_lo, 0, v167
	s_delay_alu instid0(VALU_DEP_2) | instskip(NEXT) | instid1(VALU_DEP_1)
	v_min_u32_e32 v165, 32, v165
	v_subrev_nc_u32_e32 v166, 28, v165
	v_sub_nc_u32_e32 v165, 29, v165
	s_delay_alu instid0(VALU_DEP_1) | instskip(NEXT) | instid1(VALU_DEP_1)
	v_dual_cndmask_b32 v165, v167, v165 :: v_dual_lshlrev_b32 v166, v166, v163
	v_and_b32_e32 v166, 7, v166
	v_lshlrev_b32_e32 v163, 24, v163
	s_delay_alu instid0(VALU_DEP_3) | instskip(NEXT) | instid1(VALU_DEP_2)
	v_lshl_add_u32 v165, v165, 23, 0x3b800000
	v_dual_cndmask_b32 v164, v164, v166 :: v_dual_and_b32 v163, 0x80000000, v163
	s_delay_alu instid0(VALU_DEP_1) | instskip(NEXT) | instid1(VALU_DEP_1)
	v_lshlrev_b32_e32 v164, 20, v164
	v_or3_b32 v165, v163, v165, v164
.LBB4_3764:                             ;   in Loop: Header=BB4_3574 Depth=3
	s_or_b32 exec_lo, exec_lo, s17
	v_and_b32_e32 v164, 0xff, v162
	s_mov_b32 s13, 0
	s_mov_b32 s31, exec_lo
                                        ; implicit-def: $sgpr17
	s_delay_alu instid0(VALU_DEP_1)
	v_cmpx_lt_i16_e64 0x7f, v164
	s_xor_b32 s31, exec_lo, s31
	s_cbranch_execnz .LBB4_4608
; %bb.3765:                             ;   in Loop: Header=BB4_3574 Depth=3
	s_or_saveexec_b32 s31, s31
	v_mov_b32_e32 v163, s17
	s_xor_b32 exec_lo, exec_lo, s31
	s_cbranch_execnz .LBB4_4611
.LBB4_3766:                             ;   in Loop: Header=BB4_3574 Depth=3
	s_or_b32 exec_lo, exec_lo, s31
	s_and_saveexec_b32 s17, s13
	s_cbranch_execz .LBB4_3768
.LBB4_3767:                             ;   in Loop: Header=BB4_3574 Depth=3
	v_bfe_u32 v163, v17, 16, 3
	v_bfe_u32 v167, v17, 19, 4
	s_delay_alu instid0(VALU_DEP_2) | instskip(NEXT) | instid1(VALU_DEP_2)
	v_clz_i32_u32_e32 v164, v163
	v_cmp_eq_u32_e32 vcc_lo, 0, v167
	s_delay_alu instid0(VALU_DEP_2) | instskip(NEXT) | instid1(VALU_DEP_1)
	v_min_u32_e32 v164, 32, v164
	v_subrev_nc_u32_e32 v166, 28, v164
	v_sub_nc_u32_e32 v164, 29, v164
	s_delay_alu instid0(VALU_DEP_2) | instskip(SKIP_1) | instid1(VALU_DEP_2)
	v_lshlrev_b32_e32 v166, v166, v162
	v_lshlrev_b32_e32 v162, 24, v162
	v_and_b32_e32 v166, 7, v166
	s_delay_alu instid0(VALU_DEP_2) | instskip(NEXT) | instid1(VALU_DEP_2)
	v_and_b32_e32 v162, 0x80000000, v162
	v_cndmask_b32_e32 v163, v163, v166, vcc_lo
	s_delay_alu instid0(VALU_DEP_1) | instskip(NEXT) | instid1(VALU_DEP_1)
	v_dual_cndmask_b32 v164, v167, v164 :: v_dual_lshlrev_b32 v163, 20, v163
	v_lshl_add_u32 v164, v164, 23, 0x3b800000
	s_delay_alu instid0(VALU_DEP_1)
	v_or3_b32 v163, v162, v164, v163
.LBB4_3768:                             ;   in Loop: Header=BB4_3574 Depth=3
	s_or_b32 exec_lo, exec_lo, s17
	s_delay_alu instid0(VALU_DEP_1) | instskip(NEXT) | instid1(VALU_DEP_1)
	v_dual_max_f32 v162, v163, v163 :: v_dual_max_f32 v163, v165, v165
	v_min_f32_e32 v165, v163, v162
.LBB4_3769:                             ;   in Loop: Header=BB4_3574 Depth=3
	s_delay_alu instid0(VALU_DEP_1) | instskip(NEXT) | instid1(VALU_DEP_1)
	v_and_b32_e32 v162, 0x7f800000, v165
	v_cmp_ne_u32_e32 vcc_lo, 0x7f800000, v162
	v_mov_b32_e32 v162, 0x80
	s_and_saveexec_b32 s17, vcc_lo
	s_cbranch_execz .LBB4_3777
; %bb.3770:                             ;   in Loop: Header=BB4_3574 Depth=3
	v_mov_b32_e32 v162, 0
	s_mov_b32 s31, exec_lo
	v_cmpx_ne_u32_e32 0, v165
	s_cbranch_execz .LBB4_3776
; %bb.3771:                             ;   in Loop: Header=BB4_3574 Depth=3
	v_bfe_u32 v162, v165, 23, 8
	s_delay_alu instid0(VALU_DEP_1) | instskip(SKIP_1) | instid1(VALU_DEP_2)
	v_sub_nc_u32_e32 v164, 0x78, v162
	v_cmp_gt_u32_e32 vcc_lo, 0x79, v162
	v_dual_cndmask_b32 v164, 0, v164 :: v_dual_and_b32 v163, 0x7fffff, v165
	s_delay_alu instid0(VALU_DEP_1) | instskip(SKIP_2) | instid1(VALU_DEP_4)
	v_or_b32_e32 v166, 0x800000, v163
	v_cmp_eq_u32_e32 vcc_lo, 0, v162
	v_add_nc_u32_e32 v162, 0xffffff89, v162
	v_cndmask_b32_e64 v164, v164, 0x77, vcc_lo
	s_delay_alu instid0(VALU_DEP_4) | instskip(NEXT) | instid1(VALU_DEP_3)
	v_cndmask_b32_e32 v163, v166, v163, vcc_lo
	v_cndmask_b32_e64 v162, v162, 0xffffff8a, vcc_lo
	s_delay_alu instid0(VALU_DEP_3) | instskip(NEXT) | instid1(VALU_DEP_3)
	v_lshl_add_u32 v166, 0x100000, v164, -1
	v_lshrrev_b32_e32 v167, v164, v163
	v_lshlrev_b32_e64 v177, v164, 0x80000
	s_delay_alu instid0(VALU_DEP_4) | instskip(NEXT) | instid1(VALU_DEP_4)
	v_add_nc_u32_e32 v164, v164, v162
	v_and_b32_e32 v163, v166, v163
	s_delay_alu instid0(VALU_DEP_4) | instskip(NEXT) | instid1(VALU_DEP_2)
	v_bfe_u32 v176, v167, 20, 1
	v_cmp_eq_u32_e64 s13, v163, v177
	s_delay_alu instid0(VALU_DEP_2) | instskip(NEXT) | instid1(VALU_DEP_1)
	v_add_nc_u32_e32 v166, -1, v176
	v_cndmask_b32_e64 v163, 0, v166, s13
	v_lshrrev_b32_e32 v166, 23, v167
	s_mov_b32 s13, exec_lo
	s_delay_alu instid0(VALU_DEP_2) | instskip(NEXT) | instid1(VALU_DEP_2)
	v_add_nc_u32_e32 v163, v163, v167
	v_xor_b32_e32 v166, 1, v166
	s_delay_alu instid0(VALU_DEP_2) | instskip(NEXT) | instid1(VALU_DEP_1)
	v_and_b32_e32 v162, 0xfffff, v163
	v_add_nc_u32_e32 v163, v162, v167
                                        ; implicit-def: $vgpr162
	s_delay_alu instid0(VALU_DEP_3)
	v_cmpx_ne_u32_e64 v164, v166
	s_xor_b32 s13, exec_lo, s13
; %bb.3772:                             ;   in Loop: Header=BB4_3574 Depth=3
	s_delay_alu instid0(VALU_DEP_2) | instskip(SKIP_2) | instid1(VALU_DEP_2)
	v_cmp_lt_u32_e32 vcc_lo, 0xffffff, v163
	v_sub_nc_u32_e32 v162, v164, v166
	v_cndmask_b32_e64 v164, 0, 1, vcc_lo
	v_add_co_ci_u32_e32 v162, vcc_lo, 0, v162, vcc_lo
	s_delay_alu instid0(VALU_DEP_2)
	v_lshrrev_b32_e32 v163, v164, v163
; %bb.3773:                             ;   in Loop: Header=BB4_3574 Depth=3
	s_and_not1_saveexec_b32 s13, s13
; %bb.3774:                             ;   in Loop: Header=BB4_3574 Depth=3
	s_delay_alu instid0(VALU_DEP_1)
	v_bfe_u32 v162, v163, 23, 1
; %bb.3775:                             ;   in Loop: Header=BB4_3574 Depth=3
	s_or_b32 exec_lo, exec_lo, s13
	v_lshrrev_b32_e32 v163, 20, v163
	s_delay_alu instid0(VALU_DEP_2) | instskip(SKIP_2) | instid1(VALU_DEP_2)
	v_cmp_gt_i32_e32 vcc_lo, 16, v162
	v_min_i32_e32 v164, 15, v162
	v_lshrrev_b32_e32 v165, 24, v165
	v_dual_cndmask_b32 v163, 7, v163 :: v_dual_lshlrev_b32 v164, 3, v164
	s_delay_alu instid0(VALU_DEP_1) | instskip(SKIP_1) | instid1(VALU_DEP_3)
	v_or_b32_e32 v162, v162, v163
	v_and_b32_e32 v166, 7, v163
	v_and_b32_e32 v164, 0xf8, v164
	s_delay_alu instid0(VALU_DEP_3) | instskip(SKIP_1) | instid1(VALU_DEP_1)
	v_cmp_ne_u32_e32 vcc_lo, 0, v162
	v_and_b32_e32 v165, 0x80, v165
	v_or3_b32 v163, v164, v165, v166
	s_delay_alu instid0(VALU_DEP_1)
	v_cndmask_b32_e32 v162, 0, v163, vcc_lo
.LBB4_3776:                             ;   in Loop: Header=BB4_3574 Depth=3
	s_or_b32 exec_lo, exec_lo, s31
.LBB4_3777:                             ;   in Loop: Header=BB4_3574 Depth=3
	s_delay_alu instid0(SALU_CYCLE_1) | instskip(SKIP_3) | instid1(VALU_DEP_2)
	s_or_b32 exec_lo, exec_lo, s17
	v_lshrrev_b32_e32 v164, 24, v21
	v_lshrrev_b32_e32 v163, 24, v17
	s_and_b32 vcc_lo, exec_lo, s16
	v_cmp_lt_i16_e64 s13, 0x7f, v164
	s_cbranch_vccz .LBB4_3787
; %bb.3778:                             ;   in Loop: Header=BB4_3574 Depth=3
	s_mov_b32 s17, 0
                                        ; implicit-def: $sgpr31
	s_delay_alu instid0(VALU_DEP_1) | instskip(NEXT) | instid1(SALU_CYCLE_1)
	s_and_saveexec_b32 vcc_lo, s13
	s_xor_b32 s13, exec_lo, vcc_lo
	s_cbranch_execnz .LBB4_4612
; %bb.3779:                             ;   in Loop: Header=BB4_3574 Depth=3
	s_or_saveexec_b32 s13, s13
	v_mov_b32_e32 v165, s31
	s_xor_b32 exec_lo, exec_lo, s13
	s_cbranch_execnz .LBB4_4615
.LBB4_3780:                             ;   in Loop: Header=BB4_3574 Depth=3
	s_or_b32 exec_lo, exec_lo, s13
	s_and_saveexec_b32 s13, s17
	s_cbranch_execz .LBB4_3782
.LBB4_3781:                             ;   in Loop: Header=BB4_3574 Depth=3
	v_bfe_u32 v165, v21, 24, 3
	v_bfe_u32 v176, v21, 27, 4
	s_delay_alu instid0(VALU_DEP_2) | instskip(NEXT) | instid1(VALU_DEP_2)
	v_clz_i32_u32_e32 v166, v165
	v_cmp_eq_u32_e32 vcc_lo, 0, v176
	s_delay_alu instid0(VALU_DEP_2) | instskip(NEXT) | instid1(VALU_DEP_1)
	v_min_u32_e32 v166, 32, v166
	v_subrev_nc_u32_e32 v167, 28, v166
	v_sub_nc_u32_e32 v166, 29, v166
	s_delay_alu instid0(VALU_DEP_1) | instskip(NEXT) | instid1(VALU_DEP_1)
	v_dual_cndmask_b32 v166, v176, v166 :: v_dual_lshlrev_b32 v167, v167, v164
	v_and_b32_e32 v167, 7, v167
	s_delay_alu instid0(VALU_DEP_2) | instskip(NEXT) | instid1(VALU_DEP_2)
	v_lshl_add_u32 v166, v166, 23, 0x3b800000
	v_cndmask_b32_e32 v165, v165, v167, vcc_lo
	v_and_b32_e32 v167, 0x80000000, v21
	s_delay_alu instid0(VALU_DEP_2) | instskip(NEXT) | instid1(VALU_DEP_1)
	v_lshlrev_b32_e32 v165, 20, v165
	v_or3_b32 v165, v167, v166, v165
.LBB4_3782:                             ;   in Loop: Header=BB4_3574 Depth=3
	s_or_b32 exec_lo, exec_lo, s13
	s_mov_b32 s13, 0
	s_mov_b32 s31, exec_lo
                                        ; implicit-def: $sgpr17
	v_cmpx_lt_i16_e64 0x7f, v163
	s_xor_b32 s31, exec_lo, s31
	s_cbranch_execnz .LBB4_4616
; %bb.3783:                             ;   in Loop: Header=BB4_3574 Depth=3
	s_or_saveexec_b32 s31, s31
	v_mov_b32_e32 v166, s17
	s_xor_b32 exec_lo, exec_lo, s31
	s_cbranch_execnz .LBB4_4619
.LBB4_3784:                             ;   in Loop: Header=BB4_3574 Depth=3
	s_or_b32 exec_lo, exec_lo, s31
	s_and_saveexec_b32 s17, s13
	s_cbranch_execz .LBB4_3786
.LBB4_3785:                             ;   in Loop: Header=BB4_3574 Depth=3
	v_bfe_u32 v166, v17, 24, 3
	v_bfe_u32 v177, v17, 27, 4
	s_delay_alu instid0(VALU_DEP_2) | instskip(NEXT) | instid1(VALU_DEP_2)
	v_clz_i32_u32_e32 v167, v166
	v_cmp_eq_u32_e32 vcc_lo, 0, v177
	s_delay_alu instid0(VALU_DEP_2) | instskip(NEXT) | instid1(VALU_DEP_1)
	v_min_u32_e32 v167, 32, v167
	v_subrev_nc_u32_e32 v176, 28, v167
	v_sub_nc_u32_e32 v167, 29, v167
	s_delay_alu instid0(VALU_DEP_2) | instskip(NEXT) | instid1(VALU_DEP_1)
	v_lshlrev_b32_e32 v176, v176, v163
	v_dual_cndmask_b32 v167, v177, v167 :: v_dual_and_b32 v176, 7, v176
	s_delay_alu instid0(VALU_DEP_1) | instskip(NEXT) | instid1(VALU_DEP_2)
	v_lshl_add_u32 v167, v167, 23, 0x3b800000
	v_cndmask_b32_e32 v166, v166, v176, vcc_lo
	v_and_b32_e32 v176, 0x80000000, v17
	s_delay_alu instid0(VALU_DEP_2) | instskip(NEXT) | instid1(VALU_DEP_1)
	v_lshlrev_b32_e32 v166, 20, v166
	v_or3_b32 v166, v176, v167, v166
.LBB4_3786:                             ;   in Loop: Header=BB4_3574 Depth=3
	s_or_b32 exec_lo, exec_lo, s17
	s_delay_alu instid0(VALU_DEP_1) | instskip(SKIP_1) | instid1(VALU_DEP_1)
	v_dual_max_f32 v166, v166, v166 :: v_dual_max_f32 v165, v165, v165
	s_mov_b32 s13, 0
	v_max_f32_e32 v165, v165, v166
	s_branch .LBB4_3788
.LBB4_3787:                             ;   in Loop: Header=BB4_3574 Depth=3
	s_mov_b32 s13, -1
                                        ; implicit-def: $vgpr165
.LBB4_3788:                             ;   in Loop: Header=BB4_3574 Depth=3
	s_delay_alu instid0(SALU_CYCLE_1)
	s_and_b32 vcc_lo, exec_lo, s13
	s_cbranch_vccz .LBB4_3798
; %bb.3789:                             ;   in Loop: Header=BB4_3574 Depth=3
	s_mov_b32 s13, 0
	s_mov_b32 s31, exec_lo
                                        ; implicit-def: $sgpr17
	v_cmpx_lt_i16_e64 0x7f, v164
	s_xor_b32 s31, exec_lo, s31
	s_cbranch_execnz .LBB4_4620
; %bb.3790:                             ;   in Loop: Header=BB4_3574 Depth=3
	s_or_saveexec_b32 s31, s31
	v_mov_b32_e32 v165, s17
	s_xor_b32 exec_lo, exec_lo, s31
	s_cbranch_execnz .LBB4_4623
.LBB4_3791:                             ;   in Loop: Header=BB4_3574 Depth=3
	s_or_b32 exec_lo, exec_lo, s31
	s_and_saveexec_b32 s17, s13
	s_cbranch_execz .LBB4_3793
.LBB4_3792:                             ;   in Loop: Header=BB4_3574 Depth=3
	v_bfe_u32 v165, v21, 24, 3
	s_delay_alu instid0(VALU_DEP_1) | instskip(NEXT) | instid1(VALU_DEP_1)
	v_clz_i32_u32_e32 v166, v165
	v_min_u32_e32 v166, 32, v166
	s_delay_alu instid0(VALU_DEP_1) | instskip(SKIP_1) | instid1(VALU_DEP_2)
	v_subrev_nc_u32_e32 v167, 28, v166
	v_sub_nc_u32_e32 v166, 29, v166
	v_lshlrev_b32_e32 v164, v167, v164
	v_bfe_u32 v167, v21, 27, 4
	v_and_b32_e32 v21, 0x80000000, v21
	s_delay_alu instid0(VALU_DEP_3) | instskip(NEXT) | instid1(VALU_DEP_3)
	v_and_b32_e32 v164, 7, v164
	v_cmp_eq_u32_e32 vcc_lo, 0, v167
	v_cndmask_b32_e32 v166, v167, v166, vcc_lo
	s_delay_alu instid0(VALU_DEP_3) | instskip(NEXT) | instid1(VALU_DEP_2)
	v_cndmask_b32_e32 v164, v165, v164, vcc_lo
	v_lshl_add_u32 v165, v166, 23, 0x3b800000
	s_delay_alu instid0(VALU_DEP_2) | instskip(NEXT) | instid1(VALU_DEP_1)
	v_lshlrev_b32_e32 v164, 20, v164
	v_or3_b32 v165, v21, v165, v164
.LBB4_3793:                             ;   in Loop: Header=BB4_3574 Depth=3
	s_or_b32 exec_lo, exec_lo, s17
	s_mov_b32 s13, 0
	s_mov_b32 s31, exec_lo
                                        ; implicit-def: $sgpr17
	v_cmpx_lt_i16_e64 0x7f, v163
	s_xor_b32 s31, exec_lo, s31
	s_cbranch_execnz .LBB4_4624
; %bb.3794:                             ;   in Loop: Header=BB4_3574 Depth=3
	s_or_saveexec_b32 s31, s31
	v_mov_b32_e32 v21, s17
	s_xor_b32 exec_lo, exec_lo, s31
	s_cbranch_execnz .LBB4_4627
.LBB4_3795:                             ;   in Loop: Header=BB4_3574 Depth=3
	s_or_b32 exec_lo, exec_lo, s31
	s_and_saveexec_b32 s17, s13
	s_cbranch_execz .LBB4_3797
.LBB4_3796:                             ;   in Loop: Header=BB4_3574 Depth=3
	v_bfe_u32 v21, v17, 24, 3
	s_delay_alu instid0(VALU_DEP_1) | instskip(NEXT) | instid1(VALU_DEP_1)
	v_clz_i32_u32_e32 v164, v21
	v_min_u32_e32 v164, 32, v164
	s_delay_alu instid0(VALU_DEP_1) | instskip(SKIP_1) | instid1(VALU_DEP_2)
	v_subrev_nc_u32_e32 v166, 28, v164
	v_sub_nc_u32_e32 v164, 29, v164
	v_lshlrev_b32_e32 v163, v166, v163
	v_bfe_u32 v166, v17, 27, 4
	v_and_b32_e32 v17, 0x80000000, v17
	s_delay_alu instid0(VALU_DEP_2) | instskip(NEXT) | instid1(VALU_DEP_4)
	v_cmp_eq_u32_e32 vcc_lo, 0, v166
	v_dual_cndmask_b32 v164, v166, v164 :: v_dual_and_b32 v163, 7, v163
	s_delay_alu instid0(VALU_DEP_1) | instskip(NEXT) | instid1(VALU_DEP_2)
	v_cndmask_b32_e32 v21, v21, v163, vcc_lo
	v_lshl_add_u32 v163, v164, 23, 0x3b800000
	s_delay_alu instid0(VALU_DEP_2) | instskip(NEXT) | instid1(VALU_DEP_1)
	v_lshlrev_b32_e32 v21, 20, v21
	v_or3_b32 v21, v17, v163, v21
.LBB4_3797:                             ;   in Loop: Header=BB4_3574 Depth=3
	s_or_b32 exec_lo, exec_lo, s17
	s_delay_alu instid0(VALU_DEP_1) | instskip(SKIP_1) | instid1(VALU_DEP_1)
	v_max_f32_e32 v17, v21, v21
	v_max_f32_e32 v21, v165, v165
	v_min_f32_e32 v165, v21, v17
.LBB4_3798:                             ;   in Loop: Header=BB4_3574 Depth=3
	s_delay_alu instid0(VALU_DEP_1) | instskip(NEXT) | instid1(VALU_DEP_1)
	v_and_b32_e32 v17, 0x7f800000, v165
	v_cmp_ne_u32_e32 vcc_lo, 0x7f800000, v17
	v_mov_b32_e32 v17, 0x8000
	s_and_saveexec_b32 s17, vcc_lo
	s_cbranch_execz .LBB4_3806
; %bb.3799:                             ;   in Loop: Header=BB4_3574 Depth=3
	v_mov_b32_e32 v17, 0
	s_mov_b32 s31, exec_lo
	v_cmpx_ne_u32_e32 0, v165
	s_cbranch_execz .LBB4_3805
; %bb.3800:                             ;   in Loop: Header=BB4_3574 Depth=3
	v_bfe_u32 v17, v165, 23, 8
	v_and_b32_e32 v21, 0x7fffff, v165
	s_delay_alu instid0(VALU_DEP_2) | instskip(SKIP_1) | instid1(VALU_DEP_3)
	v_sub_nc_u32_e32 v163, 0x78, v17
	v_cmp_gt_u32_e32 vcc_lo, 0x79, v17
	v_or_b32_e32 v164, 0x800000, v21
	s_delay_alu instid0(VALU_DEP_3) | instskip(SKIP_2) | instid1(VALU_DEP_3)
	v_cndmask_b32_e32 v163, 0, v163, vcc_lo
	v_cmp_eq_u32_e32 vcc_lo, 0, v17
	v_add_nc_u32_e32 v17, 0xffffff89, v17
	v_cndmask_b32_e64 v163, v163, 0x77, vcc_lo
	v_cndmask_b32_e32 v21, v164, v21, vcc_lo
	s_delay_alu instid0(VALU_DEP_3) | instskip(NEXT) | instid1(VALU_DEP_3)
	v_cndmask_b32_e64 v17, v17, 0xffffff8a, vcc_lo
	v_lshl_add_u32 v164, 0x100000, v163, -1
	s_delay_alu instid0(VALU_DEP_3) | instskip(SKIP_1) | instid1(VALU_DEP_4)
	v_lshrrev_b32_e32 v166, v163, v21
	v_lshlrev_b32_e64 v176, v163, 0x80000
	v_add_nc_u32_e32 v163, v163, v17
	s_delay_alu instid0(VALU_DEP_4) | instskip(NEXT) | instid1(VALU_DEP_4)
	v_and_b32_e32 v21, v164, v21
	v_bfe_u32 v167, v166, 20, 1
	s_delay_alu instid0(VALU_DEP_2) | instskip(NEXT) | instid1(VALU_DEP_2)
	v_cmp_eq_u32_e64 s13, v21, v176
	v_add_nc_u32_e32 v164, -1, v167
	s_delay_alu instid0(VALU_DEP_1) | instskip(SKIP_2) | instid1(VALU_DEP_2)
	v_cndmask_b32_e64 v21, 0, v164, s13
	v_lshrrev_b32_e32 v164, 23, v166
	s_mov_b32 s13, exec_lo
	v_add_nc_u32_e32 v21, v21, v166
	s_delay_alu instid0(VALU_DEP_2) | instskip(NEXT) | instid1(VALU_DEP_2)
	v_xor_b32_e32 v164, 1, v164
	v_and_b32_e32 v17, 0xfffff, v21
	s_delay_alu instid0(VALU_DEP_1) | instskip(NEXT) | instid1(VALU_DEP_3)
	v_add_nc_u32_e32 v21, v17, v166
                                        ; implicit-def: $vgpr17
	v_cmpx_ne_u32_e64 v163, v164
	s_xor_b32 s13, exec_lo, s13
; %bb.3801:                             ;   in Loop: Header=BB4_3574 Depth=3
	s_delay_alu instid0(VALU_DEP_2) | instskip(SKIP_2) | instid1(VALU_DEP_2)
	v_cmp_lt_u32_e32 vcc_lo, 0xffffff, v21
	v_sub_nc_u32_e32 v17, v163, v164
	v_cndmask_b32_e64 v163, 0, 1, vcc_lo
	v_add_co_ci_u32_e32 v17, vcc_lo, 0, v17, vcc_lo
	s_delay_alu instid0(VALU_DEP_2)
	v_lshrrev_b32_e32 v21, v163, v21
; %bb.3802:                             ;   in Loop: Header=BB4_3574 Depth=3
	s_and_not1_saveexec_b32 s13, s13
; %bb.3803:                             ;   in Loop: Header=BB4_3574 Depth=3
	s_delay_alu instid0(VALU_DEP_1)
	v_bfe_u32 v17, v21, 23, 1
; %bb.3804:                             ;   in Loop: Header=BB4_3574 Depth=3
	s_or_b32 exec_lo, exec_lo, s13
	v_lshrrev_b32_e32 v21, 20, v21
	s_delay_alu instid0(VALU_DEP_2) | instskip(SKIP_2) | instid1(VALU_DEP_3)
	v_min_i32_e32 v163, 15, v17
	v_cmp_gt_i32_e32 vcc_lo, 16, v17
	v_lshrrev_b32_e32 v164, 24, v165
	v_lshlrev_b32_e32 v163, 3, v163
	s_delay_alu instid0(VALU_DEP_2) | instskip(NEXT) | instid1(VALU_DEP_2)
	v_dual_cndmask_b32 v21, 7, v21 :: v_dual_and_b32 v164, 0x80, v164
	v_and_b32_e32 v163, 0xf8, v163
	s_delay_alu instid0(VALU_DEP_2) | instskip(SKIP_1) | instid1(VALU_DEP_2)
	v_and_b32_e32 v165, 7, v21
	v_or_b32_e32 v17, v17, v21
	v_or3_b32 v163, v164, v163, v165
	s_delay_alu instid0(VALU_DEP_2) | instskip(NEXT) | instid1(VALU_DEP_2)
	v_cmp_ne_u32_e32 vcc_lo, 0, v17
	v_lshlrev_b32_e32 v21, 8, v163
	s_delay_alu instid0(VALU_DEP_1)
	v_cndmask_b32_e32 v17, 0, v21, vcc_lo
.LBB4_3805:                             ;   in Loop: Header=BB4_3574 Depth=3
	s_or_b32 exec_lo, exec_lo, s31
.LBB4_3806:                             ;   in Loop: Header=BB4_3574 Depth=3
	s_delay_alu instid0(SALU_CYCLE_1) | instskip(SKIP_2) | instid1(VALU_DEP_1)
	s_or_b32 exec_lo, exec_lo, s17
	v_and_b32_e32 v21, 0xff, v22
	s_and_b32 vcc_lo, exec_lo, s16
	v_cmp_lt_i16_e64 s13, 0x7f, v21
	s_cbranch_vccz .LBB4_3816
; %bb.3807:                             ;   in Loop: Header=BB4_3574 Depth=3
	s_mov_b32 s17, 0
                                        ; implicit-def: $sgpr31
	s_delay_alu instid0(VALU_DEP_1) | instskip(NEXT) | instid1(SALU_CYCLE_1)
	s_and_saveexec_b32 vcc_lo, s13
	s_xor_b32 s13, exec_lo, vcc_lo
	s_cbranch_execnz .LBB4_4628
; %bb.3808:                             ;   in Loop: Header=BB4_3574 Depth=3
	s_or_saveexec_b32 s13, s13
	v_mov_b32_e32 v163, s31
	s_xor_b32 exec_lo, exec_lo, s13
	s_cbranch_execnz .LBB4_4631
.LBB4_3809:                             ;   in Loop: Header=BB4_3574 Depth=3
	s_or_b32 exec_lo, exec_lo, s13
	s_and_saveexec_b32 s13, s17
	s_cbranch_execz .LBB4_3811
.LBB4_3810:                             ;   in Loop: Header=BB4_3574 Depth=3
	v_bfe_u32 v166, v22, 3, 4
	v_lshlrev_b32_e32 v167, 24, v22
	s_delay_alu instid0(VALU_DEP_2) | instskip(SKIP_1) | instid1(VALU_DEP_1)
	v_cmp_eq_u32_e32 vcc_lo, 0, v166
	v_and_b32_e32 v163, 7, v22
	v_clz_i32_u32_e32 v164, v163
	s_delay_alu instid0(VALU_DEP_1) | instskip(NEXT) | instid1(VALU_DEP_1)
	v_min_u32_e32 v164, 32, v164
	v_subrev_nc_u32_e32 v165, 28, v164
	v_sub_nc_u32_e32 v164, 29, v164
	s_delay_alu instid0(VALU_DEP_1) | instskip(NEXT) | instid1(VALU_DEP_1)
	v_dual_cndmask_b32 v164, v166, v164 :: v_dual_lshlrev_b32 v165, v165, v22
	v_and_b32_e32 v165, 7, v165
	s_delay_alu instid0(VALU_DEP_2) | instskip(NEXT) | instid1(VALU_DEP_2)
	v_lshl_add_u32 v164, v164, 23, 0x3b800000
	v_cndmask_b32_e32 v163, v163, v165, vcc_lo
	v_and_b32_e32 v165, 0x80000000, v167
	s_delay_alu instid0(VALU_DEP_2) | instskip(NEXT) | instid1(VALU_DEP_1)
	v_lshlrev_b32_e32 v163, 20, v163
	v_or3_b32 v163, v165, v164, v163
.LBB4_3811:                             ;   in Loop: Header=BB4_3574 Depth=3
	s_or_b32 exec_lo, exec_lo, s13
	v_and_b32_e32 v165, 0xff, v18
	s_mov_b32 s13, 0
	s_mov_b32 s31, exec_lo
                                        ; implicit-def: $sgpr17
	s_delay_alu instid0(VALU_DEP_1)
	v_cmpx_lt_i16_e64 0x7f, v165
	s_xor_b32 s31, exec_lo, s31
	s_cbranch_execnz .LBB4_4632
; %bb.3812:                             ;   in Loop: Header=BB4_3574 Depth=3
	s_or_saveexec_b32 s31, s31
	v_mov_b32_e32 v164, s17
	s_xor_b32 exec_lo, exec_lo, s31
	s_cbranch_execnz .LBB4_4635
.LBB4_3813:                             ;   in Loop: Header=BB4_3574 Depth=3
	s_or_b32 exec_lo, exec_lo, s31
	s_and_saveexec_b32 s17, s13
	s_cbranch_execz .LBB4_3815
.LBB4_3814:                             ;   in Loop: Header=BB4_3574 Depth=3
	v_bfe_u32 v167, v18, 3, 4
	v_lshlrev_b32_e32 v176, 24, v18
	s_delay_alu instid0(VALU_DEP_2) | instskip(SKIP_1) | instid1(VALU_DEP_1)
	v_cmp_eq_u32_e32 vcc_lo, 0, v167
	v_and_b32_e32 v164, 7, v18
	v_clz_i32_u32_e32 v165, v164
	s_delay_alu instid0(VALU_DEP_1) | instskip(NEXT) | instid1(VALU_DEP_1)
	v_min_u32_e32 v165, 32, v165
	v_subrev_nc_u32_e32 v166, 28, v165
	v_sub_nc_u32_e32 v165, 29, v165
	s_delay_alu instid0(VALU_DEP_1) | instskip(NEXT) | instid1(VALU_DEP_1)
	v_dual_cndmask_b32 v165, v167, v165 :: v_dual_lshlrev_b32 v166, v166, v18
	v_and_b32_e32 v166, 7, v166
	s_delay_alu instid0(VALU_DEP_2) | instskip(NEXT) | instid1(VALU_DEP_2)
	v_lshl_add_u32 v165, v165, 23, 0x3b800000
	v_cndmask_b32_e32 v164, v164, v166, vcc_lo
	v_and_b32_e32 v166, 0x80000000, v176
	s_delay_alu instid0(VALU_DEP_2) | instskip(NEXT) | instid1(VALU_DEP_1)
	v_lshlrev_b32_e32 v164, 20, v164
	v_or3_b32 v164, v166, v165, v164
.LBB4_3815:                             ;   in Loop: Header=BB4_3574 Depth=3
	s_or_b32 exec_lo, exec_lo, s17
	s_delay_alu instid0(VALU_DEP_1) | instskip(SKIP_1) | instid1(VALU_DEP_1)
	v_dual_max_f32 v164, v164, v164 :: v_dual_max_f32 v163, v163, v163
	s_mov_b32 s13, 0
	v_max_f32_e32 v163, v163, v164
	s_branch .LBB4_3817
.LBB4_3816:                             ;   in Loop: Header=BB4_3574 Depth=3
	s_mov_b32 s13, -1
                                        ; implicit-def: $vgpr163
.LBB4_3817:                             ;   in Loop: Header=BB4_3574 Depth=3
	s_delay_alu instid0(SALU_CYCLE_1)
	s_and_b32 vcc_lo, exec_lo, s13
	s_cbranch_vccz .LBB4_3827
; %bb.3818:                             ;   in Loop: Header=BB4_3574 Depth=3
	s_mov_b32 s13, 0
	s_mov_b32 s31, exec_lo
                                        ; implicit-def: $sgpr17
	v_cmpx_lt_i16_e32 0x7f, v21
	s_xor_b32 s31, exec_lo, s31
	s_cbranch_execnz .LBB4_4636
; %bb.3819:                             ;   in Loop: Header=BB4_3574 Depth=3
	s_or_saveexec_b32 s31, s31
	v_mov_b32_e32 v163, s17
	s_xor_b32 exec_lo, exec_lo, s31
	s_cbranch_execnz .LBB4_4639
.LBB4_3820:                             ;   in Loop: Header=BB4_3574 Depth=3
	s_or_b32 exec_lo, exec_lo, s31
	s_and_saveexec_b32 s17, s13
	s_cbranch_execz .LBB4_3822
.LBB4_3821:                             ;   in Loop: Header=BB4_3574 Depth=3
	v_and_b32_e32 v21, 7, v22
	v_bfe_u32 v165, v22, 3, 4
	s_delay_alu instid0(VALU_DEP_2) | instskip(NEXT) | instid1(VALU_DEP_2)
	v_clz_i32_u32_e32 v163, v21
	v_cmp_eq_u32_e32 vcc_lo, 0, v165
	s_delay_alu instid0(VALU_DEP_2) | instskip(NEXT) | instid1(VALU_DEP_1)
	v_min_u32_e32 v163, 32, v163
	v_subrev_nc_u32_e32 v164, 28, v163
	v_sub_nc_u32_e32 v163, 29, v163
	s_delay_alu instid0(VALU_DEP_1) | instskip(NEXT) | instid1(VALU_DEP_1)
	v_dual_cndmask_b32 v163, v165, v163 :: v_dual_lshlrev_b32 v164, v164, v22
	v_and_b32_e32 v164, 7, v164
	v_lshlrev_b32_e32 v166, 24, v22
	s_delay_alu instid0(VALU_DEP_3) | instskip(NEXT) | instid1(VALU_DEP_2)
	v_lshl_add_u32 v163, v163, 23, 0x3b800000
	v_dual_cndmask_b32 v21, v21, v164 :: v_dual_and_b32 v164, 0x80000000, v166
	s_delay_alu instid0(VALU_DEP_1) | instskip(NEXT) | instid1(VALU_DEP_1)
	v_lshlrev_b32_e32 v21, 20, v21
	v_or3_b32 v163, v164, v163, v21
.LBB4_3822:                             ;   in Loop: Header=BB4_3574 Depth=3
	s_or_b32 exec_lo, exec_lo, s17
	v_and_b32_e32 v164, 0xff, v18
	s_mov_b32 s13, 0
	s_mov_b32 s31, exec_lo
                                        ; implicit-def: $sgpr17
	s_delay_alu instid0(VALU_DEP_1)
	v_cmpx_lt_i16_e64 0x7f, v164
	s_xor_b32 s31, exec_lo, s31
	s_cbranch_execnz .LBB4_4640
; %bb.3823:                             ;   in Loop: Header=BB4_3574 Depth=3
	s_or_saveexec_b32 s31, s31
	v_mov_b32_e32 v21, s17
	s_xor_b32 exec_lo, exec_lo, s31
	s_cbranch_execnz .LBB4_4643
.LBB4_3824:                             ;   in Loop: Header=BB4_3574 Depth=3
	s_or_b32 exec_lo, exec_lo, s31
	s_and_saveexec_b32 s17, s13
	s_cbranch_execz .LBB4_3826
.LBB4_3825:                             ;   in Loop: Header=BB4_3574 Depth=3
	v_bfe_u32 v166, v18, 3, 4
	v_lshlrev_b32_e32 v167, 24, v18
	s_delay_alu instid0(VALU_DEP_2) | instskip(SKIP_1) | instid1(VALU_DEP_1)
	v_cmp_eq_u32_e32 vcc_lo, 0, v166
	v_and_b32_e32 v21, 7, v18
	v_clz_i32_u32_e32 v164, v21
	s_delay_alu instid0(VALU_DEP_1) | instskip(NEXT) | instid1(VALU_DEP_1)
	v_min_u32_e32 v164, 32, v164
	v_subrev_nc_u32_e32 v165, 28, v164
	v_sub_nc_u32_e32 v164, 29, v164
	s_delay_alu instid0(VALU_DEP_1) | instskip(NEXT) | instid1(VALU_DEP_1)
	v_dual_cndmask_b32 v164, v166, v164 :: v_dual_lshlrev_b32 v165, v165, v18
	v_and_b32_e32 v165, 7, v165
	s_delay_alu instid0(VALU_DEP_2) | instskip(NEXT) | instid1(VALU_DEP_2)
	v_lshl_add_u32 v164, v164, 23, 0x3b800000
	v_cndmask_b32_e32 v21, v21, v165, vcc_lo
	v_and_b32_e32 v165, 0x80000000, v167
	s_delay_alu instid0(VALU_DEP_2) | instskip(NEXT) | instid1(VALU_DEP_1)
	v_lshlrev_b32_e32 v21, 20, v21
	v_or3_b32 v21, v165, v164, v21
.LBB4_3826:                             ;   in Loop: Header=BB4_3574 Depth=3
	s_or_b32 exec_lo, exec_lo, s17
	s_delay_alu instid0(VALU_DEP_1) | instskip(SKIP_1) | instid1(VALU_DEP_1)
	v_max_f32_e32 v21, v21, v21
	v_max_f32_e32 v163, v163, v163
	v_min_f32_e32 v163, v163, v21
.LBB4_3827:                             ;   in Loop: Header=BB4_3574 Depth=3
	s_delay_alu instid0(VALU_DEP_1) | instskip(NEXT) | instid1(VALU_DEP_1)
	v_and_b32_e32 v21, 0x7f800000, v163
	v_cmp_ne_u32_e32 vcc_lo, 0x7f800000, v21
	v_mov_b32_e32 v21, 0x80
	s_and_saveexec_b32 s17, vcc_lo
	s_cbranch_execz .LBB4_3835
; %bb.3828:                             ;   in Loop: Header=BB4_3574 Depth=3
	v_mov_b32_e32 v21, 0
	s_mov_b32 s31, exec_lo
	v_cmpx_ne_u32_e32 0, v163
	s_cbranch_execz .LBB4_3834
; %bb.3829:                             ;   in Loop: Header=BB4_3574 Depth=3
	v_bfe_u32 v21, v163, 23, 8
	s_delay_alu instid0(VALU_DEP_1) | instskip(SKIP_1) | instid1(VALU_DEP_2)
	v_sub_nc_u32_e32 v165, 0x78, v21
	v_cmp_gt_u32_e32 vcc_lo, 0x79, v21
	v_dual_cndmask_b32 v165, 0, v165 :: v_dual_and_b32 v164, 0x7fffff, v163
	s_delay_alu instid0(VALU_DEP_1) | instskip(SKIP_2) | instid1(VALU_DEP_4)
	v_or_b32_e32 v166, 0x800000, v164
	v_cmp_eq_u32_e32 vcc_lo, 0, v21
	v_add_nc_u32_e32 v21, 0xffffff89, v21
	v_cndmask_b32_e64 v165, v165, 0x77, vcc_lo
	s_delay_alu instid0(VALU_DEP_4) | instskip(NEXT) | instid1(VALU_DEP_3)
	v_cndmask_b32_e32 v164, v166, v164, vcc_lo
	v_cndmask_b32_e64 v21, v21, 0xffffff8a, vcc_lo
	s_delay_alu instid0(VALU_DEP_3) | instskip(NEXT) | instid1(VALU_DEP_3)
	v_lshl_add_u32 v166, 0x100000, v165, -1
	v_lshrrev_b32_e32 v167, v165, v164
	v_lshlrev_b32_e64 v177, v165, 0x80000
	s_delay_alu instid0(VALU_DEP_4) | instskip(NEXT) | instid1(VALU_DEP_4)
	v_add_nc_u32_e32 v165, v165, v21
	v_and_b32_e32 v164, v166, v164
	s_delay_alu instid0(VALU_DEP_4) | instskip(NEXT) | instid1(VALU_DEP_2)
	v_bfe_u32 v176, v167, 20, 1
	v_cmp_eq_u32_e64 s13, v164, v177
	s_delay_alu instid0(VALU_DEP_2) | instskip(NEXT) | instid1(VALU_DEP_1)
	v_add_nc_u32_e32 v166, -1, v176
	v_cndmask_b32_e64 v164, 0, v166, s13
	v_lshrrev_b32_e32 v166, 23, v167
	s_mov_b32 s13, exec_lo
	s_delay_alu instid0(VALU_DEP_2) | instskip(NEXT) | instid1(VALU_DEP_2)
	v_add_nc_u32_e32 v164, v164, v167
	v_xor_b32_e32 v166, 1, v166
	s_delay_alu instid0(VALU_DEP_2) | instskip(NEXT) | instid1(VALU_DEP_1)
	v_and_b32_e32 v21, 0xfffff, v164
	v_add_nc_u32_e32 v164, v21, v167
                                        ; implicit-def: $vgpr21
	s_delay_alu instid0(VALU_DEP_3)
	v_cmpx_ne_u32_e64 v165, v166
	s_xor_b32 s13, exec_lo, s13
; %bb.3830:                             ;   in Loop: Header=BB4_3574 Depth=3
	s_delay_alu instid0(VALU_DEP_2) | instskip(SKIP_2) | instid1(VALU_DEP_2)
	v_cmp_lt_u32_e32 vcc_lo, 0xffffff, v164
	v_sub_nc_u32_e32 v21, v165, v166
	v_cndmask_b32_e64 v165, 0, 1, vcc_lo
	v_add_co_ci_u32_e32 v21, vcc_lo, 0, v21, vcc_lo
	s_delay_alu instid0(VALU_DEP_2)
	v_lshrrev_b32_e32 v164, v165, v164
; %bb.3831:                             ;   in Loop: Header=BB4_3574 Depth=3
	s_and_not1_saveexec_b32 s13, s13
; %bb.3832:                             ;   in Loop: Header=BB4_3574 Depth=3
	s_delay_alu instid0(VALU_DEP_1)
	v_bfe_u32 v21, v164, 23, 1
; %bb.3833:                             ;   in Loop: Header=BB4_3574 Depth=3
	s_or_b32 exec_lo, exec_lo, s13
	v_lshrrev_b32_e32 v164, 20, v164
	s_delay_alu instid0(VALU_DEP_2) | instskip(SKIP_2) | instid1(VALU_DEP_2)
	v_cmp_gt_i32_e32 vcc_lo, 16, v21
	v_lshrrev_b32_e32 v163, 24, v163
	v_min_i32_e32 v165, 15, v21
	v_dual_cndmask_b32 v164, 7, v164 :: v_dual_and_b32 v163, 0x80, v163
	s_delay_alu instid0(VALU_DEP_2) | instskip(NEXT) | instid1(VALU_DEP_2)
	v_lshlrev_b32_e32 v165, 3, v165
	v_or_b32_e32 v21, v21, v164
	s_delay_alu instid0(VALU_DEP_1) | instskip(SKIP_1) | instid1(VALU_DEP_1)
	v_cmp_ne_u32_e32 vcc_lo, 0, v21
	v_and_b32_e32 v166, 7, v164
	v_or3_b32 v163, v165, v163, v166
	s_delay_alu instid0(VALU_DEP_1)
	v_cndmask_b32_e32 v21, 0, v163, vcc_lo
.LBB4_3834:                             ;   in Loop: Header=BB4_3574 Depth=3
	s_or_b32 exec_lo, exec_lo, s31
.LBB4_3835:                             ;   in Loop: Header=BB4_3574 Depth=3
	s_delay_alu instid0(SALU_CYCLE_1) | instskip(SKIP_3) | instid1(VALU_DEP_2)
	s_or_b32 exec_lo, exec_lo, s17
	v_lshrrev_b16 v164, 8, v22
	v_lshrrev_b16 v163, 8, v18
	s_and_b32 vcc_lo, exec_lo, s16
	v_cmp_lt_i16_e64 s13, 0x7f, v164
	s_cbranch_vccz .LBB4_3845
; %bb.3836:                             ;   in Loop: Header=BB4_3574 Depth=3
	s_mov_b32 s17, 0
                                        ; implicit-def: $sgpr31
	s_delay_alu instid0(VALU_DEP_1) | instskip(NEXT) | instid1(SALU_CYCLE_1)
	s_and_saveexec_b32 vcc_lo, s13
	s_xor_b32 s13, exec_lo, vcc_lo
	s_cbranch_execnz .LBB4_4644
; %bb.3837:                             ;   in Loop: Header=BB4_3574 Depth=3
	s_or_saveexec_b32 s13, s13
	v_mov_b32_e32 v165, s31
	s_xor_b32 exec_lo, exec_lo, s13
	s_cbranch_execnz .LBB4_4647
.LBB4_3838:                             ;   in Loop: Header=BB4_3574 Depth=3
	s_or_b32 exec_lo, exec_lo, s13
	s_and_saveexec_b32 s13, s17
	s_cbranch_execz .LBB4_3840
.LBB4_3839:                             ;   in Loop: Header=BB4_3574 Depth=3
	v_and_b32_e32 v165, 0xffff, v164
	s_delay_alu instid0(VALU_DEP_1) | instskip(NEXT) | instid1(VALU_DEP_1)
	v_and_b32_e32 v166, 7, v165
	v_clz_i32_u32_e32 v167, v166
	s_delay_alu instid0(VALU_DEP_1) | instskip(NEXT) | instid1(VALU_DEP_1)
	v_min_u32_e32 v167, 32, v167
	v_subrev_nc_u32_e32 v176, 28, v167
	v_sub_nc_u32_e32 v167, 29, v167
	s_delay_alu instid0(VALU_DEP_2) | instskip(SKIP_1) | instid1(VALU_DEP_2)
	v_lshlrev_b32_e32 v176, v176, v165
	v_bfe_u32 v165, v165, 3, 4
	v_and_b32_e32 v176, 7, v176
	s_delay_alu instid0(VALU_DEP_2) | instskip(SKIP_1) | instid1(VALU_DEP_3)
	v_cmp_eq_u32_e32 vcc_lo, 0, v165
	v_cndmask_b32_e32 v165, v165, v167, vcc_lo
	v_dual_cndmask_b32 v166, v166, v176 :: v_dual_lshlrev_b32 v177, 16, v22
	s_delay_alu instid0(VALU_DEP_2) | instskip(NEXT) | instid1(VALU_DEP_2)
	v_lshl_add_u32 v165, v165, 23, 0x3b800000
	v_and_b32_e32 v167, 0x80000000, v177
	s_delay_alu instid0(VALU_DEP_3) | instskip(NEXT) | instid1(VALU_DEP_1)
	v_lshlrev_b32_e32 v166, 20, v166
	v_or3_b32 v165, v167, v165, v166
.LBB4_3840:                             ;   in Loop: Header=BB4_3574 Depth=3
	s_or_b32 exec_lo, exec_lo, s13
	s_mov_b32 s13, 0
	s_mov_b32 s31, exec_lo
                                        ; implicit-def: $sgpr17
	v_cmpx_lt_i16_e64 0x7f, v163
	s_xor_b32 s31, exec_lo, s31
	s_cbranch_execnz .LBB4_4648
; %bb.3841:                             ;   in Loop: Header=BB4_3574 Depth=3
	s_or_saveexec_b32 s31, s31
	v_mov_b32_e32 v166, s17
	s_xor_b32 exec_lo, exec_lo, s31
	s_cbranch_execnz .LBB4_4651
.LBB4_3842:                             ;   in Loop: Header=BB4_3574 Depth=3
	s_or_b32 exec_lo, exec_lo, s31
	s_and_saveexec_b32 s17, s13
	s_cbranch_execz .LBB4_3844
.LBB4_3843:                             ;   in Loop: Header=BB4_3574 Depth=3
	v_and_b32_e32 v166, 0xffff, v163
	v_lshlrev_b32_e32 v178, 16, v18
	s_delay_alu instid0(VALU_DEP_2) | instskip(NEXT) | instid1(VALU_DEP_1)
	v_and_b32_e32 v167, 7, v166
	v_clz_i32_u32_e32 v176, v167
	s_delay_alu instid0(VALU_DEP_1) | instskip(NEXT) | instid1(VALU_DEP_1)
	v_min_u32_e32 v176, 32, v176
	v_subrev_nc_u32_e32 v177, 28, v176
	v_sub_nc_u32_e32 v176, 29, v176
	s_delay_alu instid0(VALU_DEP_2) | instskip(SKIP_1) | instid1(VALU_DEP_2)
	v_lshlrev_b32_e32 v177, v177, v166
	v_bfe_u32 v166, v166, 3, 4
	v_and_b32_e32 v177, 7, v177
	s_delay_alu instid0(VALU_DEP_2) | instskip(NEXT) | instid1(VALU_DEP_2)
	v_cmp_eq_u32_e32 vcc_lo, 0, v166
	v_dual_cndmask_b32 v166, v166, v176 :: v_dual_cndmask_b32 v167, v167, v177
	v_and_b32_e32 v176, 0x80000000, v178
	s_delay_alu instid0(VALU_DEP_2) | instskip(NEXT) | instid1(VALU_DEP_3)
	v_lshl_add_u32 v166, v166, 23, 0x3b800000
	v_lshlrev_b32_e32 v167, 20, v167
	s_delay_alu instid0(VALU_DEP_1)
	v_or3_b32 v166, v176, v166, v167
.LBB4_3844:                             ;   in Loop: Header=BB4_3574 Depth=3
	s_or_b32 exec_lo, exec_lo, s17
	s_delay_alu instid0(VALU_DEP_1) | instskip(SKIP_1) | instid1(VALU_DEP_1)
	v_dual_max_f32 v166, v166, v166 :: v_dual_max_f32 v165, v165, v165
	s_mov_b32 s13, 0
	v_max_f32_e32 v165, v165, v166
	s_branch .LBB4_3846
.LBB4_3845:                             ;   in Loop: Header=BB4_3574 Depth=3
	s_mov_b32 s13, -1
                                        ; implicit-def: $vgpr165
.LBB4_3846:                             ;   in Loop: Header=BB4_3574 Depth=3
	s_delay_alu instid0(SALU_CYCLE_1)
	s_and_b32 vcc_lo, exec_lo, s13
	s_cbranch_vccz .LBB4_3856
; %bb.3847:                             ;   in Loop: Header=BB4_3574 Depth=3
	s_mov_b32 s13, 0
	s_mov_b32 s31, exec_lo
                                        ; implicit-def: $sgpr17
	v_cmpx_lt_i16_e64 0x7f, v164
	s_xor_b32 s31, exec_lo, s31
	s_cbranch_execnz .LBB4_4652
; %bb.3848:                             ;   in Loop: Header=BB4_3574 Depth=3
	s_or_saveexec_b32 s31, s31
	v_mov_b32_e32 v165, s17
	s_xor_b32 exec_lo, exec_lo, s31
	s_cbranch_execnz .LBB4_4655
.LBB4_3849:                             ;   in Loop: Header=BB4_3574 Depth=3
	s_or_b32 exec_lo, exec_lo, s31
	s_and_saveexec_b32 s17, s13
	s_cbranch_execz .LBB4_3851
.LBB4_3850:                             ;   in Loop: Header=BB4_3574 Depth=3
	v_and_b32_e32 v164, 0xffff, v164
	v_lshlrev_b32_e32 v176, 16, v22
	s_delay_alu instid0(VALU_DEP_2) | instskip(NEXT) | instid1(VALU_DEP_1)
	v_and_b32_e32 v165, 7, v164
	v_clz_i32_u32_e32 v166, v165
	s_delay_alu instid0(VALU_DEP_1) | instskip(NEXT) | instid1(VALU_DEP_1)
	v_min_u32_e32 v166, 32, v166
	v_subrev_nc_u32_e32 v167, 28, v166
	v_sub_nc_u32_e32 v166, 29, v166
	s_delay_alu instid0(VALU_DEP_2) | instskip(SKIP_1) | instid1(VALU_DEP_2)
	v_lshlrev_b32_e32 v167, v167, v164
	v_bfe_u32 v164, v164, 3, 4
	v_and_b32_e32 v167, 7, v167
	s_delay_alu instid0(VALU_DEP_2) | instskip(NEXT) | instid1(VALU_DEP_2)
	v_cmp_eq_u32_e32 vcc_lo, 0, v164
	v_dual_cndmask_b32 v164, v164, v166 :: v_dual_cndmask_b32 v165, v165, v167
	v_and_b32_e32 v166, 0x80000000, v176
	s_delay_alu instid0(VALU_DEP_2) | instskip(NEXT) | instid1(VALU_DEP_3)
	v_lshl_add_u32 v164, v164, 23, 0x3b800000
	v_lshlrev_b32_e32 v165, 20, v165
	s_delay_alu instid0(VALU_DEP_1)
	v_or3_b32 v165, v166, v164, v165
.LBB4_3851:                             ;   in Loop: Header=BB4_3574 Depth=3
	s_or_b32 exec_lo, exec_lo, s17
	s_mov_b32 s13, 0
	s_mov_b32 s31, exec_lo
                                        ; implicit-def: $sgpr17
	v_cmpx_lt_i16_e64 0x7f, v163
	s_xor_b32 s31, exec_lo, s31
	s_cbranch_execnz .LBB4_4656
; %bb.3852:                             ;   in Loop: Header=BB4_3574 Depth=3
	s_or_saveexec_b32 s31, s31
	v_mov_b32_e32 v164, s17
	s_xor_b32 exec_lo, exec_lo, s31
	s_cbranch_execnz .LBB4_4659
.LBB4_3853:                             ;   in Loop: Header=BB4_3574 Depth=3
	s_or_b32 exec_lo, exec_lo, s31
	s_and_saveexec_b32 s17, s13
	s_cbranch_execz .LBB4_3855
.LBB4_3854:                             ;   in Loop: Header=BB4_3574 Depth=3
	v_and_b32_e32 v163, 0xffff, v163
	v_lshlrev_b32_e32 v176, 16, v18
	s_delay_alu instid0(VALU_DEP_2) | instskip(NEXT) | instid1(VALU_DEP_1)
	v_and_b32_e32 v164, 7, v163
	v_clz_i32_u32_e32 v166, v164
	s_delay_alu instid0(VALU_DEP_1) | instskip(NEXT) | instid1(VALU_DEP_1)
	v_min_u32_e32 v166, 32, v166
	v_subrev_nc_u32_e32 v167, 28, v166
	v_sub_nc_u32_e32 v166, 29, v166
	s_delay_alu instid0(VALU_DEP_2) | instskip(SKIP_1) | instid1(VALU_DEP_2)
	v_lshlrev_b32_e32 v167, v167, v163
	v_bfe_u32 v163, v163, 3, 4
	v_and_b32_e32 v167, 7, v167
	s_delay_alu instid0(VALU_DEP_2) | instskip(NEXT) | instid1(VALU_DEP_2)
	v_cmp_eq_u32_e32 vcc_lo, 0, v163
	v_dual_cndmask_b32 v163, v163, v166 :: v_dual_cndmask_b32 v164, v164, v167
	v_and_b32_e32 v166, 0x80000000, v176
	s_delay_alu instid0(VALU_DEP_2) | instskip(NEXT) | instid1(VALU_DEP_3)
	v_lshl_add_u32 v163, v163, 23, 0x3b800000
	v_lshlrev_b32_e32 v164, 20, v164
	s_delay_alu instid0(VALU_DEP_1)
	v_or3_b32 v164, v166, v163, v164
.LBB4_3855:                             ;   in Loop: Header=BB4_3574 Depth=3
	s_or_b32 exec_lo, exec_lo, s17
	s_delay_alu instid0(VALU_DEP_1) | instskip(NEXT) | instid1(VALU_DEP_1)
	v_dual_max_f32 v163, v164, v164 :: v_dual_max_f32 v164, v165, v165
	v_min_f32_e32 v165, v164, v163
.LBB4_3856:                             ;   in Loop: Header=BB4_3574 Depth=3
	s_delay_alu instid0(VALU_DEP_1) | instskip(NEXT) | instid1(VALU_DEP_1)
	v_and_b32_e32 v163, 0x7f800000, v165
	v_cmp_ne_u32_e32 vcc_lo, 0x7f800000, v163
	v_mov_b32_e32 v163, 0x80
	s_and_saveexec_b32 s17, vcc_lo
	s_cbranch_execz .LBB4_3864
; %bb.3857:                             ;   in Loop: Header=BB4_3574 Depth=3
	v_mov_b32_e32 v163, 0
	s_mov_b32 s31, exec_lo
	v_cmpx_ne_u32_e32 0, v165
	s_cbranch_execz .LBB4_3863
; %bb.3858:                             ;   in Loop: Header=BB4_3574 Depth=3
	v_bfe_u32 v163, v165, 23, 8
	v_and_b32_e32 v164, 0x7fffff, v165
	s_delay_alu instid0(VALU_DEP_2) | instskip(SKIP_1) | instid1(VALU_DEP_3)
	v_sub_nc_u32_e32 v166, 0x78, v163
	v_cmp_gt_u32_e32 vcc_lo, 0x79, v163
	v_or_b32_e32 v167, 0x800000, v164
	s_delay_alu instid0(VALU_DEP_3) | instskip(SKIP_2) | instid1(VALU_DEP_3)
	v_cndmask_b32_e32 v166, 0, v166, vcc_lo
	v_cmp_eq_u32_e32 vcc_lo, 0, v163
	v_add_nc_u32_e32 v163, 0xffffff89, v163
	v_cndmask_b32_e64 v166, v166, 0x77, vcc_lo
	v_cndmask_b32_e32 v164, v167, v164, vcc_lo
	s_delay_alu instid0(VALU_DEP_3) | instskip(NEXT) | instid1(VALU_DEP_3)
	v_cndmask_b32_e64 v163, v163, 0xffffff8a, vcc_lo
	v_lshl_add_u32 v167, 0x100000, v166, -1
	s_delay_alu instid0(VALU_DEP_3) | instskip(SKIP_1) | instid1(VALU_DEP_4)
	v_lshrrev_b32_e32 v176, v166, v164
	v_lshlrev_b32_e64 v178, v166, 0x80000
	v_add_nc_u32_e32 v166, v166, v163
	s_delay_alu instid0(VALU_DEP_4) | instskip(NEXT) | instid1(VALU_DEP_4)
	v_and_b32_e32 v164, v167, v164
	v_bfe_u32 v177, v176, 20, 1
	s_delay_alu instid0(VALU_DEP_2) | instskip(NEXT) | instid1(VALU_DEP_2)
	v_cmp_eq_u32_e64 s13, v164, v178
	v_add_nc_u32_e32 v167, -1, v177
	s_delay_alu instid0(VALU_DEP_1) | instskip(SKIP_2) | instid1(VALU_DEP_2)
	v_cndmask_b32_e64 v164, 0, v167, s13
	v_lshrrev_b32_e32 v167, 23, v176
	s_mov_b32 s13, exec_lo
	v_add_nc_u32_e32 v164, v164, v176
	s_delay_alu instid0(VALU_DEP_2) | instskip(NEXT) | instid1(VALU_DEP_2)
	v_xor_b32_e32 v167, 1, v167
	v_and_b32_e32 v163, 0xfffff, v164
	s_delay_alu instid0(VALU_DEP_1) | instskip(NEXT) | instid1(VALU_DEP_3)
	v_add_nc_u32_e32 v164, v163, v176
                                        ; implicit-def: $vgpr163
	v_cmpx_ne_u32_e64 v166, v167
	s_xor_b32 s13, exec_lo, s13
; %bb.3859:                             ;   in Loop: Header=BB4_3574 Depth=3
	s_delay_alu instid0(VALU_DEP_2) | instskip(SKIP_2) | instid1(VALU_DEP_2)
	v_cmp_lt_u32_e32 vcc_lo, 0xffffff, v164
	v_sub_nc_u32_e32 v163, v166, v167
	v_cndmask_b32_e64 v166, 0, 1, vcc_lo
	v_add_co_ci_u32_e32 v163, vcc_lo, 0, v163, vcc_lo
	s_delay_alu instid0(VALU_DEP_2)
	v_lshrrev_b32_e32 v164, v166, v164
; %bb.3860:                             ;   in Loop: Header=BB4_3574 Depth=3
	s_and_not1_saveexec_b32 s13, s13
; %bb.3861:                             ;   in Loop: Header=BB4_3574 Depth=3
	s_delay_alu instid0(VALU_DEP_1)
	v_bfe_u32 v163, v164, 23, 1
; %bb.3862:                             ;   in Loop: Header=BB4_3574 Depth=3
	s_or_b32 exec_lo, exec_lo, s13
	v_lshrrev_b32_e32 v164, 20, v164
	s_delay_alu instid0(VALU_DEP_2) | instskip(SKIP_2) | instid1(VALU_DEP_2)
	v_cmp_gt_i32_e32 vcc_lo, 16, v163
	v_lshrrev_b32_e32 v165, 24, v165
	v_min_i32_e32 v166, 15, v163
	v_dual_cndmask_b32 v164, 7, v164 :: v_dual_and_b32 v165, 0x80, v165
	s_delay_alu instid0(VALU_DEP_1) | instskip(SKIP_1) | instid1(VALU_DEP_2)
	v_or_b32_e32 v163, v163, v164
	v_and_b32_e32 v167, 7, v164
	v_cmp_ne_u32_e32 vcc_lo, 0, v163
	v_lshlrev_b32_e32 v166, 3, v166
	s_delay_alu instid0(VALU_DEP_1) | instskip(NEXT) | instid1(VALU_DEP_1)
	v_or3_b32 v164, v166, v165, v167
	v_cndmask_b32_e32 v163, 0, v164, vcc_lo
.LBB4_3863:                             ;   in Loop: Header=BB4_3574 Depth=3
	s_or_b32 exec_lo, exec_lo, s31
.LBB4_3864:                             ;   in Loop: Header=BB4_3574 Depth=3
	s_delay_alu instid0(SALU_CYCLE_1) | instskip(SKIP_3) | instid1(VALU_DEP_2)
	s_or_b32 exec_lo, exec_lo, s17
	v_lshrrev_b32_e32 v165, 16, v22
	v_lshrrev_b32_e32 v164, 16, v18
	s_and_b32 vcc_lo, exec_lo, s16
	v_and_b32_e32 v166, 0xff, v165
	s_delay_alu instid0(VALU_DEP_1)
	v_cmp_lt_i16_e64 s13, 0x7f, v166
	s_cbranch_vccz .LBB4_3874
; %bb.3865:                             ;   in Loop: Header=BB4_3574 Depth=3
	s_mov_b32 s17, 0
                                        ; implicit-def: $sgpr31
	s_delay_alu instid0(VALU_DEP_1) | instskip(NEXT) | instid1(SALU_CYCLE_1)
	s_and_saveexec_b32 vcc_lo, s13
	s_xor_b32 s13, exec_lo, vcc_lo
	s_cbranch_execnz .LBB4_4660
; %bb.3866:                             ;   in Loop: Header=BB4_3574 Depth=3
	s_or_saveexec_b32 s13, s13
	v_mov_b32_e32 v167, s31
	s_xor_b32 exec_lo, exec_lo, s13
	s_cbranch_execnz .LBB4_4663
.LBB4_3867:                             ;   in Loop: Header=BB4_3574 Depth=3
	s_or_b32 exec_lo, exec_lo, s13
	s_and_saveexec_b32 s13, s17
	s_cbranch_execz .LBB4_3869
.LBB4_3868:                             ;   in Loop: Header=BB4_3574 Depth=3
	v_bfe_u32 v167, v22, 16, 3
	v_bfe_u32 v178, v22, 19, 4
	v_lshlrev_b32_e32 v179, 24, v165
	s_delay_alu instid0(VALU_DEP_3) | instskip(NEXT) | instid1(VALU_DEP_3)
	v_clz_i32_u32_e32 v176, v167
	v_cmp_eq_u32_e32 vcc_lo, 0, v178
	s_delay_alu instid0(VALU_DEP_2) | instskip(NEXT) | instid1(VALU_DEP_1)
	v_min_u32_e32 v176, 32, v176
	v_subrev_nc_u32_e32 v177, 28, v176
	v_sub_nc_u32_e32 v176, 29, v176
	s_delay_alu instid0(VALU_DEP_1) | instskip(NEXT) | instid1(VALU_DEP_1)
	v_dual_cndmask_b32 v176, v178, v176 :: v_dual_lshlrev_b32 v177, v177, v165
	v_and_b32_e32 v177, 7, v177
	s_delay_alu instid0(VALU_DEP_2) | instskip(NEXT) | instid1(VALU_DEP_2)
	v_lshl_add_u32 v176, v176, 23, 0x3b800000
	v_cndmask_b32_e32 v167, v167, v177, vcc_lo
	v_and_b32_e32 v177, 0x80000000, v179
	s_delay_alu instid0(VALU_DEP_2) | instskip(NEXT) | instid1(VALU_DEP_1)
	v_lshlrev_b32_e32 v167, 20, v167
	v_or3_b32 v167, v177, v176, v167
.LBB4_3869:                             ;   in Loop: Header=BB4_3574 Depth=3
	s_or_b32 exec_lo, exec_lo, s13
	v_and_b32_e32 v177, 0xff, v164
	s_mov_b32 s13, 0
	s_mov_b32 s31, exec_lo
                                        ; implicit-def: $sgpr17
	s_delay_alu instid0(VALU_DEP_1)
	v_cmpx_lt_i16_e64 0x7f, v177
	s_xor_b32 s31, exec_lo, s31
	s_cbranch_execnz .LBB4_4664
; %bb.3870:                             ;   in Loop: Header=BB4_3574 Depth=3
	s_or_saveexec_b32 s31, s31
	v_mov_b32_e32 v176, s17
	s_xor_b32 exec_lo, exec_lo, s31
	s_cbranch_execnz .LBB4_4667
.LBB4_3871:                             ;   in Loop: Header=BB4_3574 Depth=3
	s_or_b32 exec_lo, exec_lo, s31
	s_and_saveexec_b32 s17, s13
	s_cbranch_execz .LBB4_3873
.LBB4_3872:                             ;   in Loop: Header=BB4_3574 Depth=3
	v_bfe_u32 v176, v18, 16, 3
	v_bfe_u32 v179, v18, 19, 4
	v_lshlrev_b32_e32 v180, 24, v164
	s_delay_alu instid0(VALU_DEP_3) | instskip(NEXT) | instid1(VALU_DEP_3)
	v_clz_i32_u32_e32 v177, v176
	v_cmp_eq_u32_e32 vcc_lo, 0, v179
	s_delay_alu instid0(VALU_DEP_2) | instskip(NEXT) | instid1(VALU_DEP_1)
	v_min_u32_e32 v177, 32, v177
	v_subrev_nc_u32_e32 v178, 28, v177
	v_sub_nc_u32_e32 v177, 29, v177
	s_delay_alu instid0(VALU_DEP_1) | instskip(NEXT) | instid1(VALU_DEP_1)
	v_dual_cndmask_b32 v177, v179, v177 :: v_dual_lshlrev_b32 v178, v178, v164
	v_and_b32_e32 v178, 7, v178
	s_delay_alu instid0(VALU_DEP_2) | instskip(NEXT) | instid1(VALU_DEP_2)
	v_lshl_add_u32 v177, v177, 23, 0x3b800000
	v_cndmask_b32_e32 v176, v176, v178, vcc_lo
	v_and_b32_e32 v178, 0x80000000, v180
	s_delay_alu instid0(VALU_DEP_2) | instskip(NEXT) | instid1(VALU_DEP_1)
	v_lshlrev_b32_e32 v176, 20, v176
	v_or3_b32 v176, v178, v177, v176
.LBB4_3873:                             ;   in Loop: Header=BB4_3574 Depth=3
	s_or_b32 exec_lo, exec_lo, s17
	s_delay_alu instid0(VALU_DEP_1) | instskip(SKIP_1) | instid1(VALU_DEP_1)
	v_dual_max_f32 v176, v176, v176 :: v_dual_max_f32 v167, v167, v167
	s_mov_b32 s13, 0
	v_max_f32_e32 v167, v167, v176
	s_branch .LBB4_3875
.LBB4_3874:                             ;   in Loop: Header=BB4_3574 Depth=3
	s_mov_b32 s13, -1
                                        ; implicit-def: $vgpr167
.LBB4_3875:                             ;   in Loop: Header=BB4_3574 Depth=3
	s_delay_alu instid0(SALU_CYCLE_1)
	s_and_b32 vcc_lo, exec_lo, s13
	s_cbranch_vccz .LBB4_3885
; %bb.3876:                             ;   in Loop: Header=BB4_3574 Depth=3
	s_mov_b32 s13, 0
	s_mov_b32 s31, exec_lo
                                        ; implicit-def: $sgpr17
	v_cmpx_lt_i16_e64 0x7f, v166
	s_xor_b32 s31, exec_lo, s31
	s_cbranch_execnz .LBB4_4668
; %bb.3877:                             ;   in Loop: Header=BB4_3574 Depth=3
	s_or_saveexec_b32 s31, s31
	v_mov_b32_e32 v167, s17
	s_xor_b32 exec_lo, exec_lo, s31
	s_cbranch_execnz .LBB4_4671
.LBB4_3878:                             ;   in Loop: Header=BB4_3574 Depth=3
	s_or_b32 exec_lo, exec_lo, s31
	s_and_saveexec_b32 s17, s13
	s_cbranch_execz .LBB4_3880
.LBB4_3879:                             ;   in Loop: Header=BB4_3574 Depth=3
	v_bfe_u32 v166, v22, 16, 3
	v_bfe_u32 v177, v22, 19, 4
	s_delay_alu instid0(VALU_DEP_2) | instskip(NEXT) | instid1(VALU_DEP_2)
	v_clz_i32_u32_e32 v167, v166
	v_cmp_eq_u32_e32 vcc_lo, 0, v177
	s_delay_alu instid0(VALU_DEP_2) | instskip(NEXT) | instid1(VALU_DEP_1)
	v_min_u32_e32 v167, 32, v167
	v_subrev_nc_u32_e32 v176, 28, v167
	v_sub_nc_u32_e32 v167, 29, v167
	s_delay_alu instid0(VALU_DEP_1) | instskip(NEXT) | instid1(VALU_DEP_1)
	v_dual_cndmask_b32 v167, v177, v167 :: v_dual_lshlrev_b32 v176, v176, v165
	v_and_b32_e32 v176, 7, v176
	v_lshlrev_b32_e32 v165, 24, v165
	s_delay_alu instid0(VALU_DEP_3) | instskip(NEXT) | instid1(VALU_DEP_2)
	v_lshl_add_u32 v167, v167, 23, 0x3b800000
	v_dual_cndmask_b32 v166, v166, v176 :: v_dual_and_b32 v165, 0x80000000, v165
	s_delay_alu instid0(VALU_DEP_1) | instskip(NEXT) | instid1(VALU_DEP_1)
	v_lshlrev_b32_e32 v166, 20, v166
	v_or3_b32 v167, v165, v167, v166
.LBB4_3880:                             ;   in Loop: Header=BB4_3574 Depth=3
	s_or_b32 exec_lo, exec_lo, s17
	v_and_b32_e32 v166, 0xff, v164
	s_mov_b32 s13, 0
	s_mov_b32 s31, exec_lo
                                        ; implicit-def: $sgpr17
	s_delay_alu instid0(VALU_DEP_1)
	v_cmpx_lt_i16_e64 0x7f, v166
	s_xor_b32 s31, exec_lo, s31
	s_cbranch_execnz .LBB4_4672
; %bb.3881:                             ;   in Loop: Header=BB4_3574 Depth=3
	s_or_saveexec_b32 s31, s31
	v_mov_b32_e32 v165, s17
	s_xor_b32 exec_lo, exec_lo, s31
	s_cbranch_execnz .LBB4_4675
.LBB4_3882:                             ;   in Loop: Header=BB4_3574 Depth=3
	s_or_b32 exec_lo, exec_lo, s31
	s_and_saveexec_b32 s17, s13
	s_cbranch_execz .LBB4_3884
.LBB4_3883:                             ;   in Loop: Header=BB4_3574 Depth=3
	v_bfe_u32 v165, v18, 16, 3
	v_bfe_u32 v177, v18, 19, 4
	s_delay_alu instid0(VALU_DEP_2) | instskip(NEXT) | instid1(VALU_DEP_2)
	v_clz_i32_u32_e32 v166, v165
	v_cmp_eq_u32_e32 vcc_lo, 0, v177
	s_delay_alu instid0(VALU_DEP_2) | instskip(NEXT) | instid1(VALU_DEP_1)
	v_min_u32_e32 v166, 32, v166
	v_subrev_nc_u32_e32 v176, 28, v166
	v_sub_nc_u32_e32 v166, 29, v166
	s_delay_alu instid0(VALU_DEP_2) | instskip(SKIP_1) | instid1(VALU_DEP_2)
	v_lshlrev_b32_e32 v176, v176, v164
	v_lshlrev_b32_e32 v164, 24, v164
	v_and_b32_e32 v176, 7, v176
	s_delay_alu instid0(VALU_DEP_2) | instskip(NEXT) | instid1(VALU_DEP_2)
	v_and_b32_e32 v164, 0x80000000, v164
	v_cndmask_b32_e32 v165, v165, v176, vcc_lo
	s_delay_alu instid0(VALU_DEP_1) | instskip(NEXT) | instid1(VALU_DEP_1)
	v_dual_cndmask_b32 v166, v177, v166 :: v_dual_lshlrev_b32 v165, 20, v165
	v_lshl_add_u32 v166, v166, 23, 0x3b800000
	s_delay_alu instid0(VALU_DEP_1)
	v_or3_b32 v165, v164, v166, v165
.LBB4_3884:                             ;   in Loop: Header=BB4_3574 Depth=3
	s_or_b32 exec_lo, exec_lo, s17
	s_delay_alu instid0(VALU_DEP_1) | instskip(NEXT) | instid1(VALU_DEP_1)
	v_dual_max_f32 v164, v165, v165 :: v_dual_max_f32 v165, v167, v167
	v_min_f32_e32 v167, v165, v164
.LBB4_3885:                             ;   in Loop: Header=BB4_3574 Depth=3
	s_delay_alu instid0(VALU_DEP_1) | instskip(NEXT) | instid1(VALU_DEP_1)
	v_and_b32_e32 v164, 0x7f800000, v167
	v_cmp_ne_u32_e32 vcc_lo, 0x7f800000, v164
	v_mov_b32_e32 v164, 0x80
	s_and_saveexec_b32 s17, vcc_lo
	s_cbranch_execz .LBB4_3893
; %bb.3886:                             ;   in Loop: Header=BB4_3574 Depth=3
	v_mov_b32_e32 v164, 0
	s_mov_b32 s31, exec_lo
	v_cmpx_ne_u32_e32 0, v167
	s_cbranch_execz .LBB4_3892
; %bb.3887:                             ;   in Loop: Header=BB4_3574 Depth=3
	v_bfe_u32 v164, v167, 23, 8
	s_delay_alu instid0(VALU_DEP_1) | instskip(SKIP_1) | instid1(VALU_DEP_2)
	v_sub_nc_u32_e32 v166, 0x78, v164
	v_cmp_gt_u32_e32 vcc_lo, 0x79, v164
	v_dual_cndmask_b32 v166, 0, v166 :: v_dual_and_b32 v165, 0x7fffff, v167
	s_delay_alu instid0(VALU_DEP_1) | instskip(SKIP_2) | instid1(VALU_DEP_4)
	v_or_b32_e32 v176, 0x800000, v165
	v_cmp_eq_u32_e32 vcc_lo, 0, v164
	v_add_nc_u32_e32 v164, 0xffffff89, v164
	v_cndmask_b32_e64 v166, v166, 0x77, vcc_lo
	s_delay_alu instid0(VALU_DEP_4) | instskip(NEXT) | instid1(VALU_DEP_3)
	v_cndmask_b32_e32 v165, v176, v165, vcc_lo
	v_cndmask_b32_e64 v164, v164, 0xffffff8a, vcc_lo
	s_delay_alu instid0(VALU_DEP_3) | instskip(NEXT) | instid1(VALU_DEP_3)
	v_lshl_add_u32 v176, 0x100000, v166, -1
	v_lshrrev_b32_e32 v177, v166, v165
	v_lshlrev_b32_e64 v179, v166, 0x80000
	s_delay_alu instid0(VALU_DEP_4) | instskip(NEXT) | instid1(VALU_DEP_4)
	v_add_nc_u32_e32 v166, v166, v164
	v_and_b32_e32 v165, v176, v165
	s_delay_alu instid0(VALU_DEP_4) | instskip(NEXT) | instid1(VALU_DEP_2)
	v_bfe_u32 v178, v177, 20, 1
	v_cmp_eq_u32_e64 s13, v165, v179
	s_delay_alu instid0(VALU_DEP_2) | instskip(NEXT) | instid1(VALU_DEP_1)
	v_add_nc_u32_e32 v176, -1, v178
	v_cndmask_b32_e64 v165, 0, v176, s13
	v_lshrrev_b32_e32 v176, 23, v177
	s_mov_b32 s13, exec_lo
	s_delay_alu instid0(VALU_DEP_2) | instskip(NEXT) | instid1(VALU_DEP_2)
	v_add_nc_u32_e32 v165, v165, v177
	v_xor_b32_e32 v176, 1, v176
	s_delay_alu instid0(VALU_DEP_2) | instskip(NEXT) | instid1(VALU_DEP_1)
	v_and_b32_e32 v164, 0xfffff, v165
	v_add_nc_u32_e32 v165, v164, v177
                                        ; implicit-def: $vgpr164
	s_delay_alu instid0(VALU_DEP_3)
	v_cmpx_ne_u32_e64 v166, v176
	s_xor_b32 s13, exec_lo, s13
; %bb.3888:                             ;   in Loop: Header=BB4_3574 Depth=3
	s_delay_alu instid0(VALU_DEP_2) | instskip(SKIP_2) | instid1(VALU_DEP_2)
	v_cmp_lt_u32_e32 vcc_lo, 0xffffff, v165
	v_sub_nc_u32_e32 v164, v166, v176
	v_cndmask_b32_e64 v166, 0, 1, vcc_lo
	v_add_co_ci_u32_e32 v164, vcc_lo, 0, v164, vcc_lo
	s_delay_alu instid0(VALU_DEP_2)
	v_lshrrev_b32_e32 v165, v166, v165
; %bb.3889:                             ;   in Loop: Header=BB4_3574 Depth=3
	s_and_not1_saveexec_b32 s13, s13
; %bb.3890:                             ;   in Loop: Header=BB4_3574 Depth=3
	s_delay_alu instid0(VALU_DEP_1)
	v_bfe_u32 v164, v165, 23, 1
; %bb.3891:                             ;   in Loop: Header=BB4_3574 Depth=3
	s_or_b32 exec_lo, exec_lo, s13
	v_lshrrev_b32_e32 v165, 20, v165
	s_delay_alu instid0(VALU_DEP_2) | instskip(SKIP_2) | instid1(VALU_DEP_2)
	v_cmp_gt_i32_e32 vcc_lo, 16, v164
	v_lshrrev_b32_e32 v166, 24, v167
	v_min_i32_e32 v167, 15, v164
	v_dual_cndmask_b32 v165, 7, v165 :: v_dual_and_b32 v166, 0x80, v166
	s_delay_alu instid0(VALU_DEP_1) | instskip(SKIP_1) | instid1(VALU_DEP_2)
	v_or_b32_e32 v164, v164, v165
	v_and_b32_e32 v176, 7, v165
	v_cmp_ne_u32_e32 vcc_lo, 0, v164
	v_lshlrev_b32_e32 v167, 3, v167
	s_delay_alu instid0(VALU_DEP_1) | instskip(NEXT) | instid1(VALU_DEP_1)
	v_or3_b32 v165, v167, v166, v176
	v_cndmask_b32_e32 v164, 0, v165, vcc_lo
.LBB4_3892:                             ;   in Loop: Header=BB4_3574 Depth=3
	s_or_b32 exec_lo, exec_lo, s31
.LBB4_3893:                             ;   in Loop: Header=BB4_3574 Depth=3
	s_delay_alu instid0(SALU_CYCLE_1) | instskip(SKIP_3) | instid1(VALU_DEP_2)
	s_or_b32 exec_lo, exec_lo, s17
	v_lshrrev_b32_e32 v166, 24, v22
	v_lshrrev_b32_e32 v165, 24, v18
	s_and_b32 vcc_lo, exec_lo, s16
	v_cmp_lt_i16_e64 s13, 0x7f, v166
	s_cbranch_vccz .LBB4_3903
; %bb.3894:                             ;   in Loop: Header=BB4_3574 Depth=3
	s_mov_b32 s17, 0
                                        ; implicit-def: $sgpr31
	s_delay_alu instid0(VALU_DEP_1) | instskip(NEXT) | instid1(SALU_CYCLE_1)
	s_and_saveexec_b32 vcc_lo, s13
	s_xor_b32 s13, exec_lo, vcc_lo
	s_cbranch_execnz .LBB4_4676
; %bb.3895:                             ;   in Loop: Header=BB4_3574 Depth=3
	s_or_saveexec_b32 s13, s13
	v_mov_b32_e32 v167, s31
	s_xor_b32 exec_lo, exec_lo, s13
	s_cbranch_execnz .LBB4_4679
.LBB4_3896:                             ;   in Loop: Header=BB4_3574 Depth=3
	s_or_b32 exec_lo, exec_lo, s13
	s_and_saveexec_b32 s13, s17
	s_cbranch_execz .LBB4_3898
.LBB4_3897:                             ;   in Loop: Header=BB4_3574 Depth=3
	v_bfe_u32 v167, v22, 24, 3
	v_bfe_u32 v178, v22, 27, 4
	s_delay_alu instid0(VALU_DEP_2) | instskip(NEXT) | instid1(VALU_DEP_2)
	v_clz_i32_u32_e32 v176, v167
	v_cmp_eq_u32_e32 vcc_lo, 0, v178
	s_delay_alu instid0(VALU_DEP_2) | instskip(NEXT) | instid1(VALU_DEP_1)
	v_min_u32_e32 v176, 32, v176
	v_subrev_nc_u32_e32 v177, 28, v176
	v_sub_nc_u32_e32 v176, 29, v176
	s_delay_alu instid0(VALU_DEP_1) | instskip(NEXT) | instid1(VALU_DEP_1)
	v_dual_cndmask_b32 v176, v178, v176 :: v_dual_lshlrev_b32 v177, v177, v166
	v_and_b32_e32 v177, 7, v177
	s_delay_alu instid0(VALU_DEP_2) | instskip(NEXT) | instid1(VALU_DEP_2)
	v_lshl_add_u32 v176, v176, 23, 0x3b800000
	v_cndmask_b32_e32 v167, v167, v177, vcc_lo
	v_and_b32_e32 v177, 0x80000000, v22
	s_delay_alu instid0(VALU_DEP_2) | instskip(NEXT) | instid1(VALU_DEP_1)
	v_lshlrev_b32_e32 v167, 20, v167
	v_or3_b32 v167, v177, v176, v167
.LBB4_3898:                             ;   in Loop: Header=BB4_3574 Depth=3
	s_or_b32 exec_lo, exec_lo, s13
	s_mov_b32 s13, 0
	s_mov_b32 s31, exec_lo
                                        ; implicit-def: $sgpr17
	v_cmpx_lt_i16_e64 0x7f, v165
	s_xor_b32 s31, exec_lo, s31
	s_cbranch_execnz .LBB4_4680
; %bb.3899:                             ;   in Loop: Header=BB4_3574 Depth=3
	s_or_saveexec_b32 s31, s31
	v_mov_b32_e32 v176, s17
	s_xor_b32 exec_lo, exec_lo, s31
	s_cbranch_execnz .LBB4_4683
.LBB4_3900:                             ;   in Loop: Header=BB4_3574 Depth=3
	s_or_b32 exec_lo, exec_lo, s31
	s_and_saveexec_b32 s17, s13
	s_cbranch_execz .LBB4_3902
.LBB4_3901:                             ;   in Loop: Header=BB4_3574 Depth=3
	v_bfe_u32 v176, v18, 24, 3
	v_bfe_u32 v179, v18, 27, 4
	s_delay_alu instid0(VALU_DEP_2) | instskip(NEXT) | instid1(VALU_DEP_2)
	v_clz_i32_u32_e32 v177, v176
	v_cmp_eq_u32_e32 vcc_lo, 0, v179
	s_delay_alu instid0(VALU_DEP_2) | instskip(NEXT) | instid1(VALU_DEP_1)
	v_min_u32_e32 v177, 32, v177
	v_subrev_nc_u32_e32 v178, 28, v177
	v_sub_nc_u32_e32 v177, 29, v177
	s_delay_alu instid0(VALU_DEP_2) | instskip(NEXT) | instid1(VALU_DEP_1)
	v_lshlrev_b32_e32 v178, v178, v165
	v_dual_cndmask_b32 v177, v179, v177 :: v_dual_and_b32 v178, 7, v178
	s_delay_alu instid0(VALU_DEP_1) | instskip(NEXT) | instid1(VALU_DEP_2)
	v_lshl_add_u32 v177, v177, 23, 0x3b800000
	v_cndmask_b32_e32 v176, v176, v178, vcc_lo
	v_and_b32_e32 v178, 0x80000000, v18
	s_delay_alu instid0(VALU_DEP_2) | instskip(NEXT) | instid1(VALU_DEP_1)
	v_lshlrev_b32_e32 v176, 20, v176
	v_or3_b32 v176, v178, v177, v176
.LBB4_3902:                             ;   in Loop: Header=BB4_3574 Depth=3
	s_or_b32 exec_lo, exec_lo, s17
	s_delay_alu instid0(VALU_DEP_1) | instskip(SKIP_1) | instid1(VALU_DEP_1)
	v_dual_max_f32 v176, v176, v176 :: v_dual_max_f32 v167, v167, v167
	s_mov_b32 s13, 0
	v_max_f32_e32 v167, v167, v176
	s_branch .LBB4_3904
.LBB4_3903:                             ;   in Loop: Header=BB4_3574 Depth=3
	s_mov_b32 s13, -1
                                        ; implicit-def: $vgpr167
.LBB4_3904:                             ;   in Loop: Header=BB4_3574 Depth=3
	s_delay_alu instid0(SALU_CYCLE_1)
	s_and_b32 vcc_lo, exec_lo, s13
	s_cbranch_vccz .LBB4_3914
; %bb.3905:                             ;   in Loop: Header=BB4_3574 Depth=3
	s_mov_b32 s13, 0
	s_mov_b32 s31, exec_lo
                                        ; implicit-def: $sgpr17
	v_cmpx_lt_i16_e64 0x7f, v166
	s_xor_b32 s31, exec_lo, s31
	s_cbranch_execnz .LBB4_4684
; %bb.3906:                             ;   in Loop: Header=BB4_3574 Depth=3
	s_or_saveexec_b32 s31, s31
	v_mov_b32_e32 v167, s17
	s_xor_b32 exec_lo, exec_lo, s31
	s_cbranch_execnz .LBB4_4687
.LBB4_3907:                             ;   in Loop: Header=BB4_3574 Depth=3
	s_or_b32 exec_lo, exec_lo, s31
	s_and_saveexec_b32 s17, s13
	s_cbranch_execz .LBB4_3909
.LBB4_3908:                             ;   in Loop: Header=BB4_3574 Depth=3
	v_bfe_u32 v167, v22, 24, 3
	s_delay_alu instid0(VALU_DEP_1) | instskip(NEXT) | instid1(VALU_DEP_1)
	v_clz_i32_u32_e32 v176, v167
	v_min_u32_e32 v176, 32, v176
	s_delay_alu instid0(VALU_DEP_1) | instskip(SKIP_1) | instid1(VALU_DEP_2)
	v_subrev_nc_u32_e32 v177, 28, v176
	v_sub_nc_u32_e32 v176, 29, v176
	v_lshlrev_b32_e32 v166, v177, v166
	v_bfe_u32 v177, v22, 27, 4
	v_and_b32_e32 v22, 0x80000000, v22
	s_delay_alu instid0(VALU_DEP_3) | instskip(NEXT) | instid1(VALU_DEP_3)
	v_and_b32_e32 v166, 7, v166
	v_cmp_eq_u32_e32 vcc_lo, 0, v177
	v_cndmask_b32_e32 v176, v177, v176, vcc_lo
	s_delay_alu instid0(VALU_DEP_3) | instskip(NEXT) | instid1(VALU_DEP_2)
	v_cndmask_b32_e32 v166, v167, v166, vcc_lo
	v_lshl_add_u32 v167, v176, 23, 0x3b800000
	s_delay_alu instid0(VALU_DEP_2) | instskip(NEXT) | instid1(VALU_DEP_1)
	v_lshlrev_b32_e32 v166, 20, v166
	v_or3_b32 v167, v22, v167, v166
.LBB4_3909:                             ;   in Loop: Header=BB4_3574 Depth=3
	s_or_b32 exec_lo, exec_lo, s17
	s_mov_b32 s13, 0
	s_mov_b32 s31, exec_lo
                                        ; implicit-def: $sgpr17
	v_cmpx_lt_i16_e64 0x7f, v165
	s_xor_b32 s31, exec_lo, s31
	s_cbranch_execnz .LBB4_4688
; %bb.3910:                             ;   in Loop: Header=BB4_3574 Depth=3
	s_or_saveexec_b32 s31, s31
	v_mov_b32_e32 v22, s17
	s_xor_b32 exec_lo, exec_lo, s31
	s_cbranch_execnz .LBB4_4691
.LBB4_3911:                             ;   in Loop: Header=BB4_3574 Depth=3
	s_or_b32 exec_lo, exec_lo, s31
	s_and_saveexec_b32 s17, s13
	s_cbranch_execz .LBB4_3913
.LBB4_3912:                             ;   in Loop: Header=BB4_3574 Depth=3
	v_bfe_u32 v22, v18, 24, 3
	s_delay_alu instid0(VALU_DEP_1) | instskip(NEXT) | instid1(VALU_DEP_1)
	v_clz_i32_u32_e32 v166, v22
	v_min_u32_e32 v166, 32, v166
	s_delay_alu instid0(VALU_DEP_1) | instskip(SKIP_1) | instid1(VALU_DEP_2)
	v_subrev_nc_u32_e32 v176, 28, v166
	v_sub_nc_u32_e32 v166, 29, v166
	v_lshlrev_b32_e32 v165, v176, v165
	v_bfe_u32 v176, v18, 27, 4
	v_and_b32_e32 v18, 0x80000000, v18
	s_delay_alu instid0(VALU_DEP_2) | instskip(NEXT) | instid1(VALU_DEP_4)
	v_cmp_eq_u32_e32 vcc_lo, 0, v176
	v_dual_cndmask_b32 v166, v176, v166 :: v_dual_and_b32 v165, 7, v165
	s_delay_alu instid0(VALU_DEP_1) | instskip(NEXT) | instid1(VALU_DEP_2)
	v_cndmask_b32_e32 v22, v22, v165, vcc_lo
	v_lshl_add_u32 v165, v166, 23, 0x3b800000
	s_delay_alu instid0(VALU_DEP_2) | instskip(NEXT) | instid1(VALU_DEP_1)
	v_lshlrev_b32_e32 v22, 20, v22
	v_or3_b32 v22, v18, v165, v22
.LBB4_3913:                             ;   in Loop: Header=BB4_3574 Depth=3
	s_or_b32 exec_lo, exec_lo, s17
	s_delay_alu instid0(VALU_DEP_1) | instskip(SKIP_1) | instid1(VALU_DEP_1)
	v_max_f32_e32 v18, v22, v22
	v_max_f32_e32 v22, v167, v167
	v_min_f32_e32 v167, v22, v18
.LBB4_3914:                             ;   in Loop: Header=BB4_3574 Depth=3
	s_delay_alu instid0(VALU_DEP_1) | instskip(NEXT) | instid1(VALU_DEP_1)
	v_and_b32_e32 v18, 0x7f800000, v167
	v_cmp_ne_u32_e32 vcc_lo, 0x7f800000, v18
	v_mov_b32_e32 v18, 0x80
	s_and_saveexec_b32 s17, vcc_lo
	s_cbranch_execz .LBB4_3922
; %bb.3915:                             ;   in Loop: Header=BB4_3574 Depth=3
	v_mov_b32_e32 v18, 0
	s_mov_b32 s31, exec_lo
	v_cmpx_ne_u32_e32 0, v167
	s_cbranch_execz .LBB4_3921
; %bb.3916:                             ;   in Loop: Header=BB4_3574 Depth=3
	v_bfe_u32 v18, v167, 23, 8
	s_delay_alu instid0(VALU_DEP_1) | instskip(SKIP_1) | instid1(VALU_DEP_2)
	v_sub_nc_u32_e32 v165, 0x78, v18
	v_cmp_gt_u32_e32 vcc_lo, 0x79, v18
	v_dual_cndmask_b32 v165, 0, v165 :: v_dual_and_b32 v22, 0x7fffff, v167
	s_delay_alu instid0(VALU_DEP_1) | instskip(SKIP_2) | instid1(VALU_DEP_4)
	v_or_b32_e32 v166, 0x800000, v22
	v_cmp_eq_u32_e32 vcc_lo, 0, v18
	v_add_nc_u32_e32 v18, 0xffffff89, v18
	v_cndmask_b32_e64 v165, v165, 0x77, vcc_lo
	s_delay_alu instid0(VALU_DEP_4) | instskip(NEXT) | instid1(VALU_DEP_3)
	v_cndmask_b32_e32 v22, v166, v22, vcc_lo
	v_cndmask_b32_e64 v18, v18, 0xffffff8a, vcc_lo
	s_delay_alu instid0(VALU_DEP_3) | instskip(NEXT) | instid1(VALU_DEP_3)
	v_lshl_add_u32 v166, 0x100000, v165, -1
	v_lshrrev_b32_e32 v176, v165, v22
	v_lshlrev_b32_e64 v178, v165, 0x80000
	s_delay_alu instid0(VALU_DEP_4) | instskip(NEXT) | instid1(VALU_DEP_4)
	v_add_nc_u32_e32 v165, v165, v18
	v_and_b32_e32 v22, v166, v22
	s_delay_alu instid0(VALU_DEP_4) | instskip(NEXT) | instid1(VALU_DEP_2)
	v_bfe_u32 v177, v176, 20, 1
	v_cmp_eq_u32_e64 s13, v22, v178
	s_delay_alu instid0(VALU_DEP_2) | instskip(NEXT) | instid1(VALU_DEP_1)
	v_add_nc_u32_e32 v166, -1, v177
	v_cndmask_b32_e64 v22, 0, v166, s13
	v_lshrrev_b32_e32 v166, 23, v176
	s_mov_b32 s13, exec_lo
	s_delay_alu instid0(VALU_DEP_2) | instskip(NEXT) | instid1(VALU_DEP_2)
	v_add_nc_u32_e32 v22, v22, v176
	v_xor_b32_e32 v166, 1, v166
	s_delay_alu instid0(VALU_DEP_2) | instskip(NEXT) | instid1(VALU_DEP_1)
	v_and_b32_e32 v18, 0xfffff, v22
	v_add_nc_u32_e32 v22, v18, v176
                                        ; implicit-def: $vgpr18
	s_delay_alu instid0(VALU_DEP_3)
	v_cmpx_ne_u32_e64 v165, v166
	s_xor_b32 s13, exec_lo, s13
; %bb.3917:                             ;   in Loop: Header=BB4_3574 Depth=3
	s_delay_alu instid0(VALU_DEP_2) | instskip(SKIP_2) | instid1(VALU_DEP_2)
	v_cmp_lt_u32_e32 vcc_lo, 0xffffff, v22
	v_sub_nc_u32_e32 v18, v165, v166
	v_cndmask_b32_e64 v165, 0, 1, vcc_lo
	v_add_co_ci_u32_e32 v18, vcc_lo, 0, v18, vcc_lo
	s_delay_alu instid0(VALU_DEP_2)
	v_lshrrev_b32_e32 v22, v165, v22
; %bb.3918:                             ;   in Loop: Header=BB4_3574 Depth=3
	s_and_not1_saveexec_b32 s13, s13
; %bb.3919:                             ;   in Loop: Header=BB4_3574 Depth=3
	s_delay_alu instid0(VALU_DEP_1)
	v_bfe_u32 v18, v22, 23, 1
; %bb.3920:                             ;   in Loop: Header=BB4_3574 Depth=3
	s_or_b32 exec_lo, exec_lo, s13
	v_lshrrev_b32_e32 v22, 20, v22
	s_delay_alu instid0(VALU_DEP_2) | instskip(SKIP_2) | instid1(VALU_DEP_2)
	v_cmp_gt_i32_e32 vcc_lo, 16, v18
	v_lshrrev_b32_e32 v165, 24, v167
	v_min_i32_e32 v166, 15, v18
	v_dual_cndmask_b32 v22, 7, v22 :: v_dual_and_b32 v165, 0x80, v165
	s_delay_alu instid0(VALU_DEP_2) | instskip(NEXT) | instid1(VALU_DEP_2)
	v_lshlrev_b32_e32 v166, 3, v166
	v_and_b32_e32 v167, 7, v22
	v_or_b32_e32 v18, v18, v22
	s_delay_alu instid0(VALU_DEP_2) | instskip(NEXT) | instid1(VALU_DEP_2)
	v_or3_b32 v22, v166, v165, v167
	v_cmp_ne_u32_e32 vcc_lo, 0, v18
	s_delay_alu instid0(VALU_DEP_2)
	v_cndmask_b32_e32 v18, 0, v22, vcc_lo
.LBB4_3921:                             ;   in Loop: Header=BB4_3574 Depth=3
	s_or_b32 exec_lo, exec_lo, s31
.LBB4_3922:                             ;   in Loop: Header=BB4_3574 Depth=3
	s_delay_alu instid0(SALU_CYCLE_1) | instskip(SKIP_2) | instid1(VALU_DEP_1)
	s_or_b32 exec_lo, exec_lo, s17
	v_and_b32_e32 v22, 0xff, v23
	s_and_b32 vcc_lo, exec_lo, s16
	v_cmp_lt_i16_e64 s13, 0x7f, v22
	s_cbranch_vccz .LBB4_3932
; %bb.3923:                             ;   in Loop: Header=BB4_3574 Depth=3
	s_mov_b32 s17, 0
                                        ; implicit-def: $sgpr31
	s_delay_alu instid0(VALU_DEP_1) | instskip(NEXT) | instid1(SALU_CYCLE_1)
	s_and_saveexec_b32 vcc_lo, s13
	s_xor_b32 s13, exec_lo, vcc_lo
	s_cbranch_execnz .LBB4_4692
; %bb.3924:                             ;   in Loop: Header=BB4_3574 Depth=3
	s_or_saveexec_b32 s13, s13
	v_mov_b32_e32 v165, s31
	s_xor_b32 exec_lo, exec_lo, s13
	s_cbranch_execnz .LBB4_4695
.LBB4_3925:                             ;   in Loop: Header=BB4_3574 Depth=3
	s_or_b32 exec_lo, exec_lo, s13
	s_and_saveexec_b32 s13, s17
	s_cbranch_execz .LBB4_3927
.LBB4_3926:                             ;   in Loop: Header=BB4_3574 Depth=3
	v_bfe_u32 v176, v23, 3, 4
	v_lshlrev_b32_e32 v177, 24, v23
	s_delay_alu instid0(VALU_DEP_2) | instskip(SKIP_1) | instid1(VALU_DEP_1)
	v_cmp_eq_u32_e32 vcc_lo, 0, v176
	v_and_b32_e32 v165, 7, v23
	v_clz_i32_u32_e32 v166, v165
	s_delay_alu instid0(VALU_DEP_1) | instskip(NEXT) | instid1(VALU_DEP_1)
	v_min_u32_e32 v166, 32, v166
	v_subrev_nc_u32_e32 v167, 28, v166
	v_sub_nc_u32_e32 v166, 29, v166
	s_delay_alu instid0(VALU_DEP_1) | instskip(NEXT) | instid1(VALU_DEP_1)
	v_dual_cndmask_b32 v166, v176, v166 :: v_dual_lshlrev_b32 v167, v167, v23
	v_and_b32_e32 v167, 7, v167
	s_delay_alu instid0(VALU_DEP_2) | instskip(NEXT) | instid1(VALU_DEP_2)
	v_lshl_add_u32 v166, v166, 23, 0x3b800000
	v_cndmask_b32_e32 v165, v165, v167, vcc_lo
	v_and_b32_e32 v167, 0x80000000, v177
	s_delay_alu instid0(VALU_DEP_2) | instskip(NEXT) | instid1(VALU_DEP_1)
	v_lshlrev_b32_e32 v165, 20, v165
	v_or3_b32 v165, v167, v166, v165
.LBB4_3927:                             ;   in Loop: Header=BB4_3574 Depth=3
	s_or_b32 exec_lo, exec_lo, s13
	v_and_b32_e32 v167, 0xff, v19
	s_mov_b32 s13, 0
	s_mov_b32 s31, exec_lo
                                        ; implicit-def: $sgpr17
	s_delay_alu instid0(VALU_DEP_1)
	v_cmpx_lt_i16_e64 0x7f, v167
	s_xor_b32 s31, exec_lo, s31
	s_cbranch_execnz .LBB4_4696
; %bb.3928:                             ;   in Loop: Header=BB4_3574 Depth=3
	s_or_saveexec_b32 s31, s31
	v_mov_b32_e32 v166, s17
	s_xor_b32 exec_lo, exec_lo, s31
	s_cbranch_execnz .LBB4_4699
.LBB4_3929:                             ;   in Loop: Header=BB4_3574 Depth=3
	s_or_b32 exec_lo, exec_lo, s31
	s_and_saveexec_b32 s17, s13
	s_cbranch_execz .LBB4_3931
.LBB4_3930:                             ;   in Loop: Header=BB4_3574 Depth=3
	v_and_b32_e32 v166, 7, v19
	v_bfe_u32 v177, v19, 3, 4
	v_lshlrev_b32_e32 v178, 24, v19
	s_delay_alu instid0(VALU_DEP_3) | instskip(NEXT) | instid1(VALU_DEP_3)
	v_clz_i32_u32_e32 v167, v166
	v_cmp_eq_u32_e32 vcc_lo, 0, v177
	s_delay_alu instid0(VALU_DEP_2) | instskip(NEXT) | instid1(VALU_DEP_1)
	v_min_u32_e32 v167, 32, v167
	v_subrev_nc_u32_e32 v176, 28, v167
	v_sub_nc_u32_e32 v167, 29, v167
	s_delay_alu instid0(VALU_DEP_2) | instskip(NEXT) | instid1(VALU_DEP_1)
	v_lshlrev_b32_e32 v176, v176, v19
	v_dual_cndmask_b32 v167, v177, v167 :: v_dual_and_b32 v176, 7, v176
	s_delay_alu instid0(VALU_DEP_1) | instskip(NEXT) | instid1(VALU_DEP_2)
	v_lshl_add_u32 v167, v167, 23, 0x3b800000
	v_cndmask_b32_e32 v166, v166, v176, vcc_lo
	v_and_b32_e32 v176, 0x80000000, v178
	s_delay_alu instid0(VALU_DEP_2) | instskip(NEXT) | instid1(VALU_DEP_1)
	v_lshlrev_b32_e32 v166, 20, v166
	v_or3_b32 v166, v176, v167, v166
.LBB4_3931:                             ;   in Loop: Header=BB4_3574 Depth=3
	s_or_b32 exec_lo, exec_lo, s17
	s_delay_alu instid0(VALU_DEP_1) | instskip(SKIP_1) | instid1(VALU_DEP_1)
	v_dual_max_f32 v166, v166, v166 :: v_dual_max_f32 v165, v165, v165
	s_mov_b32 s13, 0
	v_max_f32_e32 v165, v165, v166
	s_branch .LBB4_3933
.LBB4_3932:                             ;   in Loop: Header=BB4_3574 Depth=3
	s_mov_b32 s13, -1
                                        ; implicit-def: $vgpr165
.LBB4_3933:                             ;   in Loop: Header=BB4_3574 Depth=3
	s_delay_alu instid0(SALU_CYCLE_1)
	s_and_b32 vcc_lo, exec_lo, s13
	s_cbranch_vccz .LBB4_3943
; %bb.3934:                             ;   in Loop: Header=BB4_3574 Depth=3
	s_mov_b32 s13, 0
	s_mov_b32 s31, exec_lo
                                        ; implicit-def: $sgpr17
	v_cmpx_lt_i16_e32 0x7f, v22
	s_xor_b32 s31, exec_lo, s31
	s_cbranch_execnz .LBB4_4700
; %bb.3935:                             ;   in Loop: Header=BB4_3574 Depth=3
	s_or_saveexec_b32 s31, s31
	v_mov_b32_e32 v165, s17
	s_xor_b32 exec_lo, exec_lo, s31
	s_cbranch_execnz .LBB4_4703
.LBB4_3936:                             ;   in Loop: Header=BB4_3574 Depth=3
	s_or_b32 exec_lo, exec_lo, s31
	s_and_saveexec_b32 s17, s13
	s_cbranch_execz .LBB4_3938
.LBB4_3937:                             ;   in Loop: Header=BB4_3574 Depth=3
	v_bfe_u32 v167, v23, 3, 4
	v_lshlrev_b32_e32 v176, 24, v23
	s_delay_alu instid0(VALU_DEP_2) | instskip(SKIP_1) | instid1(VALU_DEP_1)
	v_cmp_eq_u32_e32 vcc_lo, 0, v167
	v_and_b32_e32 v22, 7, v23
	v_clz_i32_u32_e32 v165, v22
	s_delay_alu instid0(VALU_DEP_1) | instskip(NEXT) | instid1(VALU_DEP_1)
	v_min_u32_e32 v165, 32, v165
	v_subrev_nc_u32_e32 v166, 28, v165
	v_sub_nc_u32_e32 v165, 29, v165
	s_delay_alu instid0(VALU_DEP_1) | instskip(NEXT) | instid1(VALU_DEP_1)
	v_dual_cndmask_b32 v165, v167, v165 :: v_dual_lshlrev_b32 v166, v166, v23
	v_and_b32_e32 v166, 7, v166
	s_delay_alu instid0(VALU_DEP_2) | instskip(NEXT) | instid1(VALU_DEP_2)
	v_lshl_add_u32 v165, v165, 23, 0x3b800000
	v_cndmask_b32_e32 v22, v22, v166, vcc_lo
	v_and_b32_e32 v166, 0x80000000, v176
	s_delay_alu instid0(VALU_DEP_2) | instskip(NEXT) | instid1(VALU_DEP_1)
	v_lshlrev_b32_e32 v22, 20, v22
	v_or3_b32 v165, v166, v165, v22
.LBB4_3938:                             ;   in Loop: Header=BB4_3574 Depth=3
	s_or_b32 exec_lo, exec_lo, s17
	v_and_b32_e32 v166, 0xff, v19
	s_mov_b32 s13, 0
	s_mov_b32 s31, exec_lo
                                        ; implicit-def: $sgpr17
	s_delay_alu instid0(VALU_DEP_1)
	v_cmpx_lt_i16_e64 0x7f, v166
	s_xor_b32 s31, exec_lo, s31
	s_cbranch_execnz .LBB4_4704
; %bb.3939:                             ;   in Loop: Header=BB4_3574 Depth=3
	s_or_saveexec_b32 s31, s31
	v_mov_b32_e32 v22, s17
	s_xor_b32 exec_lo, exec_lo, s31
	s_cbranch_execnz .LBB4_4707
.LBB4_3940:                             ;   in Loop: Header=BB4_3574 Depth=3
	s_or_b32 exec_lo, exec_lo, s31
	s_and_saveexec_b32 s17, s13
	s_cbranch_execz .LBB4_3942
.LBB4_3941:                             ;   in Loop: Header=BB4_3574 Depth=3
	v_and_b32_e32 v22, 7, v19
	v_bfe_u32 v176, v19, 3, 4
	v_lshlrev_b32_e32 v177, 24, v19
	s_delay_alu instid0(VALU_DEP_3) | instskip(NEXT) | instid1(VALU_DEP_3)
	v_clz_i32_u32_e32 v166, v22
	v_cmp_eq_u32_e32 vcc_lo, 0, v176
	s_delay_alu instid0(VALU_DEP_2) | instskip(NEXT) | instid1(VALU_DEP_1)
	v_min_u32_e32 v166, 32, v166
	v_subrev_nc_u32_e32 v167, 28, v166
	v_sub_nc_u32_e32 v166, 29, v166
	s_delay_alu instid0(VALU_DEP_1) | instskip(NEXT) | instid1(VALU_DEP_1)
	v_dual_cndmask_b32 v166, v176, v166 :: v_dual_lshlrev_b32 v167, v167, v19
	v_and_b32_e32 v167, 7, v167
	s_delay_alu instid0(VALU_DEP_2) | instskip(NEXT) | instid1(VALU_DEP_2)
	v_lshl_add_u32 v166, v166, 23, 0x3b800000
	v_dual_cndmask_b32 v22, v22, v167 :: v_dual_and_b32 v167, 0x80000000, v177
	s_delay_alu instid0(VALU_DEP_1) | instskip(NEXT) | instid1(VALU_DEP_1)
	v_lshlrev_b32_e32 v22, 20, v22
	v_or3_b32 v22, v167, v166, v22
.LBB4_3942:                             ;   in Loop: Header=BB4_3574 Depth=3
	s_or_b32 exec_lo, exec_lo, s17
	s_delay_alu instid0(VALU_DEP_1) | instskip(NEXT) | instid1(VALU_DEP_1)
	v_dual_max_f32 v22, v22, v22 :: v_dual_max_f32 v165, v165, v165
	v_min_f32_e32 v165, v165, v22
.LBB4_3943:                             ;   in Loop: Header=BB4_3574 Depth=3
	s_delay_alu instid0(VALU_DEP_1) | instskip(NEXT) | instid1(VALU_DEP_1)
	v_and_b32_e32 v22, 0x7f800000, v165
	v_cmp_ne_u32_e32 vcc_lo, 0x7f800000, v22
	v_mov_b32_e32 v22, 0x80
	s_and_saveexec_b32 s17, vcc_lo
	s_cbranch_execz .LBB4_3951
; %bb.3944:                             ;   in Loop: Header=BB4_3574 Depth=3
	v_mov_b32_e32 v22, 0
	s_mov_b32 s31, exec_lo
	v_cmpx_ne_u32_e32 0, v165
	s_cbranch_execz .LBB4_3950
; %bb.3945:                             ;   in Loop: Header=BB4_3574 Depth=3
	v_bfe_u32 v22, v165, 23, 8
	s_delay_alu instid0(VALU_DEP_1) | instskip(SKIP_1) | instid1(VALU_DEP_2)
	v_sub_nc_u32_e32 v167, 0x78, v22
	v_cmp_gt_u32_e32 vcc_lo, 0x79, v22
	v_dual_cndmask_b32 v167, 0, v167 :: v_dual_and_b32 v166, 0x7fffff, v165
	s_delay_alu instid0(VALU_DEP_1) | instskip(SKIP_2) | instid1(VALU_DEP_4)
	v_or_b32_e32 v176, 0x800000, v166
	v_cmp_eq_u32_e32 vcc_lo, 0, v22
	v_add_nc_u32_e32 v22, 0xffffff89, v22
	v_cndmask_b32_e64 v167, v167, 0x77, vcc_lo
	s_delay_alu instid0(VALU_DEP_4) | instskip(NEXT) | instid1(VALU_DEP_3)
	v_cndmask_b32_e32 v166, v176, v166, vcc_lo
	v_cndmask_b32_e64 v22, v22, 0xffffff8a, vcc_lo
	s_delay_alu instid0(VALU_DEP_3) | instskip(NEXT) | instid1(VALU_DEP_3)
	v_lshl_add_u32 v176, 0x100000, v167, -1
	v_lshrrev_b32_e32 v177, v167, v166
	v_lshlrev_b32_e64 v179, v167, 0x80000
	s_delay_alu instid0(VALU_DEP_4) | instskip(NEXT) | instid1(VALU_DEP_4)
	v_add_nc_u32_e32 v167, v167, v22
	v_and_b32_e32 v166, v176, v166
	s_delay_alu instid0(VALU_DEP_4) | instskip(NEXT) | instid1(VALU_DEP_2)
	v_bfe_u32 v178, v177, 20, 1
	v_cmp_eq_u32_e64 s13, v166, v179
	s_delay_alu instid0(VALU_DEP_2) | instskip(NEXT) | instid1(VALU_DEP_1)
	v_add_nc_u32_e32 v176, -1, v178
	v_cndmask_b32_e64 v166, 0, v176, s13
	v_lshrrev_b32_e32 v176, 23, v177
	s_mov_b32 s13, exec_lo
	s_delay_alu instid0(VALU_DEP_2) | instskip(NEXT) | instid1(VALU_DEP_2)
	v_add_nc_u32_e32 v166, v166, v177
	v_xor_b32_e32 v176, 1, v176
	s_delay_alu instid0(VALU_DEP_2) | instskip(NEXT) | instid1(VALU_DEP_1)
	v_and_b32_e32 v22, 0xfffff, v166
	v_add_nc_u32_e32 v166, v22, v177
                                        ; implicit-def: $vgpr22
	s_delay_alu instid0(VALU_DEP_3)
	v_cmpx_ne_u32_e64 v167, v176
	s_xor_b32 s13, exec_lo, s13
; %bb.3946:                             ;   in Loop: Header=BB4_3574 Depth=3
	s_delay_alu instid0(VALU_DEP_2) | instskip(SKIP_2) | instid1(VALU_DEP_2)
	v_cmp_lt_u32_e32 vcc_lo, 0xffffff, v166
	v_sub_nc_u32_e32 v22, v167, v176
	v_cndmask_b32_e64 v167, 0, 1, vcc_lo
	v_add_co_ci_u32_e32 v22, vcc_lo, 0, v22, vcc_lo
	s_delay_alu instid0(VALU_DEP_2)
	v_lshrrev_b32_e32 v166, v167, v166
; %bb.3947:                             ;   in Loop: Header=BB4_3574 Depth=3
	s_and_not1_saveexec_b32 s13, s13
; %bb.3948:                             ;   in Loop: Header=BB4_3574 Depth=3
	s_delay_alu instid0(VALU_DEP_1)
	v_bfe_u32 v22, v166, 23, 1
; %bb.3949:                             ;   in Loop: Header=BB4_3574 Depth=3
	s_or_b32 exec_lo, exec_lo, s13
	v_lshrrev_b32_e32 v166, 20, v166
	s_delay_alu instid0(VALU_DEP_2) | instskip(SKIP_2) | instid1(VALU_DEP_2)
	v_cmp_gt_i32_e32 vcc_lo, 16, v22
	v_lshrrev_b32_e32 v165, 24, v165
	v_min_i32_e32 v167, 15, v22
	v_dual_cndmask_b32 v166, 7, v166 :: v_dual_and_b32 v165, 0x80, v165
	s_delay_alu instid0(VALU_DEP_1) | instskip(SKIP_1) | instid1(VALU_DEP_2)
	v_or_b32_e32 v22, v22, v166
	v_and_b32_e32 v176, 7, v166
	v_cmp_ne_u32_e32 vcc_lo, 0, v22
	v_lshlrev_b32_e32 v167, 3, v167
	s_delay_alu instid0(VALU_DEP_1) | instskip(NEXT) | instid1(VALU_DEP_1)
	v_or3_b32 v165, v167, v165, v176
	v_cndmask_b32_e32 v22, 0, v165, vcc_lo
.LBB4_3950:                             ;   in Loop: Header=BB4_3574 Depth=3
	s_or_b32 exec_lo, exec_lo, s31
.LBB4_3951:                             ;   in Loop: Header=BB4_3574 Depth=3
	s_delay_alu instid0(SALU_CYCLE_1) | instskip(SKIP_3) | instid1(VALU_DEP_2)
	s_or_b32 exec_lo, exec_lo, s17
	v_lshrrev_b16 v166, 8, v23
	v_lshrrev_b16 v165, 8, v19
	s_and_b32 vcc_lo, exec_lo, s16
	v_cmp_lt_i16_e64 s13, 0x7f, v166
	s_cbranch_vccz .LBB4_3961
; %bb.3952:                             ;   in Loop: Header=BB4_3574 Depth=3
	s_mov_b32 s17, 0
                                        ; implicit-def: $sgpr31
	s_delay_alu instid0(VALU_DEP_1) | instskip(NEXT) | instid1(SALU_CYCLE_1)
	s_and_saveexec_b32 vcc_lo, s13
	s_xor_b32 s13, exec_lo, vcc_lo
	s_cbranch_execnz .LBB4_4708
; %bb.3953:                             ;   in Loop: Header=BB4_3574 Depth=3
	s_or_saveexec_b32 s13, s13
	v_mov_b32_e32 v167, s31
	s_xor_b32 exec_lo, exec_lo, s13
	s_cbranch_execnz .LBB4_4711
.LBB4_3954:                             ;   in Loop: Header=BB4_3574 Depth=3
	s_or_b32 exec_lo, exec_lo, s13
	s_and_saveexec_b32 s13, s17
	s_cbranch_execz .LBB4_3956
.LBB4_3955:                             ;   in Loop: Header=BB4_3574 Depth=3
	v_and_b32_e32 v167, 0xffff, v166
	s_delay_alu instid0(VALU_DEP_1) | instskip(NEXT) | instid1(VALU_DEP_1)
	v_and_b32_e32 v176, 7, v167
	v_clz_i32_u32_e32 v177, v176
	s_delay_alu instid0(VALU_DEP_1) | instskip(NEXT) | instid1(VALU_DEP_1)
	v_min_u32_e32 v177, 32, v177
	v_subrev_nc_u32_e32 v178, 28, v177
	v_sub_nc_u32_e32 v177, 29, v177
	s_delay_alu instid0(VALU_DEP_2) | instskip(SKIP_1) | instid1(VALU_DEP_2)
	v_lshlrev_b32_e32 v178, v178, v167
	v_bfe_u32 v167, v167, 3, 4
	v_and_b32_e32 v178, 7, v178
	s_delay_alu instid0(VALU_DEP_2) | instskip(SKIP_1) | instid1(VALU_DEP_3)
	v_cmp_eq_u32_e32 vcc_lo, 0, v167
	v_cndmask_b32_e32 v167, v167, v177, vcc_lo
	v_dual_cndmask_b32 v176, v176, v178 :: v_dual_lshlrev_b32 v179, 16, v23
	s_delay_alu instid0(VALU_DEP_2) | instskip(NEXT) | instid1(VALU_DEP_2)
	v_lshl_add_u32 v167, v167, 23, 0x3b800000
	v_and_b32_e32 v177, 0x80000000, v179
	s_delay_alu instid0(VALU_DEP_3) | instskip(NEXT) | instid1(VALU_DEP_1)
	v_lshlrev_b32_e32 v176, 20, v176
	v_or3_b32 v167, v177, v167, v176
.LBB4_3956:                             ;   in Loop: Header=BB4_3574 Depth=3
	s_or_b32 exec_lo, exec_lo, s13
	s_mov_b32 s13, 0
	s_mov_b32 s31, exec_lo
                                        ; implicit-def: $sgpr17
	v_cmpx_lt_i16_e64 0x7f, v165
	s_xor_b32 s31, exec_lo, s31
	s_cbranch_execnz .LBB4_4712
; %bb.3957:                             ;   in Loop: Header=BB4_3574 Depth=3
	s_or_saveexec_b32 s31, s31
	v_mov_b32_e32 v176, s17
	s_xor_b32 exec_lo, exec_lo, s31
	s_cbranch_execnz .LBB4_4715
.LBB4_3958:                             ;   in Loop: Header=BB4_3574 Depth=3
	s_or_b32 exec_lo, exec_lo, s31
	s_and_saveexec_b32 s17, s13
	s_cbranch_execz .LBB4_3960
.LBB4_3959:                             ;   in Loop: Header=BB4_3574 Depth=3
	v_and_b32_e32 v176, 0xffff, v165
	v_lshlrev_b32_e32 v180, 16, v19
	s_delay_alu instid0(VALU_DEP_2) | instskip(NEXT) | instid1(VALU_DEP_1)
	v_and_b32_e32 v177, 7, v176
	v_clz_i32_u32_e32 v178, v177
	s_delay_alu instid0(VALU_DEP_1) | instskip(NEXT) | instid1(VALU_DEP_1)
	v_min_u32_e32 v178, 32, v178
	v_subrev_nc_u32_e32 v179, 28, v178
	v_sub_nc_u32_e32 v178, 29, v178
	s_delay_alu instid0(VALU_DEP_2) | instskip(SKIP_1) | instid1(VALU_DEP_2)
	v_lshlrev_b32_e32 v179, v179, v176
	v_bfe_u32 v176, v176, 3, 4
	v_and_b32_e32 v179, 7, v179
	s_delay_alu instid0(VALU_DEP_2) | instskip(NEXT) | instid1(VALU_DEP_2)
	v_cmp_eq_u32_e32 vcc_lo, 0, v176
	v_dual_cndmask_b32 v176, v176, v178 :: v_dual_cndmask_b32 v177, v177, v179
	v_and_b32_e32 v178, 0x80000000, v180
	s_delay_alu instid0(VALU_DEP_2) | instskip(NEXT) | instid1(VALU_DEP_3)
	v_lshl_add_u32 v176, v176, 23, 0x3b800000
	v_lshlrev_b32_e32 v177, 20, v177
	s_delay_alu instid0(VALU_DEP_1)
	v_or3_b32 v176, v178, v176, v177
.LBB4_3960:                             ;   in Loop: Header=BB4_3574 Depth=3
	s_or_b32 exec_lo, exec_lo, s17
	s_delay_alu instid0(VALU_DEP_1) | instskip(SKIP_1) | instid1(VALU_DEP_1)
	v_dual_max_f32 v176, v176, v176 :: v_dual_max_f32 v167, v167, v167
	s_mov_b32 s13, 0
	v_max_f32_e32 v167, v167, v176
	s_branch .LBB4_3962
.LBB4_3961:                             ;   in Loop: Header=BB4_3574 Depth=3
	s_mov_b32 s13, -1
                                        ; implicit-def: $vgpr167
.LBB4_3962:                             ;   in Loop: Header=BB4_3574 Depth=3
	s_delay_alu instid0(SALU_CYCLE_1)
	s_and_b32 vcc_lo, exec_lo, s13
	s_cbranch_vccz .LBB4_3972
; %bb.3963:                             ;   in Loop: Header=BB4_3574 Depth=3
	s_mov_b32 s13, 0
	s_mov_b32 s31, exec_lo
                                        ; implicit-def: $sgpr17
	v_cmpx_lt_i16_e64 0x7f, v166
	s_xor_b32 s31, exec_lo, s31
	s_cbranch_execnz .LBB4_4716
; %bb.3964:                             ;   in Loop: Header=BB4_3574 Depth=3
	s_or_saveexec_b32 s31, s31
	v_mov_b32_e32 v167, s17
	s_xor_b32 exec_lo, exec_lo, s31
	s_cbranch_execnz .LBB4_4719
.LBB4_3965:                             ;   in Loop: Header=BB4_3574 Depth=3
	s_or_b32 exec_lo, exec_lo, s31
	s_and_saveexec_b32 s17, s13
	s_cbranch_execz .LBB4_3967
.LBB4_3966:                             ;   in Loop: Header=BB4_3574 Depth=3
	v_and_b32_e32 v166, 0xffff, v166
	v_lshlrev_b32_e32 v178, 16, v23
	s_delay_alu instid0(VALU_DEP_2) | instskip(NEXT) | instid1(VALU_DEP_1)
	v_and_b32_e32 v167, 7, v166
	v_clz_i32_u32_e32 v176, v167
	s_delay_alu instid0(VALU_DEP_1) | instskip(NEXT) | instid1(VALU_DEP_1)
	v_min_u32_e32 v176, 32, v176
	v_subrev_nc_u32_e32 v177, 28, v176
	v_sub_nc_u32_e32 v176, 29, v176
	s_delay_alu instid0(VALU_DEP_2) | instskip(SKIP_1) | instid1(VALU_DEP_2)
	v_lshlrev_b32_e32 v177, v177, v166
	v_bfe_u32 v166, v166, 3, 4
	v_and_b32_e32 v177, 7, v177
	s_delay_alu instid0(VALU_DEP_2) | instskip(NEXT) | instid1(VALU_DEP_2)
	v_cmp_eq_u32_e32 vcc_lo, 0, v166
	v_dual_cndmask_b32 v166, v166, v176 :: v_dual_cndmask_b32 v167, v167, v177
	v_and_b32_e32 v176, 0x80000000, v178
	s_delay_alu instid0(VALU_DEP_2) | instskip(NEXT) | instid1(VALU_DEP_3)
	v_lshl_add_u32 v166, v166, 23, 0x3b800000
	v_lshlrev_b32_e32 v167, 20, v167
	s_delay_alu instid0(VALU_DEP_1)
	v_or3_b32 v167, v176, v166, v167
.LBB4_3967:                             ;   in Loop: Header=BB4_3574 Depth=3
	s_or_b32 exec_lo, exec_lo, s17
	s_mov_b32 s13, 0
	s_mov_b32 s31, exec_lo
                                        ; implicit-def: $sgpr17
	v_cmpx_lt_i16_e64 0x7f, v165
	s_xor_b32 s31, exec_lo, s31
	s_cbranch_execnz .LBB4_4720
; %bb.3968:                             ;   in Loop: Header=BB4_3574 Depth=3
	s_or_saveexec_b32 s31, s31
	v_mov_b32_e32 v166, s17
	s_xor_b32 exec_lo, exec_lo, s31
	s_cbranch_execnz .LBB4_4723
.LBB4_3969:                             ;   in Loop: Header=BB4_3574 Depth=3
	s_or_b32 exec_lo, exec_lo, s31
	s_and_saveexec_b32 s17, s13
	s_cbranch_execz .LBB4_3971
.LBB4_3970:                             ;   in Loop: Header=BB4_3574 Depth=3
	v_and_b32_e32 v165, 0xffff, v165
	v_lshlrev_b32_e32 v178, 16, v19
	s_delay_alu instid0(VALU_DEP_2) | instskip(NEXT) | instid1(VALU_DEP_1)
	v_and_b32_e32 v166, 7, v165
	v_clz_i32_u32_e32 v176, v166
	s_delay_alu instid0(VALU_DEP_1) | instskip(NEXT) | instid1(VALU_DEP_1)
	v_min_u32_e32 v176, 32, v176
	v_subrev_nc_u32_e32 v177, 28, v176
	v_sub_nc_u32_e32 v176, 29, v176
	s_delay_alu instid0(VALU_DEP_2) | instskip(SKIP_1) | instid1(VALU_DEP_2)
	v_lshlrev_b32_e32 v177, v177, v165
	v_bfe_u32 v165, v165, 3, 4
	v_and_b32_e32 v177, 7, v177
	s_delay_alu instid0(VALU_DEP_2) | instskip(NEXT) | instid1(VALU_DEP_2)
	v_cmp_eq_u32_e32 vcc_lo, 0, v165
	v_dual_cndmask_b32 v165, v165, v176 :: v_dual_cndmask_b32 v166, v166, v177
	v_and_b32_e32 v176, 0x80000000, v178
	s_delay_alu instid0(VALU_DEP_2) | instskip(NEXT) | instid1(VALU_DEP_3)
	v_lshl_add_u32 v165, v165, 23, 0x3b800000
	v_lshlrev_b32_e32 v166, 20, v166
	s_delay_alu instid0(VALU_DEP_1)
	v_or3_b32 v166, v176, v165, v166
.LBB4_3971:                             ;   in Loop: Header=BB4_3574 Depth=3
	s_or_b32 exec_lo, exec_lo, s17
	s_delay_alu instid0(VALU_DEP_1) | instskip(NEXT) | instid1(VALU_DEP_1)
	v_dual_max_f32 v165, v166, v166 :: v_dual_max_f32 v166, v167, v167
	v_min_f32_e32 v167, v166, v165
.LBB4_3972:                             ;   in Loop: Header=BB4_3574 Depth=3
	s_delay_alu instid0(VALU_DEP_1) | instskip(NEXT) | instid1(VALU_DEP_1)
	v_and_b32_e32 v165, 0x7f800000, v167
	v_cmp_ne_u32_e32 vcc_lo, 0x7f800000, v165
	v_mov_b32_e32 v165, 0x80
	s_and_saveexec_b32 s17, vcc_lo
	s_cbranch_execz .LBB4_3980
; %bb.3973:                             ;   in Loop: Header=BB4_3574 Depth=3
	v_mov_b32_e32 v165, 0
	s_mov_b32 s31, exec_lo
	v_cmpx_ne_u32_e32 0, v167
	s_cbranch_execz .LBB4_3979
; %bb.3974:                             ;   in Loop: Header=BB4_3574 Depth=3
	v_bfe_u32 v165, v167, 23, 8
	v_and_b32_e32 v166, 0x7fffff, v167
	s_delay_alu instid0(VALU_DEP_2) | instskip(SKIP_1) | instid1(VALU_DEP_3)
	v_sub_nc_u32_e32 v176, 0x78, v165
	v_cmp_gt_u32_e32 vcc_lo, 0x79, v165
	v_or_b32_e32 v177, 0x800000, v166
	s_delay_alu instid0(VALU_DEP_3) | instskip(SKIP_2) | instid1(VALU_DEP_3)
	v_cndmask_b32_e32 v176, 0, v176, vcc_lo
	v_cmp_eq_u32_e32 vcc_lo, 0, v165
	v_add_nc_u32_e32 v165, 0xffffff89, v165
	v_cndmask_b32_e64 v176, v176, 0x77, vcc_lo
	v_cndmask_b32_e32 v166, v177, v166, vcc_lo
	s_delay_alu instid0(VALU_DEP_3) | instskip(NEXT) | instid1(VALU_DEP_3)
	v_cndmask_b32_e64 v165, v165, 0xffffff8a, vcc_lo
	v_lshl_add_u32 v177, 0x100000, v176, -1
	s_delay_alu instid0(VALU_DEP_3) | instskip(SKIP_1) | instid1(VALU_DEP_4)
	v_lshrrev_b32_e32 v178, v176, v166
	v_lshlrev_b32_e64 v180, v176, 0x80000
	v_add_nc_u32_e32 v176, v176, v165
	s_delay_alu instid0(VALU_DEP_4) | instskip(NEXT) | instid1(VALU_DEP_4)
	v_and_b32_e32 v166, v177, v166
	v_bfe_u32 v179, v178, 20, 1
	s_delay_alu instid0(VALU_DEP_2) | instskip(NEXT) | instid1(VALU_DEP_2)
	v_cmp_eq_u32_e64 s13, v166, v180
	v_add_nc_u32_e32 v177, -1, v179
	s_delay_alu instid0(VALU_DEP_1) | instskip(SKIP_2) | instid1(VALU_DEP_2)
	v_cndmask_b32_e64 v166, 0, v177, s13
	v_lshrrev_b32_e32 v177, 23, v178
	s_mov_b32 s13, exec_lo
	v_add_nc_u32_e32 v166, v166, v178
	s_delay_alu instid0(VALU_DEP_2) | instskip(NEXT) | instid1(VALU_DEP_2)
	v_xor_b32_e32 v177, 1, v177
	v_and_b32_e32 v165, 0xfffff, v166
	s_delay_alu instid0(VALU_DEP_1) | instskip(NEXT) | instid1(VALU_DEP_3)
	v_add_nc_u32_e32 v166, v165, v178
                                        ; implicit-def: $vgpr165
	v_cmpx_ne_u32_e64 v176, v177
	s_xor_b32 s13, exec_lo, s13
; %bb.3975:                             ;   in Loop: Header=BB4_3574 Depth=3
	s_delay_alu instid0(VALU_DEP_2) | instskip(SKIP_2) | instid1(VALU_DEP_2)
	v_cmp_lt_u32_e32 vcc_lo, 0xffffff, v166
	v_sub_nc_u32_e32 v165, v176, v177
	v_cndmask_b32_e64 v176, 0, 1, vcc_lo
	v_add_co_ci_u32_e32 v165, vcc_lo, 0, v165, vcc_lo
	s_delay_alu instid0(VALU_DEP_2)
	v_lshrrev_b32_e32 v166, v176, v166
; %bb.3976:                             ;   in Loop: Header=BB4_3574 Depth=3
	s_and_not1_saveexec_b32 s13, s13
; %bb.3977:                             ;   in Loop: Header=BB4_3574 Depth=3
	s_delay_alu instid0(VALU_DEP_1)
	v_bfe_u32 v165, v166, 23, 1
; %bb.3978:                             ;   in Loop: Header=BB4_3574 Depth=3
	s_or_b32 exec_lo, exec_lo, s13
	v_lshrrev_b32_e32 v166, 20, v166
	s_delay_alu instid0(VALU_DEP_2) | instskip(SKIP_2) | instid1(VALU_DEP_2)
	v_cmp_gt_i32_e32 vcc_lo, 16, v165
	v_lshrrev_b32_e32 v167, 24, v167
	v_min_i32_e32 v176, 15, v165
	v_dual_cndmask_b32 v166, 7, v166 :: v_dual_and_b32 v167, 0x80, v167
	s_delay_alu instid0(VALU_DEP_1) | instskip(SKIP_1) | instid1(VALU_DEP_2)
	v_or_b32_e32 v165, v165, v166
	v_and_b32_e32 v177, 7, v166
	v_cmp_ne_u32_e32 vcc_lo, 0, v165
	v_lshlrev_b32_e32 v176, 3, v176
	s_delay_alu instid0(VALU_DEP_1) | instskip(NEXT) | instid1(VALU_DEP_1)
	v_or3_b32 v166, v176, v167, v177
	v_cndmask_b32_e32 v165, 0, v166, vcc_lo
.LBB4_3979:                             ;   in Loop: Header=BB4_3574 Depth=3
	s_or_b32 exec_lo, exec_lo, s31
.LBB4_3980:                             ;   in Loop: Header=BB4_3574 Depth=3
	s_delay_alu instid0(SALU_CYCLE_1) | instskip(SKIP_3) | instid1(VALU_DEP_2)
	s_or_b32 exec_lo, exec_lo, s17
	v_lshrrev_b32_e32 v167, 16, v23
	v_lshrrev_b32_e32 v166, 16, v19
	s_and_b32 vcc_lo, exec_lo, s16
	v_and_b32_e32 v176, 0xff, v167
	s_delay_alu instid0(VALU_DEP_1)
	v_cmp_lt_i16_e64 s13, 0x7f, v176
	s_cbranch_vccz .LBB4_3990
; %bb.3981:                             ;   in Loop: Header=BB4_3574 Depth=3
	s_mov_b32 s17, 0
                                        ; implicit-def: $sgpr31
	s_delay_alu instid0(VALU_DEP_1) | instskip(NEXT) | instid1(SALU_CYCLE_1)
	s_and_saveexec_b32 vcc_lo, s13
	s_xor_b32 s13, exec_lo, vcc_lo
	s_cbranch_execnz .LBB4_4724
; %bb.3982:                             ;   in Loop: Header=BB4_3574 Depth=3
	s_or_saveexec_b32 s13, s13
	v_mov_b32_e32 v177, s31
	s_xor_b32 exec_lo, exec_lo, s13
	s_cbranch_execnz .LBB4_4727
.LBB4_3983:                             ;   in Loop: Header=BB4_3574 Depth=3
	s_or_b32 exec_lo, exec_lo, s13
	s_and_saveexec_b32 s13, s17
	s_cbranch_execz .LBB4_3985
.LBB4_3984:                             ;   in Loop: Header=BB4_3574 Depth=3
	v_bfe_u32 v177, v23, 16, 3
	v_bfe_u32 v180, v23, 19, 4
	v_lshlrev_b32_e32 v181, 24, v167
	s_delay_alu instid0(VALU_DEP_3) | instskip(NEXT) | instid1(VALU_DEP_3)
	v_clz_i32_u32_e32 v178, v177
	v_cmp_eq_u32_e32 vcc_lo, 0, v180
	s_delay_alu instid0(VALU_DEP_2) | instskip(NEXT) | instid1(VALU_DEP_1)
	v_min_u32_e32 v178, 32, v178
	v_subrev_nc_u32_e32 v179, 28, v178
	v_sub_nc_u32_e32 v178, 29, v178
	s_delay_alu instid0(VALU_DEP_1) | instskip(NEXT) | instid1(VALU_DEP_1)
	v_dual_cndmask_b32 v178, v180, v178 :: v_dual_lshlrev_b32 v179, v179, v167
	v_and_b32_e32 v179, 7, v179
	s_delay_alu instid0(VALU_DEP_2) | instskip(NEXT) | instid1(VALU_DEP_2)
	v_lshl_add_u32 v178, v178, 23, 0x3b800000
	v_cndmask_b32_e32 v177, v177, v179, vcc_lo
	v_and_b32_e32 v179, 0x80000000, v181
	s_delay_alu instid0(VALU_DEP_2) | instskip(NEXT) | instid1(VALU_DEP_1)
	v_lshlrev_b32_e32 v177, 20, v177
	v_or3_b32 v177, v179, v178, v177
.LBB4_3985:                             ;   in Loop: Header=BB4_3574 Depth=3
	s_or_b32 exec_lo, exec_lo, s13
	v_and_b32_e32 v179, 0xff, v166
	s_mov_b32 s13, 0
	s_mov_b32 s31, exec_lo
                                        ; implicit-def: $sgpr17
	s_delay_alu instid0(VALU_DEP_1)
	v_cmpx_lt_i16_e64 0x7f, v179
	s_xor_b32 s31, exec_lo, s31
	s_cbranch_execnz .LBB4_4728
; %bb.3986:                             ;   in Loop: Header=BB4_3574 Depth=3
	s_or_saveexec_b32 s31, s31
	v_mov_b32_e32 v178, s17
	s_xor_b32 exec_lo, exec_lo, s31
	s_cbranch_execnz .LBB4_4731
.LBB4_3987:                             ;   in Loop: Header=BB4_3574 Depth=3
	s_or_b32 exec_lo, exec_lo, s31
	s_and_saveexec_b32 s17, s13
	s_cbranch_execz .LBB4_3989
.LBB4_3988:                             ;   in Loop: Header=BB4_3574 Depth=3
	v_bfe_u32 v178, v19, 16, 3
	v_bfe_u32 v181, v19, 19, 4
	v_lshlrev_b32_e32 v182, 24, v166
	s_delay_alu instid0(VALU_DEP_3) | instskip(NEXT) | instid1(VALU_DEP_3)
	v_clz_i32_u32_e32 v179, v178
	v_cmp_eq_u32_e32 vcc_lo, 0, v181
	s_delay_alu instid0(VALU_DEP_2) | instskip(NEXT) | instid1(VALU_DEP_1)
	v_min_u32_e32 v179, 32, v179
	v_subrev_nc_u32_e32 v180, 28, v179
	v_sub_nc_u32_e32 v179, 29, v179
	s_delay_alu instid0(VALU_DEP_1) | instskip(NEXT) | instid1(VALU_DEP_1)
	v_dual_cndmask_b32 v179, v181, v179 :: v_dual_lshlrev_b32 v180, v180, v166
	v_and_b32_e32 v180, 7, v180
	s_delay_alu instid0(VALU_DEP_2) | instskip(NEXT) | instid1(VALU_DEP_2)
	v_lshl_add_u32 v179, v179, 23, 0x3b800000
	v_cndmask_b32_e32 v178, v178, v180, vcc_lo
	v_and_b32_e32 v180, 0x80000000, v182
	s_delay_alu instid0(VALU_DEP_2) | instskip(NEXT) | instid1(VALU_DEP_1)
	v_lshlrev_b32_e32 v178, 20, v178
	v_or3_b32 v178, v180, v179, v178
.LBB4_3989:                             ;   in Loop: Header=BB4_3574 Depth=3
	s_or_b32 exec_lo, exec_lo, s17
	s_delay_alu instid0(VALU_DEP_1) | instskip(SKIP_1) | instid1(VALU_DEP_1)
	v_dual_max_f32 v178, v178, v178 :: v_dual_max_f32 v177, v177, v177
	s_mov_b32 s13, 0
	v_max_f32_e32 v177, v177, v178
	s_branch .LBB4_3991
.LBB4_3990:                             ;   in Loop: Header=BB4_3574 Depth=3
	s_mov_b32 s13, -1
                                        ; implicit-def: $vgpr177
.LBB4_3991:                             ;   in Loop: Header=BB4_3574 Depth=3
	s_delay_alu instid0(SALU_CYCLE_1)
	s_and_b32 vcc_lo, exec_lo, s13
	s_cbranch_vccz .LBB4_4001
; %bb.3992:                             ;   in Loop: Header=BB4_3574 Depth=3
	s_mov_b32 s13, 0
	s_mov_b32 s31, exec_lo
                                        ; implicit-def: $sgpr17
	v_cmpx_lt_i16_e64 0x7f, v176
	s_xor_b32 s31, exec_lo, s31
	s_cbranch_execnz .LBB4_4732
; %bb.3993:                             ;   in Loop: Header=BB4_3574 Depth=3
	s_or_saveexec_b32 s31, s31
	v_mov_b32_e32 v177, s17
	s_xor_b32 exec_lo, exec_lo, s31
	s_cbranch_execnz .LBB4_4735
.LBB4_3994:                             ;   in Loop: Header=BB4_3574 Depth=3
	s_or_b32 exec_lo, exec_lo, s31
	s_and_saveexec_b32 s17, s13
	s_cbranch_execz .LBB4_3996
.LBB4_3995:                             ;   in Loop: Header=BB4_3574 Depth=3
	v_bfe_u32 v176, v23, 16, 3
	v_bfe_u32 v179, v23, 19, 4
	s_delay_alu instid0(VALU_DEP_2) | instskip(NEXT) | instid1(VALU_DEP_2)
	v_clz_i32_u32_e32 v177, v176
	v_cmp_eq_u32_e32 vcc_lo, 0, v179
	s_delay_alu instid0(VALU_DEP_2) | instskip(NEXT) | instid1(VALU_DEP_1)
	v_min_u32_e32 v177, 32, v177
	v_subrev_nc_u32_e32 v178, 28, v177
	v_sub_nc_u32_e32 v177, 29, v177
	s_delay_alu instid0(VALU_DEP_1) | instskip(NEXT) | instid1(VALU_DEP_1)
	v_dual_cndmask_b32 v177, v179, v177 :: v_dual_lshlrev_b32 v178, v178, v167
	v_and_b32_e32 v178, 7, v178
	v_lshlrev_b32_e32 v167, 24, v167
	s_delay_alu instid0(VALU_DEP_3) | instskip(NEXT) | instid1(VALU_DEP_2)
	v_lshl_add_u32 v177, v177, 23, 0x3b800000
	v_dual_cndmask_b32 v176, v176, v178 :: v_dual_and_b32 v167, 0x80000000, v167
	s_delay_alu instid0(VALU_DEP_1) | instskip(NEXT) | instid1(VALU_DEP_1)
	v_lshlrev_b32_e32 v176, 20, v176
	v_or3_b32 v177, v167, v177, v176
.LBB4_3996:                             ;   in Loop: Header=BB4_3574 Depth=3
	s_or_b32 exec_lo, exec_lo, s17
	v_and_b32_e32 v176, 0xff, v166
	s_mov_b32 s13, 0
	s_mov_b32 s31, exec_lo
                                        ; implicit-def: $sgpr17
	s_delay_alu instid0(VALU_DEP_1)
	v_cmpx_lt_i16_e64 0x7f, v176
	s_xor_b32 s31, exec_lo, s31
	s_cbranch_execnz .LBB4_4736
; %bb.3997:                             ;   in Loop: Header=BB4_3574 Depth=3
	s_or_saveexec_b32 s31, s31
	v_mov_b32_e32 v167, s17
	s_xor_b32 exec_lo, exec_lo, s31
	s_cbranch_execnz .LBB4_4739
.LBB4_3998:                             ;   in Loop: Header=BB4_3574 Depth=3
	s_or_b32 exec_lo, exec_lo, s31
	s_and_saveexec_b32 s17, s13
	s_cbranch_execz .LBB4_4000
.LBB4_3999:                             ;   in Loop: Header=BB4_3574 Depth=3
	v_bfe_u32 v167, v19, 16, 3
	v_bfe_u32 v179, v19, 19, 4
	s_delay_alu instid0(VALU_DEP_2) | instskip(NEXT) | instid1(VALU_DEP_2)
	v_clz_i32_u32_e32 v176, v167
	v_cmp_eq_u32_e32 vcc_lo, 0, v179
	s_delay_alu instid0(VALU_DEP_2) | instskip(NEXT) | instid1(VALU_DEP_1)
	v_min_u32_e32 v176, 32, v176
	v_subrev_nc_u32_e32 v178, 28, v176
	v_sub_nc_u32_e32 v176, 29, v176
	s_delay_alu instid0(VALU_DEP_2) | instskip(SKIP_1) | instid1(VALU_DEP_2)
	v_lshlrev_b32_e32 v178, v178, v166
	v_lshlrev_b32_e32 v166, 24, v166
	v_and_b32_e32 v178, 7, v178
	s_delay_alu instid0(VALU_DEP_2) | instskip(NEXT) | instid1(VALU_DEP_2)
	v_and_b32_e32 v166, 0x80000000, v166
	v_cndmask_b32_e32 v167, v167, v178, vcc_lo
	s_delay_alu instid0(VALU_DEP_1) | instskip(NEXT) | instid1(VALU_DEP_1)
	v_dual_cndmask_b32 v176, v179, v176 :: v_dual_lshlrev_b32 v167, 20, v167
	v_lshl_add_u32 v176, v176, 23, 0x3b800000
	s_delay_alu instid0(VALU_DEP_1)
	v_or3_b32 v167, v166, v176, v167
.LBB4_4000:                             ;   in Loop: Header=BB4_3574 Depth=3
	s_or_b32 exec_lo, exec_lo, s17
	s_delay_alu instid0(VALU_DEP_1) | instskip(NEXT) | instid1(VALU_DEP_1)
	v_dual_max_f32 v166, v167, v167 :: v_dual_max_f32 v167, v177, v177
	v_min_f32_e32 v177, v167, v166
.LBB4_4001:                             ;   in Loop: Header=BB4_3574 Depth=3
	s_delay_alu instid0(VALU_DEP_1) | instskip(NEXT) | instid1(VALU_DEP_1)
	v_and_b32_e32 v166, 0x7f800000, v177
	v_cmp_ne_u32_e32 vcc_lo, 0x7f800000, v166
	v_mov_b32_e32 v166, 0x80
	s_and_saveexec_b32 s17, vcc_lo
	s_cbranch_execz .LBB4_4009
; %bb.4002:                             ;   in Loop: Header=BB4_3574 Depth=3
	v_mov_b32_e32 v166, 0
	s_mov_b32 s31, exec_lo
	v_cmpx_ne_u32_e32 0, v177
	s_cbranch_execz .LBB4_4008
; %bb.4003:                             ;   in Loop: Header=BB4_3574 Depth=3
	v_bfe_u32 v166, v177, 23, 8
	s_delay_alu instid0(VALU_DEP_1) | instskip(SKIP_1) | instid1(VALU_DEP_2)
	v_sub_nc_u32_e32 v176, 0x78, v166
	v_cmp_gt_u32_e32 vcc_lo, 0x79, v166
	v_dual_cndmask_b32 v176, 0, v176 :: v_dual_and_b32 v167, 0x7fffff, v177
	s_delay_alu instid0(VALU_DEP_1) | instskip(SKIP_2) | instid1(VALU_DEP_4)
	v_or_b32_e32 v178, 0x800000, v167
	v_cmp_eq_u32_e32 vcc_lo, 0, v166
	v_add_nc_u32_e32 v166, 0xffffff89, v166
	v_cndmask_b32_e64 v176, v176, 0x77, vcc_lo
	s_delay_alu instid0(VALU_DEP_4) | instskip(NEXT) | instid1(VALU_DEP_3)
	v_cndmask_b32_e32 v167, v178, v167, vcc_lo
	v_cndmask_b32_e64 v166, v166, 0xffffff8a, vcc_lo
	s_delay_alu instid0(VALU_DEP_3) | instskip(NEXT) | instid1(VALU_DEP_3)
	v_lshl_add_u32 v178, 0x100000, v176, -1
	v_lshrrev_b32_e32 v179, v176, v167
	v_lshlrev_b32_e64 v181, v176, 0x80000
	s_delay_alu instid0(VALU_DEP_4) | instskip(NEXT) | instid1(VALU_DEP_4)
	v_add_nc_u32_e32 v176, v176, v166
	v_and_b32_e32 v167, v178, v167
	s_delay_alu instid0(VALU_DEP_4) | instskip(NEXT) | instid1(VALU_DEP_2)
	v_bfe_u32 v180, v179, 20, 1
	v_cmp_eq_u32_e64 s13, v167, v181
	s_delay_alu instid0(VALU_DEP_2) | instskip(NEXT) | instid1(VALU_DEP_1)
	v_add_nc_u32_e32 v178, -1, v180
	v_cndmask_b32_e64 v167, 0, v178, s13
	v_lshrrev_b32_e32 v178, 23, v179
	s_mov_b32 s13, exec_lo
	s_delay_alu instid0(VALU_DEP_2) | instskip(NEXT) | instid1(VALU_DEP_2)
	v_add_nc_u32_e32 v167, v167, v179
	v_xor_b32_e32 v178, 1, v178
	s_delay_alu instid0(VALU_DEP_2) | instskip(NEXT) | instid1(VALU_DEP_1)
	v_and_b32_e32 v166, 0xfffff, v167
	v_add_nc_u32_e32 v167, v166, v179
                                        ; implicit-def: $vgpr166
	s_delay_alu instid0(VALU_DEP_3)
	v_cmpx_ne_u32_e64 v176, v178
	s_xor_b32 s13, exec_lo, s13
; %bb.4004:                             ;   in Loop: Header=BB4_3574 Depth=3
	s_delay_alu instid0(VALU_DEP_2) | instskip(SKIP_2) | instid1(VALU_DEP_2)
	v_cmp_lt_u32_e32 vcc_lo, 0xffffff, v167
	v_sub_nc_u32_e32 v166, v176, v178
	v_cndmask_b32_e64 v176, 0, 1, vcc_lo
	v_add_co_ci_u32_e32 v166, vcc_lo, 0, v166, vcc_lo
	s_delay_alu instid0(VALU_DEP_2)
	v_lshrrev_b32_e32 v167, v176, v167
; %bb.4005:                             ;   in Loop: Header=BB4_3574 Depth=3
	s_and_not1_saveexec_b32 s13, s13
; %bb.4006:                             ;   in Loop: Header=BB4_3574 Depth=3
	s_delay_alu instid0(VALU_DEP_1)
	v_bfe_u32 v166, v167, 23, 1
; %bb.4007:                             ;   in Loop: Header=BB4_3574 Depth=3
	s_or_b32 exec_lo, exec_lo, s13
	v_lshrrev_b32_e32 v167, 20, v167
	s_delay_alu instid0(VALU_DEP_2) | instskip(SKIP_2) | instid1(VALU_DEP_2)
	v_cmp_gt_i32_e32 vcc_lo, 16, v166
	v_min_i32_e32 v176, 15, v166
	v_lshrrev_b32_e32 v177, 24, v177
	v_dual_cndmask_b32 v167, 7, v167 :: v_dual_lshlrev_b32 v176, 3, v176
	s_delay_alu instid0(VALU_DEP_1) | instskip(SKIP_1) | instid1(VALU_DEP_3)
	v_or_b32_e32 v166, v166, v167
	v_and_b32_e32 v178, 7, v167
	v_and_b32_e32 v176, 0xf8, v176
	s_delay_alu instid0(VALU_DEP_3) | instskip(SKIP_1) | instid1(VALU_DEP_1)
	v_cmp_ne_u32_e32 vcc_lo, 0, v166
	v_and_b32_e32 v177, 0x80, v177
	v_or3_b32 v167, v176, v177, v178
	s_delay_alu instid0(VALU_DEP_1)
	v_cndmask_b32_e32 v166, 0, v167, vcc_lo
.LBB4_4008:                             ;   in Loop: Header=BB4_3574 Depth=3
	s_or_b32 exec_lo, exec_lo, s31
.LBB4_4009:                             ;   in Loop: Header=BB4_3574 Depth=3
	s_delay_alu instid0(SALU_CYCLE_1) | instskip(SKIP_3) | instid1(VALU_DEP_2)
	s_or_b32 exec_lo, exec_lo, s17
	v_lshrrev_b32_e32 v176, 24, v23
	v_lshrrev_b32_e32 v167, 24, v19
	s_and_b32 vcc_lo, exec_lo, s16
	v_cmp_lt_i16_e64 s13, 0x7f, v176
	s_cbranch_vccz .LBB4_4019
; %bb.4010:                             ;   in Loop: Header=BB4_3574 Depth=3
	s_mov_b32 s17, 0
                                        ; implicit-def: $sgpr31
	s_delay_alu instid0(VALU_DEP_1) | instskip(NEXT) | instid1(SALU_CYCLE_1)
	s_and_saveexec_b32 vcc_lo, s13
	s_xor_b32 s13, exec_lo, vcc_lo
	s_cbranch_execnz .LBB4_4740
; %bb.4011:                             ;   in Loop: Header=BB4_3574 Depth=3
	s_or_saveexec_b32 s13, s13
	v_mov_b32_e32 v177, s31
	s_xor_b32 exec_lo, exec_lo, s13
	s_cbranch_execnz .LBB4_4743
.LBB4_4012:                             ;   in Loop: Header=BB4_3574 Depth=3
	s_or_b32 exec_lo, exec_lo, s13
	s_and_saveexec_b32 s13, s17
	s_cbranch_execz .LBB4_4014
.LBB4_4013:                             ;   in Loop: Header=BB4_3574 Depth=3
	v_bfe_u32 v177, v23, 24, 3
	v_bfe_u32 v180, v23, 27, 4
	s_delay_alu instid0(VALU_DEP_2) | instskip(NEXT) | instid1(VALU_DEP_2)
	v_clz_i32_u32_e32 v178, v177
	v_cmp_eq_u32_e32 vcc_lo, 0, v180
	s_delay_alu instid0(VALU_DEP_2) | instskip(NEXT) | instid1(VALU_DEP_1)
	v_min_u32_e32 v178, 32, v178
	v_subrev_nc_u32_e32 v179, 28, v178
	v_sub_nc_u32_e32 v178, 29, v178
	s_delay_alu instid0(VALU_DEP_1) | instskip(NEXT) | instid1(VALU_DEP_1)
	v_dual_cndmask_b32 v178, v180, v178 :: v_dual_lshlrev_b32 v179, v179, v176
	v_and_b32_e32 v179, 7, v179
	s_delay_alu instid0(VALU_DEP_2) | instskip(NEXT) | instid1(VALU_DEP_2)
	v_lshl_add_u32 v178, v178, 23, 0x3b800000
	v_cndmask_b32_e32 v177, v177, v179, vcc_lo
	v_and_b32_e32 v179, 0x80000000, v23
	s_delay_alu instid0(VALU_DEP_2) | instskip(NEXT) | instid1(VALU_DEP_1)
	v_lshlrev_b32_e32 v177, 20, v177
	v_or3_b32 v177, v179, v178, v177
.LBB4_4014:                             ;   in Loop: Header=BB4_3574 Depth=3
	s_or_b32 exec_lo, exec_lo, s13
	s_mov_b32 s13, 0
	s_mov_b32 s31, exec_lo
                                        ; implicit-def: $sgpr17
	v_cmpx_lt_i16_e64 0x7f, v167
	s_xor_b32 s31, exec_lo, s31
	s_cbranch_execnz .LBB4_4744
; %bb.4015:                             ;   in Loop: Header=BB4_3574 Depth=3
	s_or_saveexec_b32 s31, s31
	v_mov_b32_e32 v178, s17
	s_xor_b32 exec_lo, exec_lo, s31
	s_cbranch_execnz .LBB4_4747
.LBB4_4016:                             ;   in Loop: Header=BB4_3574 Depth=3
	s_or_b32 exec_lo, exec_lo, s31
	s_and_saveexec_b32 s17, s13
	s_cbranch_execz .LBB4_4018
.LBB4_4017:                             ;   in Loop: Header=BB4_3574 Depth=3
	v_bfe_u32 v178, v19, 24, 3
	v_bfe_u32 v181, v19, 27, 4
	s_delay_alu instid0(VALU_DEP_2) | instskip(NEXT) | instid1(VALU_DEP_2)
	v_clz_i32_u32_e32 v179, v178
	v_cmp_eq_u32_e32 vcc_lo, 0, v181
	s_delay_alu instid0(VALU_DEP_2) | instskip(NEXT) | instid1(VALU_DEP_1)
	v_min_u32_e32 v179, 32, v179
	v_subrev_nc_u32_e32 v180, 28, v179
	v_sub_nc_u32_e32 v179, 29, v179
	s_delay_alu instid0(VALU_DEP_2) | instskip(NEXT) | instid1(VALU_DEP_1)
	v_lshlrev_b32_e32 v180, v180, v167
	v_dual_cndmask_b32 v179, v181, v179 :: v_dual_and_b32 v180, 7, v180
	s_delay_alu instid0(VALU_DEP_1) | instskip(NEXT) | instid1(VALU_DEP_2)
	v_lshl_add_u32 v179, v179, 23, 0x3b800000
	v_cndmask_b32_e32 v178, v178, v180, vcc_lo
	v_and_b32_e32 v180, 0x80000000, v19
	s_delay_alu instid0(VALU_DEP_2) | instskip(NEXT) | instid1(VALU_DEP_1)
	v_lshlrev_b32_e32 v178, 20, v178
	v_or3_b32 v178, v180, v179, v178
.LBB4_4018:                             ;   in Loop: Header=BB4_3574 Depth=3
	s_or_b32 exec_lo, exec_lo, s17
	s_delay_alu instid0(VALU_DEP_1) | instskip(SKIP_1) | instid1(VALU_DEP_1)
	v_dual_max_f32 v178, v178, v178 :: v_dual_max_f32 v177, v177, v177
	s_mov_b32 s13, 0
	v_max_f32_e32 v177, v177, v178
	s_branch .LBB4_4020
.LBB4_4019:                             ;   in Loop: Header=BB4_3574 Depth=3
	s_mov_b32 s13, -1
                                        ; implicit-def: $vgpr177
.LBB4_4020:                             ;   in Loop: Header=BB4_3574 Depth=3
	s_delay_alu instid0(SALU_CYCLE_1)
	s_and_b32 vcc_lo, exec_lo, s13
	s_cbranch_vccz .LBB4_4030
; %bb.4021:                             ;   in Loop: Header=BB4_3574 Depth=3
	s_mov_b32 s13, 0
	s_mov_b32 s31, exec_lo
                                        ; implicit-def: $sgpr17
	v_cmpx_lt_i16_e64 0x7f, v176
	s_xor_b32 s31, exec_lo, s31
	s_cbranch_execnz .LBB4_4748
; %bb.4022:                             ;   in Loop: Header=BB4_3574 Depth=3
	s_or_saveexec_b32 s31, s31
	v_mov_b32_e32 v177, s17
	s_xor_b32 exec_lo, exec_lo, s31
	s_cbranch_execnz .LBB4_4751
.LBB4_4023:                             ;   in Loop: Header=BB4_3574 Depth=3
	s_or_b32 exec_lo, exec_lo, s31
	s_and_saveexec_b32 s17, s13
	s_cbranch_execz .LBB4_4025
.LBB4_4024:                             ;   in Loop: Header=BB4_3574 Depth=3
	v_bfe_u32 v177, v23, 24, 3
	s_delay_alu instid0(VALU_DEP_1) | instskip(NEXT) | instid1(VALU_DEP_1)
	v_clz_i32_u32_e32 v178, v177
	v_min_u32_e32 v178, 32, v178
	s_delay_alu instid0(VALU_DEP_1) | instskip(SKIP_1) | instid1(VALU_DEP_2)
	v_subrev_nc_u32_e32 v179, 28, v178
	v_sub_nc_u32_e32 v178, 29, v178
	v_lshlrev_b32_e32 v176, v179, v176
	v_bfe_u32 v179, v23, 27, 4
	v_and_b32_e32 v23, 0x80000000, v23
	s_delay_alu instid0(VALU_DEP_3) | instskip(NEXT) | instid1(VALU_DEP_3)
	v_and_b32_e32 v176, 7, v176
	v_cmp_eq_u32_e32 vcc_lo, 0, v179
	v_cndmask_b32_e32 v178, v179, v178, vcc_lo
	s_delay_alu instid0(VALU_DEP_3) | instskip(NEXT) | instid1(VALU_DEP_2)
	v_cndmask_b32_e32 v176, v177, v176, vcc_lo
	v_lshl_add_u32 v177, v178, 23, 0x3b800000
	s_delay_alu instid0(VALU_DEP_2) | instskip(NEXT) | instid1(VALU_DEP_1)
	v_lshlrev_b32_e32 v176, 20, v176
	v_or3_b32 v177, v23, v177, v176
.LBB4_4025:                             ;   in Loop: Header=BB4_3574 Depth=3
	s_or_b32 exec_lo, exec_lo, s17
	s_mov_b32 s13, 0
	s_mov_b32 s31, exec_lo
                                        ; implicit-def: $sgpr17
	v_cmpx_lt_i16_e64 0x7f, v167
	s_xor_b32 s31, exec_lo, s31
	s_cbranch_execnz .LBB4_4752
; %bb.4026:                             ;   in Loop: Header=BB4_3574 Depth=3
	s_or_saveexec_b32 s31, s31
	v_mov_b32_e32 v23, s17
	s_xor_b32 exec_lo, exec_lo, s31
	s_cbranch_execnz .LBB4_4755
.LBB4_4027:                             ;   in Loop: Header=BB4_3574 Depth=3
	s_or_b32 exec_lo, exec_lo, s31
	s_and_saveexec_b32 s17, s13
	s_cbranch_execz .LBB4_4029
.LBB4_4028:                             ;   in Loop: Header=BB4_3574 Depth=3
	v_bfe_u32 v23, v19, 24, 3
	s_delay_alu instid0(VALU_DEP_1) | instskip(NEXT) | instid1(VALU_DEP_1)
	v_clz_i32_u32_e32 v176, v23
	v_min_u32_e32 v176, 32, v176
	s_delay_alu instid0(VALU_DEP_1) | instskip(SKIP_1) | instid1(VALU_DEP_2)
	v_subrev_nc_u32_e32 v178, 28, v176
	v_sub_nc_u32_e32 v176, 29, v176
	v_lshlrev_b32_e32 v167, v178, v167
	v_bfe_u32 v178, v19, 27, 4
	v_and_b32_e32 v19, 0x80000000, v19
	s_delay_alu instid0(VALU_DEP_2) | instskip(NEXT) | instid1(VALU_DEP_4)
	v_cmp_eq_u32_e32 vcc_lo, 0, v178
	v_dual_cndmask_b32 v176, v178, v176 :: v_dual_and_b32 v167, 7, v167
	s_delay_alu instid0(VALU_DEP_1) | instskip(NEXT) | instid1(VALU_DEP_2)
	v_cndmask_b32_e32 v23, v23, v167, vcc_lo
	v_lshl_add_u32 v167, v176, 23, 0x3b800000
	s_delay_alu instid0(VALU_DEP_2) | instskip(NEXT) | instid1(VALU_DEP_1)
	v_lshlrev_b32_e32 v23, 20, v23
	v_or3_b32 v23, v19, v167, v23
.LBB4_4029:                             ;   in Loop: Header=BB4_3574 Depth=3
	s_or_b32 exec_lo, exec_lo, s17
	s_delay_alu instid0(VALU_DEP_1) | instskip(SKIP_1) | instid1(VALU_DEP_1)
	v_max_f32_e32 v19, v23, v23
	v_max_f32_e32 v23, v177, v177
	v_min_f32_e32 v177, v23, v19
.LBB4_4030:                             ;   in Loop: Header=BB4_3574 Depth=3
	s_delay_alu instid0(VALU_DEP_1) | instskip(NEXT) | instid1(VALU_DEP_1)
	v_and_b32_e32 v19, 0x7f800000, v177
	v_cmp_ne_u32_e32 vcc_lo, 0x7f800000, v19
	v_mov_b32_e32 v19, 0x8000
	s_and_saveexec_b32 s17, vcc_lo
	s_cbranch_execz .LBB4_4038
; %bb.4031:                             ;   in Loop: Header=BB4_3574 Depth=3
	v_mov_b32_e32 v19, 0
	s_mov_b32 s31, exec_lo
	v_cmpx_ne_u32_e32 0, v177
	s_cbranch_execz .LBB4_4037
; %bb.4032:                             ;   in Loop: Header=BB4_3574 Depth=3
	v_bfe_u32 v19, v177, 23, 8
	v_and_b32_e32 v23, 0x7fffff, v177
	s_delay_alu instid0(VALU_DEP_2) | instskip(SKIP_1) | instid1(VALU_DEP_3)
	v_sub_nc_u32_e32 v167, 0x78, v19
	v_cmp_gt_u32_e32 vcc_lo, 0x79, v19
	v_or_b32_e32 v176, 0x800000, v23
	s_delay_alu instid0(VALU_DEP_3) | instskip(SKIP_2) | instid1(VALU_DEP_3)
	v_cndmask_b32_e32 v167, 0, v167, vcc_lo
	v_cmp_eq_u32_e32 vcc_lo, 0, v19
	v_add_nc_u32_e32 v19, 0xffffff89, v19
	v_cndmask_b32_e64 v167, v167, 0x77, vcc_lo
	v_cndmask_b32_e32 v23, v176, v23, vcc_lo
	s_delay_alu instid0(VALU_DEP_3) | instskip(NEXT) | instid1(VALU_DEP_3)
	v_cndmask_b32_e64 v19, v19, 0xffffff8a, vcc_lo
	v_lshl_add_u32 v176, 0x100000, v167, -1
	s_delay_alu instid0(VALU_DEP_3) | instskip(SKIP_1) | instid1(VALU_DEP_4)
	v_lshrrev_b32_e32 v178, v167, v23
	v_lshlrev_b32_e64 v180, v167, 0x80000
	v_add_nc_u32_e32 v167, v167, v19
	s_delay_alu instid0(VALU_DEP_4) | instskip(NEXT) | instid1(VALU_DEP_4)
	v_and_b32_e32 v23, v176, v23
	v_bfe_u32 v179, v178, 20, 1
	s_delay_alu instid0(VALU_DEP_2) | instskip(NEXT) | instid1(VALU_DEP_2)
	v_cmp_eq_u32_e64 s13, v23, v180
	v_add_nc_u32_e32 v176, -1, v179
	s_delay_alu instid0(VALU_DEP_1) | instskip(SKIP_2) | instid1(VALU_DEP_2)
	v_cndmask_b32_e64 v23, 0, v176, s13
	v_lshrrev_b32_e32 v176, 23, v178
	s_mov_b32 s13, exec_lo
	v_add_nc_u32_e32 v23, v23, v178
	s_delay_alu instid0(VALU_DEP_2) | instskip(NEXT) | instid1(VALU_DEP_2)
	v_xor_b32_e32 v176, 1, v176
	v_and_b32_e32 v19, 0xfffff, v23
	s_delay_alu instid0(VALU_DEP_1) | instskip(NEXT) | instid1(VALU_DEP_3)
	v_add_nc_u32_e32 v23, v19, v178
                                        ; implicit-def: $vgpr19
	v_cmpx_ne_u32_e64 v167, v176
	s_xor_b32 s13, exec_lo, s13
; %bb.4033:                             ;   in Loop: Header=BB4_3574 Depth=3
	s_delay_alu instid0(VALU_DEP_2) | instskip(SKIP_2) | instid1(VALU_DEP_2)
	v_cmp_lt_u32_e32 vcc_lo, 0xffffff, v23
	v_sub_nc_u32_e32 v19, v167, v176
	v_cndmask_b32_e64 v167, 0, 1, vcc_lo
	v_add_co_ci_u32_e32 v19, vcc_lo, 0, v19, vcc_lo
	s_delay_alu instid0(VALU_DEP_2)
	v_lshrrev_b32_e32 v23, v167, v23
; %bb.4034:                             ;   in Loop: Header=BB4_3574 Depth=3
	s_and_not1_saveexec_b32 s13, s13
; %bb.4035:                             ;   in Loop: Header=BB4_3574 Depth=3
	s_delay_alu instid0(VALU_DEP_1)
	v_bfe_u32 v19, v23, 23, 1
; %bb.4036:                             ;   in Loop: Header=BB4_3574 Depth=3
	s_or_b32 exec_lo, exec_lo, s13
	v_lshrrev_b32_e32 v23, 20, v23
	s_delay_alu instid0(VALU_DEP_2) | instskip(SKIP_2) | instid1(VALU_DEP_3)
	v_min_i32_e32 v167, 15, v19
	v_cmp_gt_i32_e32 vcc_lo, 16, v19
	v_lshrrev_b32_e32 v176, 24, v177
	v_lshlrev_b32_e32 v167, 3, v167
	s_delay_alu instid0(VALU_DEP_2) | instskip(NEXT) | instid1(VALU_DEP_2)
	v_dual_cndmask_b32 v23, 7, v23 :: v_dual_and_b32 v176, 0x80, v176
	v_and_b32_e32 v167, 0xf8, v167
	s_delay_alu instid0(VALU_DEP_2) | instskip(SKIP_1) | instid1(VALU_DEP_2)
	v_and_b32_e32 v177, 7, v23
	v_or_b32_e32 v19, v19, v23
	v_or3_b32 v167, v176, v167, v177
	s_delay_alu instid0(VALU_DEP_2) | instskip(NEXT) | instid1(VALU_DEP_2)
	v_cmp_ne_u32_e32 vcc_lo, 0, v19
	v_lshlrev_b32_e32 v23, 8, v167
	s_delay_alu instid0(VALU_DEP_1)
	v_cndmask_b32_e32 v19, 0, v23, vcc_lo
.LBB4_4037:                             ;   in Loop: Header=BB4_3574 Depth=3
	s_or_b32 exec_lo, exec_lo, s31
.LBB4_4038:                             ;   in Loop: Header=BB4_3574 Depth=3
	s_delay_alu instid0(SALU_CYCLE_1) | instskip(SKIP_2) | instid1(VALU_DEP_1)
	s_or_b32 exec_lo, exec_lo, s17
	v_and_b32_e32 v23, 0xff, v12
	s_and_not1_b32 vcc_lo, exec_lo, s16
	v_cmp_lt_i16_e64 s13, 0x7f, v23
	s_cbranch_vccnz .LBB4_4048
; %bb.4039:                             ;   in Loop: Header=BB4_3574 Depth=3
	s_mov_b32 s17, 0
                                        ; implicit-def: $sgpr31
	s_delay_alu instid0(VALU_DEP_1) | instskip(NEXT) | instid1(SALU_CYCLE_1)
	s_and_saveexec_b32 vcc_lo, s13
	s_xor_b32 s13, exec_lo, vcc_lo
	s_cbranch_execnz .LBB4_4756
; %bb.4040:                             ;   in Loop: Header=BB4_3574 Depth=3
	s_or_saveexec_b32 s13, s13
	v_mov_b32_e32 v167, s31
	s_xor_b32 exec_lo, exec_lo, s13
	s_cbranch_execnz .LBB4_4759
.LBB4_4041:                             ;   in Loop: Header=BB4_3574 Depth=3
	s_or_b32 exec_lo, exec_lo, s13
	s_and_saveexec_b32 s13, s17
	s_cbranch_execz .LBB4_4043
.LBB4_4042:                             ;   in Loop: Header=BB4_3574 Depth=3
	v_and_b32_e32 v167, 7, v12
	v_bfe_u32 v178, v12, 3, 4
	v_lshlrev_b32_e32 v179, 24, v12
	s_delay_alu instid0(VALU_DEP_3) | instskip(NEXT) | instid1(VALU_DEP_3)
	v_clz_i32_u32_e32 v176, v167
	v_cmp_eq_u32_e32 vcc_lo, 0, v178
	s_delay_alu instid0(VALU_DEP_2) | instskip(NEXT) | instid1(VALU_DEP_1)
	v_min_u32_e32 v176, 32, v176
	v_subrev_nc_u32_e32 v177, 28, v176
	v_sub_nc_u32_e32 v176, 29, v176
	s_delay_alu instid0(VALU_DEP_2) | instskip(NEXT) | instid1(VALU_DEP_1)
	v_lshlrev_b32_e32 v177, v177, v12
	v_dual_cndmask_b32 v176, v178, v176 :: v_dual_and_b32 v177, 7, v177
	s_delay_alu instid0(VALU_DEP_1) | instskip(NEXT) | instid1(VALU_DEP_2)
	v_lshl_add_u32 v176, v176, 23, 0x3b800000
	v_cndmask_b32_e32 v167, v167, v177, vcc_lo
	v_and_b32_e32 v177, 0x80000000, v179
	s_delay_alu instid0(VALU_DEP_2) | instskip(NEXT) | instid1(VALU_DEP_1)
	v_lshlrev_b32_e32 v167, 20, v167
	v_or3_b32 v167, v177, v176, v167
.LBB4_4043:                             ;   in Loop: Header=BB4_3574 Depth=3
	s_or_b32 exec_lo, exec_lo, s13
	s_waitcnt vmcnt(0)
	v_and_b32_e32 v177, 0xff, v8
	s_mov_b32 s13, 0
	s_mov_b32 s31, exec_lo
                                        ; implicit-def: $sgpr17
	s_delay_alu instid0(VALU_DEP_1)
	v_cmpx_lt_i16_e64 0x7f, v177
	s_xor_b32 s31, exec_lo, s31
	s_cbranch_execnz .LBB4_4760
; %bb.4044:                             ;   in Loop: Header=BB4_3574 Depth=3
	s_or_saveexec_b32 s31, s31
	v_mov_b32_e32 v176, s17
	s_xor_b32 exec_lo, exec_lo, s31
	s_cbranch_execnz .LBB4_4763
.LBB4_4045:                             ;   in Loop: Header=BB4_3574 Depth=3
	s_or_b32 exec_lo, exec_lo, s31
	s_and_saveexec_b32 s17, s13
	s_cbranch_execz .LBB4_4047
.LBB4_4046:                             ;   in Loop: Header=BB4_3574 Depth=3
	v_bfe_u32 v179, v8, 3, 4
	v_lshlrev_b32_e32 v180, 24, v8
	s_delay_alu instid0(VALU_DEP_2) | instskip(SKIP_1) | instid1(VALU_DEP_1)
	v_cmp_eq_u32_e32 vcc_lo, 0, v179
	v_and_b32_e32 v176, 7, v8
	v_clz_i32_u32_e32 v177, v176
	s_delay_alu instid0(VALU_DEP_1) | instskip(NEXT) | instid1(VALU_DEP_1)
	v_min_u32_e32 v177, 32, v177
	v_subrev_nc_u32_e32 v178, 28, v177
	v_sub_nc_u32_e32 v177, 29, v177
	s_delay_alu instid0(VALU_DEP_1) | instskip(NEXT) | instid1(VALU_DEP_1)
	v_dual_cndmask_b32 v177, v179, v177 :: v_dual_lshlrev_b32 v178, v178, v8
	v_and_b32_e32 v178, 7, v178
	s_delay_alu instid0(VALU_DEP_2) | instskip(NEXT) | instid1(VALU_DEP_2)
	v_lshl_add_u32 v177, v177, 23, 0x3b800000
	v_cndmask_b32_e32 v176, v176, v178, vcc_lo
	v_and_b32_e32 v178, 0x80000000, v180
	s_delay_alu instid0(VALU_DEP_2) | instskip(NEXT) | instid1(VALU_DEP_1)
	v_lshlrev_b32_e32 v176, 20, v176
	v_or3_b32 v176, v178, v177, v176
.LBB4_4047:                             ;   in Loop: Header=BB4_3574 Depth=3
	s_or_b32 exec_lo, exec_lo, s17
	s_delay_alu instid0(VALU_DEP_1) | instskip(SKIP_1) | instid1(VALU_DEP_1)
	v_dual_max_f32 v176, v176, v176 :: v_dual_max_f32 v167, v167, v167
	s_mov_b32 s13, 0
	v_max_f32_e32 v167, v167, v176
	s_branch .LBB4_4049
.LBB4_4048:                             ;   in Loop: Header=BB4_3574 Depth=3
	s_mov_b32 s13, -1
                                        ; implicit-def: $vgpr167
.LBB4_4049:                             ;   in Loop: Header=BB4_3574 Depth=3
	s_delay_alu instid0(SALU_CYCLE_1)
	s_and_b32 vcc_lo, exec_lo, s13
	s_cbranch_vccz .LBB4_4059
; %bb.4050:                             ;   in Loop: Header=BB4_3574 Depth=3
	s_mov_b32 s13, 0
	s_mov_b32 s31, exec_lo
                                        ; implicit-def: $sgpr17
	v_cmpx_lt_i16_e32 0x7f, v23
	s_xor_b32 s31, exec_lo, s31
	s_cbranch_execnz .LBB4_4764
; %bb.4051:                             ;   in Loop: Header=BB4_3574 Depth=3
	s_or_saveexec_b32 s31, s31
	v_mov_b32_e32 v167, s17
	s_xor_b32 exec_lo, exec_lo, s31
	s_cbranch_execnz .LBB4_4767
.LBB4_4052:                             ;   in Loop: Header=BB4_3574 Depth=3
	s_or_b32 exec_lo, exec_lo, s31
	s_and_saveexec_b32 s17, s13
	s_cbranch_execz .LBB4_4054
.LBB4_4053:                             ;   in Loop: Header=BB4_3574 Depth=3
	v_and_b32_e32 v23, 7, v12
	v_bfe_u32 v177, v12, 3, 4
	v_lshlrev_b32_e32 v178, 24, v12
	s_delay_alu instid0(VALU_DEP_3) | instskip(NEXT) | instid1(VALU_DEP_3)
	v_clz_i32_u32_e32 v167, v23
	v_cmp_eq_u32_e32 vcc_lo, 0, v177
	s_delay_alu instid0(VALU_DEP_2) | instskip(NEXT) | instid1(VALU_DEP_1)
	v_min_u32_e32 v167, 32, v167
	v_subrev_nc_u32_e32 v176, 28, v167
	v_sub_nc_u32_e32 v167, 29, v167
	s_delay_alu instid0(VALU_DEP_1) | instskip(NEXT) | instid1(VALU_DEP_1)
	v_dual_cndmask_b32 v167, v177, v167 :: v_dual_lshlrev_b32 v176, v176, v12
	v_and_b32_e32 v176, 7, v176
	s_delay_alu instid0(VALU_DEP_2) | instskip(NEXT) | instid1(VALU_DEP_2)
	v_lshl_add_u32 v167, v167, 23, 0x3b800000
	v_dual_cndmask_b32 v23, v23, v176 :: v_dual_and_b32 v176, 0x80000000, v178
	s_delay_alu instid0(VALU_DEP_1) | instskip(NEXT) | instid1(VALU_DEP_1)
	v_lshlrev_b32_e32 v23, 20, v23
	v_or3_b32 v167, v176, v167, v23
.LBB4_4054:                             ;   in Loop: Header=BB4_3574 Depth=3
	s_or_b32 exec_lo, exec_lo, s17
	s_waitcnt vmcnt(0)
	v_and_b32_e32 v176, 0xff, v8
	s_mov_b32 s13, 0
	s_mov_b32 s31, exec_lo
                                        ; implicit-def: $sgpr17
	s_delay_alu instid0(VALU_DEP_1)
	v_cmpx_lt_i16_e64 0x7f, v176
	s_xor_b32 s31, exec_lo, s31
	s_cbranch_execnz .LBB4_4768
; %bb.4055:                             ;   in Loop: Header=BB4_3574 Depth=3
	s_or_saveexec_b32 s31, s31
	v_mov_b32_e32 v23, s17
	s_xor_b32 exec_lo, exec_lo, s31
	s_cbranch_execnz .LBB4_4771
.LBB4_4056:                             ;   in Loop: Header=BB4_3574 Depth=3
	s_or_b32 exec_lo, exec_lo, s31
	s_and_saveexec_b32 s17, s13
	s_cbranch_execz .LBB4_4058
.LBB4_4057:                             ;   in Loop: Header=BB4_3574 Depth=3
	v_and_b32_e32 v23, 7, v8
	v_bfe_u32 v178, v8, 3, 4
	v_lshlrev_b32_e32 v179, 24, v8
	s_delay_alu instid0(VALU_DEP_3) | instskip(NEXT) | instid1(VALU_DEP_3)
	v_clz_i32_u32_e32 v176, v23
	v_cmp_eq_u32_e32 vcc_lo, 0, v178
	s_delay_alu instid0(VALU_DEP_2) | instskip(NEXT) | instid1(VALU_DEP_1)
	v_min_u32_e32 v176, 32, v176
	v_subrev_nc_u32_e32 v177, 28, v176
	v_sub_nc_u32_e32 v176, 29, v176
	s_delay_alu instid0(VALU_DEP_2) | instskip(NEXT) | instid1(VALU_DEP_1)
	v_lshlrev_b32_e32 v177, v177, v8
	v_dual_cndmask_b32 v176, v178, v176 :: v_dual_and_b32 v177, 7, v177
	s_delay_alu instid0(VALU_DEP_1) | instskip(NEXT) | instid1(VALU_DEP_2)
	v_lshl_add_u32 v176, v176, 23, 0x3b800000
	v_cndmask_b32_e32 v23, v23, v177, vcc_lo
	v_and_b32_e32 v177, 0x80000000, v179
	s_delay_alu instid0(VALU_DEP_2) | instskip(NEXT) | instid1(VALU_DEP_1)
	v_lshlrev_b32_e32 v23, 20, v23
	v_or3_b32 v23, v177, v176, v23
.LBB4_4058:                             ;   in Loop: Header=BB4_3574 Depth=3
	s_or_b32 exec_lo, exec_lo, s17
	s_delay_alu instid0(VALU_DEP_1) | instskip(SKIP_1) | instid1(VALU_DEP_1)
	v_max_f32_e32 v23, v23, v23
	v_max_f32_e32 v167, v167, v167
	v_min_f32_e32 v167, v167, v23
.LBB4_4059:                             ;   in Loop: Header=BB4_3574 Depth=3
	s_delay_alu instid0(VALU_DEP_1) | instskip(NEXT) | instid1(VALU_DEP_1)
	v_and_b32_e32 v23, 0x7f800000, v167
	v_cmp_ne_u32_e32 vcc_lo, 0x7f800000, v23
	v_mov_b32_e32 v23, 0x80
	s_and_saveexec_b32 s17, vcc_lo
	s_cbranch_execz .LBB4_4067
; %bb.4060:                             ;   in Loop: Header=BB4_3574 Depth=3
	v_mov_b32_e32 v23, 0
	s_mov_b32 s31, exec_lo
	v_cmpx_ne_u32_e32 0, v167
	s_cbranch_execz .LBB4_4066
; %bb.4061:                             ;   in Loop: Header=BB4_3574 Depth=3
	v_bfe_u32 v23, v167, 23, 8
	s_delay_alu instid0(VALU_DEP_1) | instskip(SKIP_1) | instid1(VALU_DEP_2)
	v_sub_nc_u32_e32 v177, 0x78, v23
	v_cmp_gt_u32_e32 vcc_lo, 0x79, v23
	v_dual_cndmask_b32 v177, 0, v177 :: v_dual_and_b32 v176, 0x7fffff, v167
	s_delay_alu instid0(VALU_DEP_1) | instskip(SKIP_2) | instid1(VALU_DEP_4)
	v_or_b32_e32 v178, 0x800000, v176
	v_cmp_eq_u32_e32 vcc_lo, 0, v23
	v_add_nc_u32_e32 v23, 0xffffff89, v23
	v_cndmask_b32_e64 v177, v177, 0x77, vcc_lo
	s_delay_alu instid0(VALU_DEP_4) | instskip(NEXT) | instid1(VALU_DEP_3)
	v_cndmask_b32_e32 v176, v178, v176, vcc_lo
	v_cndmask_b32_e64 v23, v23, 0xffffff8a, vcc_lo
	s_delay_alu instid0(VALU_DEP_3) | instskip(NEXT) | instid1(VALU_DEP_3)
	v_lshl_add_u32 v178, 0x100000, v177, -1
	v_lshrrev_b32_e32 v179, v177, v176
	v_lshlrev_b32_e64 v181, v177, 0x80000
	s_delay_alu instid0(VALU_DEP_4) | instskip(NEXT) | instid1(VALU_DEP_4)
	v_add_nc_u32_e32 v177, v177, v23
	v_and_b32_e32 v176, v178, v176
	s_delay_alu instid0(VALU_DEP_4) | instskip(NEXT) | instid1(VALU_DEP_2)
	v_bfe_u32 v180, v179, 20, 1
	v_cmp_eq_u32_e64 s13, v176, v181
	s_delay_alu instid0(VALU_DEP_2) | instskip(NEXT) | instid1(VALU_DEP_1)
	v_add_nc_u32_e32 v178, -1, v180
	v_cndmask_b32_e64 v176, 0, v178, s13
	v_lshrrev_b32_e32 v178, 23, v179
	s_mov_b32 s13, exec_lo
	s_delay_alu instid0(VALU_DEP_2) | instskip(NEXT) | instid1(VALU_DEP_2)
	v_add_nc_u32_e32 v176, v176, v179
	v_xor_b32_e32 v178, 1, v178
	s_delay_alu instid0(VALU_DEP_2) | instskip(NEXT) | instid1(VALU_DEP_1)
	v_and_b32_e32 v23, 0xfffff, v176
	v_add_nc_u32_e32 v176, v23, v179
                                        ; implicit-def: $vgpr23
	s_delay_alu instid0(VALU_DEP_3)
	v_cmpx_ne_u32_e64 v177, v178
	s_xor_b32 s13, exec_lo, s13
; %bb.4062:                             ;   in Loop: Header=BB4_3574 Depth=3
	s_delay_alu instid0(VALU_DEP_2) | instskip(SKIP_2) | instid1(VALU_DEP_2)
	v_cmp_lt_u32_e32 vcc_lo, 0xffffff, v176
	v_sub_nc_u32_e32 v23, v177, v178
	v_cndmask_b32_e64 v177, 0, 1, vcc_lo
	v_add_co_ci_u32_e32 v23, vcc_lo, 0, v23, vcc_lo
	s_delay_alu instid0(VALU_DEP_2)
	v_lshrrev_b32_e32 v176, v177, v176
; %bb.4063:                             ;   in Loop: Header=BB4_3574 Depth=3
	s_and_not1_saveexec_b32 s13, s13
; %bb.4064:                             ;   in Loop: Header=BB4_3574 Depth=3
	s_delay_alu instid0(VALU_DEP_1)
	v_bfe_u32 v23, v176, 23, 1
; %bb.4065:                             ;   in Loop: Header=BB4_3574 Depth=3
	s_or_b32 exec_lo, exec_lo, s13
	v_lshrrev_b32_e32 v176, 20, v176
	s_delay_alu instid0(VALU_DEP_2) | instskip(SKIP_2) | instid1(VALU_DEP_2)
	v_cmp_gt_i32_e32 vcc_lo, 16, v23
	v_lshrrev_b32_e32 v167, 24, v167
	v_min_i32_e32 v177, 15, v23
	v_dual_cndmask_b32 v176, 7, v176 :: v_dual_and_b32 v167, 0x80, v167
	s_delay_alu instid0(VALU_DEP_2) | instskip(NEXT) | instid1(VALU_DEP_2)
	v_lshlrev_b32_e32 v177, 3, v177
	v_or_b32_e32 v23, v23, v176
	s_delay_alu instid0(VALU_DEP_1) | instskip(SKIP_1) | instid1(VALU_DEP_1)
	v_cmp_ne_u32_e32 vcc_lo, 0, v23
	v_and_b32_e32 v178, 7, v176
	v_or3_b32 v167, v177, v167, v178
	s_delay_alu instid0(VALU_DEP_1)
	v_cndmask_b32_e32 v23, 0, v167, vcc_lo
.LBB4_4066:                             ;   in Loop: Header=BB4_3574 Depth=3
	s_or_b32 exec_lo, exec_lo, s31
.LBB4_4067:                             ;   in Loop: Header=BB4_3574 Depth=3
	s_delay_alu instid0(SALU_CYCLE_1) | instskip(SKIP_4) | instid1(VALU_DEP_2)
	s_or_b32 exec_lo, exec_lo, s17
	v_lshrrev_b16 v176, 8, v12
	s_waitcnt vmcnt(0)
	v_lshrrev_b16 v167, 8, v8
	s_and_not1_b32 vcc_lo, exec_lo, s16
	v_cmp_lt_i16_e64 s13, 0x7f, v176
	s_cbranch_vccnz .LBB4_4077
; %bb.4068:                             ;   in Loop: Header=BB4_3574 Depth=3
	s_mov_b32 s17, 0
                                        ; implicit-def: $sgpr31
	s_delay_alu instid0(VALU_DEP_1) | instskip(NEXT) | instid1(SALU_CYCLE_1)
	s_and_saveexec_b32 vcc_lo, s13
	s_xor_b32 s13, exec_lo, vcc_lo
	s_cbranch_execnz .LBB4_4772
; %bb.4069:                             ;   in Loop: Header=BB4_3574 Depth=3
	s_or_saveexec_b32 s13, s13
	v_mov_b32_e32 v177, s31
	s_xor_b32 exec_lo, exec_lo, s13
	s_cbranch_execnz .LBB4_4775
.LBB4_4070:                             ;   in Loop: Header=BB4_3574 Depth=3
	s_or_b32 exec_lo, exec_lo, s13
	s_and_saveexec_b32 s13, s17
	s_cbranch_execz .LBB4_4072
.LBB4_4071:                             ;   in Loop: Header=BB4_3574 Depth=3
	v_and_b32_e32 v177, 0xffff, v176
	v_lshlrev_b32_e32 v181, 16, v12
	s_delay_alu instid0(VALU_DEP_2) | instskip(NEXT) | instid1(VALU_DEP_1)
	v_and_b32_e32 v178, 7, v177
	v_clz_i32_u32_e32 v179, v178
	s_delay_alu instid0(VALU_DEP_1) | instskip(NEXT) | instid1(VALU_DEP_1)
	v_min_u32_e32 v179, 32, v179
	v_subrev_nc_u32_e32 v180, 28, v179
	v_sub_nc_u32_e32 v179, 29, v179
	s_delay_alu instid0(VALU_DEP_2) | instskip(SKIP_1) | instid1(VALU_DEP_2)
	v_lshlrev_b32_e32 v180, v180, v177
	v_bfe_u32 v177, v177, 3, 4
	v_and_b32_e32 v180, 7, v180
	s_delay_alu instid0(VALU_DEP_2) | instskip(NEXT) | instid1(VALU_DEP_2)
	v_cmp_eq_u32_e32 vcc_lo, 0, v177
	v_dual_cndmask_b32 v177, v177, v179 :: v_dual_cndmask_b32 v178, v178, v180
	v_and_b32_e32 v179, 0x80000000, v181
	s_delay_alu instid0(VALU_DEP_2) | instskip(NEXT) | instid1(VALU_DEP_3)
	v_lshl_add_u32 v177, v177, 23, 0x3b800000
	v_lshlrev_b32_e32 v178, 20, v178
	s_delay_alu instid0(VALU_DEP_1)
	v_or3_b32 v177, v179, v177, v178
.LBB4_4072:                             ;   in Loop: Header=BB4_3574 Depth=3
	s_or_b32 exec_lo, exec_lo, s13
	s_mov_b32 s13, 0
	s_mov_b32 s31, exec_lo
                                        ; implicit-def: $sgpr17
	v_cmpx_lt_i16_e64 0x7f, v167
	s_xor_b32 s31, exec_lo, s31
	s_cbranch_execnz .LBB4_4776
; %bb.4073:                             ;   in Loop: Header=BB4_3574 Depth=3
	s_or_saveexec_b32 s31, s31
	v_mov_b32_e32 v178, s17
	s_xor_b32 exec_lo, exec_lo, s31
	s_cbranch_execnz .LBB4_4779
.LBB4_4074:                             ;   in Loop: Header=BB4_3574 Depth=3
	s_or_b32 exec_lo, exec_lo, s31
	s_and_saveexec_b32 s17, s13
	s_cbranch_execz .LBB4_4076
.LBB4_4075:                             ;   in Loop: Header=BB4_3574 Depth=3
	v_and_b32_e32 v178, 0xffff, v167
	v_lshlrev_b32_e32 v182, 16, v8
	s_delay_alu instid0(VALU_DEP_2) | instskip(NEXT) | instid1(VALU_DEP_1)
	v_and_b32_e32 v179, 7, v178
	v_clz_i32_u32_e32 v180, v179
	s_delay_alu instid0(VALU_DEP_1) | instskip(NEXT) | instid1(VALU_DEP_1)
	v_min_u32_e32 v180, 32, v180
	v_subrev_nc_u32_e32 v181, 28, v180
	v_sub_nc_u32_e32 v180, 29, v180
	s_delay_alu instid0(VALU_DEP_2) | instskip(SKIP_1) | instid1(VALU_DEP_2)
	v_lshlrev_b32_e32 v181, v181, v178
	v_bfe_u32 v178, v178, 3, 4
	v_and_b32_e32 v181, 7, v181
	s_delay_alu instid0(VALU_DEP_2) | instskip(NEXT) | instid1(VALU_DEP_2)
	v_cmp_eq_u32_e32 vcc_lo, 0, v178
	v_dual_cndmask_b32 v178, v178, v180 :: v_dual_cndmask_b32 v179, v179, v181
	v_and_b32_e32 v180, 0x80000000, v182
	s_delay_alu instid0(VALU_DEP_2) | instskip(NEXT) | instid1(VALU_DEP_3)
	v_lshl_add_u32 v178, v178, 23, 0x3b800000
	v_lshlrev_b32_e32 v179, 20, v179
	s_delay_alu instid0(VALU_DEP_1)
	v_or3_b32 v178, v180, v178, v179
.LBB4_4076:                             ;   in Loop: Header=BB4_3574 Depth=3
	s_or_b32 exec_lo, exec_lo, s17
	s_delay_alu instid0(VALU_DEP_1) | instskip(SKIP_1) | instid1(VALU_DEP_1)
	v_dual_max_f32 v178, v178, v178 :: v_dual_max_f32 v177, v177, v177
	s_mov_b32 s13, 0
	v_max_f32_e32 v177, v177, v178
	s_branch .LBB4_4078
.LBB4_4077:                             ;   in Loop: Header=BB4_3574 Depth=3
	s_mov_b32 s13, -1
                                        ; implicit-def: $vgpr177
.LBB4_4078:                             ;   in Loop: Header=BB4_3574 Depth=3
	s_delay_alu instid0(SALU_CYCLE_1)
	s_and_b32 vcc_lo, exec_lo, s13
	s_cbranch_vccz .LBB4_4088
; %bb.4079:                             ;   in Loop: Header=BB4_3574 Depth=3
	s_mov_b32 s13, 0
	s_mov_b32 s31, exec_lo
                                        ; implicit-def: $sgpr17
	v_cmpx_lt_i16_e64 0x7f, v176
	s_xor_b32 s31, exec_lo, s31
	s_cbranch_execnz .LBB4_4780
; %bb.4080:                             ;   in Loop: Header=BB4_3574 Depth=3
	s_or_saveexec_b32 s31, s31
	v_mov_b32_e32 v177, s17
	s_xor_b32 exec_lo, exec_lo, s31
	s_cbranch_execnz .LBB4_4783
.LBB4_4081:                             ;   in Loop: Header=BB4_3574 Depth=3
	s_or_b32 exec_lo, exec_lo, s31
	s_and_saveexec_b32 s17, s13
	s_cbranch_execz .LBB4_4083
.LBB4_4082:                             ;   in Loop: Header=BB4_3574 Depth=3
	v_and_b32_e32 v176, 0xffff, v176
	v_lshlrev_b32_e32 v180, 16, v12
	s_delay_alu instid0(VALU_DEP_2) | instskip(NEXT) | instid1(VALU_DEP_1)
	v_and_b32_e32 v177, 7, v176
	v_clz_i32_u32_e32 v178, v177
	s_delay_alu instid0(VALU_DEP_1) | instskip(NEXT) | instid1(VALU_DEP_1)
	v_min_u32_e32 v178, 32, v178
	v_subrev_nc_u32_e32 v179, 28, v178
	v_sub_nc_u32_e32 v178, 29, v178
	s_delay_alu instid0(VALU_DEP_2) | instskip(SKIP_1) | instid1(VALU_DEP_2)
	v_lshlrev_b32_e32 v179, v179, v176
	v_bfe_u32 v176, v176, 3, 4
	v_and_b32_e32 v179, 7, v179
	s_delay_alu instid0(VALU_DEP_2) | instskip(NEXT) | instid1(VALU_DEP_2)
	v_cmp_eq_u32_e32 vcc_lo, 0, v176
	v_dual_cndmask_b32 v176, v176, v178 :: v_dual_cndmask_b32 v177, v177, v179
	v_and_b32_e32 v178, 0x80000000, v180
	s_delay_alu instid0(VALU_DEP_2) | instskip(NEXT) | instid1(VALU_DEP_3)
	v_lshl_add_u32 v176, v176, 23, 0x3b800000
	v_lshlrev_b32_e32 v177, 20, v177
	s_delay_alu instid0(VALU_DEP_1)
	v_or3_b32 v177, v178, v176, v177
.LBB4_4083:                             ;   in Loop: Header=BB4_3574 Depth=3
	s_or_b32 exec_lo, exec_lo, s17
	s_mov_b32 s13, 0
	s_mov_b32 s31, exec_lo
                                        ; implicit-def: $sgpr17
	v_cmpx_lt_i16_e64 0x7f, v167
	s_xor_b32 s31, exec_lo, s31
	s_cbranch_execnz .LBB4_4784
; %bb.4084:                             ;   in Loop: Header=BB4_3574 Depth=3
	s_or_saveexec_b32 s31, s31
	v_mov_b32_e32 v176, s17
	s_xor_b32 exec_lo, exec_lo, s31
	s_cbranch_execnz .LBB4_4787
.LBB4_4085:                             ;   in Loop: Header=BB4_3574 Depth=3
	s_or_b32 exec_lo, exec_lo, s31
	s_and_saveexec_b32 s17, s13
	s_cbranch_execz .LBB4_4087
.LBB4_4086:                             ;   in Loop: Header=BB4_3574 Depth=3
	v_and_b32_e32 v167, 0xffff, v167
	v_lshlrev_b32_e32 v180, 16, v8
	s_delay_alu instid0(VALU_DEP_2) | instskip(NEXT) | instid1(VALU_DEP_1)
	v_and_b32_e32 v176, 7, v167
	v_clz_i32_u32_e32 v178, v176
	s_delay_alu instid0(VALU_DEP_1) | instskip(NEXT) | instid1(VALU_DEP_1)
	v_min_u32_e32 v178, 32, v178
	v_subrev_nc_u32_e32 v179, 28, v178
	v_sub_nc_u32_e32 v178, 29, v178
	s_delay_alu instid0(VALU_DEP_2) | instskip(SKIP_1) | instid1(VALU_DEP_2)
	v_lshlrev_b32_e32 v179, v179, v167
	v_bfe_u32 v167, v167, 3, 4
	v_and_b32_e32 v179, 7, v179
	s_delay_alu instid0(VALU_DEP_2) | instskip(NEXT) | instid1(VALU_DEP_2)
	v_cmp_eq_u32_e32 vcc_lo, 0, v167
	v_dual_cndmask_b32 v167, v167, v178 :: v_dual_cndmask_b32 v176, v176, v179
	v_and_b32_e32 v178, 0x80000000, v180
	s_delay_alu instid0(VALU_DEP_2) | instskip(NEXT) | instid1(VALU_DEP_3)
	v_lshl_add_u32 v167, v167, 23, 0x3b800000
	v_lshlrev_b32_e32 v176, 20, v176
	s_delay_alu instid0(VALU_DEP_1)
	v_or3_b32 v176, v178, v167, v176
.LBB4_4087:                             ;   in Loop: Header=BB4_3574 Depth=3
	s_or_b32 exec_lo, exec_lo, s17
	s_delay_alu instid0(VALU_DEP_1) | instskip(NEXT) | instid1(VALU_DEP_1)
	v_dual_max_f32 v167, v176, v176 :: v_dual_max_f32 v176, v177, v177
	v_min_f32_e32 v177, v176, v167
.LBB4_4088:                             ;   in Loop: Header=BB4_3574 Depth=3
	s_delay_alu instid0(VALU_DEP_1) | instskip(NEXT) | instid1(VALU_DEP_1)
	v_and_b32_e32 v167, 0x7f800000, v177
	v_cmp_ne_u32_e32 vcc_lo, 0x7f800000, v167
	v_mov_b32_e32 v167, 0x80
	s_and_saveexec_b32 s17, vcc_lo
	s_cbranch_execz .LBB4_4096
; %bb.4089:                             ;   in Loop: Header=BB4_3574 Depth=3
	v_mov_b32_e32 v167, 0
	s_mov_b32 s31, exec_lo
	v_cmpx_ne_u32_e32 0, v177
	s_cbranch_execz .LBB4_4095
; %bb.4090:                             ;   in Loop: Header=BB4_3574 Depth=3
	v_bfe_u32 v167, v177, 23, 8
	v_and_b32_e32 v176, 0x7fffff, v177
	s_delay_alu instid0(VALU_DEP_2) | instskip(SKIP_1) | instid1(VALU_DEP_3)
	v_sub_nc_u32_e32 v178, 0x78, v167
	v_cmp_gt_u32_e32 vcc_lo, 0x79, v167
	v_or_b32_e32 v179, 0x800000, v176
	s_delay_alu instid0(VALU_DEP_3) | instskip(SKIP_2) | instid1(VALU_DEP_3)
	v_cndmask_b32_e32 v178, 0, v178, vcc_lo
	v_cmp_eq_u32_e32 vcc_lo, 0, v167
	v_add_nc_u32_e32 v167, 0xffffff89, v167
	v_cndmask_b32_e64 v178, v178, 0x77, vcc_lo
	v_cndmask_b32_e32 v176, v179, v176, vcc_lo
	s_delay_alu instid0(VALU_DEP_3) | instskip(NEXT) | instid1(VALU_DEP_3)
	v_cndmask_b32_e64 v167, v167, 0xffffff8a, vcc_lo
	v_lshl_add_u32 v179, 0x100000, v178, -1
	s_delay_alu instid0(VALU_DEP_3) | instskip(SKIP_1) | instid1(VALU_DEP_4)
	v_lshrrev_b32_e32 v180, v178, v176
	v_lshlrev_b32_e64 v182, v178, 0x80000
	v_add_nc_u32_e32 v178, v178, v167
	s_delay_alu instid0(VALU_DEP_4) | instskip(NEXT) | instid1(VALU_DEP_4)
	v_and_b32_e32 v176, v179, v176
	v_bfe_u32 v181, v180, 20, 1
	s_delay_alu instid0(VALU_DEP_2) | instskip(NEXT) | instid1(VALU_DEP_2)
	v_cmp_eq_u32_e64 s13, v176, v182
	v_add_nc_u32_e32 v179, -1, v181
	s_delay_alu instid0(VALU_DEP_1) | instskip(SKIP_2) | instid1(VALU_DEP_2)
	v_cndmask_b32_e64 v176, 0, v179, s13
	v_lshrrev_b32_e32 v179, 23, v180
	s_mov_b32 s13, exec_lo
	v_add_nc_u32_e32 v176, v176, v180
	s_delay_alu instid0(VALU_DEP_2) | instskip(NEXT) | instid1(VALU_DEP_2)
	v_xor_b32_e32 v179, 1, v179
	v_and_b32_e32 v167, 0xfffff, v176
	s_delay_alu instid0(VALU_DEP_1) | instskip(NEXT) | instid1(VALU_DEP_3)
	v_add_nc_u32_e32 v176, v167, v180
                                        ; implicit-def: $vgpr167
	v_cmpx_ne_u32_e64 v178, v179
	s_xor_b32 s13, exec_lo, s13
; %bb.4091:                             ;   in Loop: Header=BB4_3574 Depth=3
	s_delay_alu instid0(VALU_DEP_2) | instskip(SKIP_2) | instid1(VALU_DEP_2)
	v_cmp_lt_u32_e32 vcc_lo, 0xffffff, v176
	v_sub_nc_u32_e32 v167, v178, v179
	v_cndmask_b32_e64 v178, 0, 1, vcc_lo
	v_add_co_ci_u32_e32 v167, vcc_lo, 0, v167, vcc_lo
	s_delay_alu instid0(VALU_DEP_2)
	v_lshrrev_b32_e32 v176, v178, v176
; %bb.4092:                             ;   in Loop: Header=BB4_3574 Depth=3
	s_and_not1_saveexec_b32 s13, s13
; %bb.4093:                             ;   in Loop: Header=BB4_3574 Depth=3
	s_delay_alu instid0(VALU_DEP_1)
	v_bfe_u32 v167, v176, 23, 1
; %bb.4094:                             ;   in Loop: Header=BB4_3574 Depth=3
	s_or_b32 exec_lo, exec_lo, s13
	v_lshrrev_b32_e32 v176, 20, v176
	s_delay_alu instid0(VALU_DEP_2) | instskip(SKIP_2) | instid1(VALU_DEP_2)
	v_cmp_gt_i32_e32 vcc_lo, 16, v167
	v_lshrrev_b32_e32 v177, 24, v177
	v_min_i32_e32 v178, 15, v167
	v_dual_cndmask_b32 v176, 7, v176 :: v_dual_and_b32 v177, 0x80, v177
	s_delay_alu instid0(VALU_DEP_1) | instskip(SKIP_1) | instid1(VALU_DEP_2)
	v_or_b32_e32 v167, v167, v176
	v_and_b32_e32 v179, 7, v176
	v_cmp_ne_u32_e32 vcc_lo, 0, v167
	v_lshlrev_b32_e32 v178, 3, v178
	s_delay_alu instid0(VALU_DEP_1) | instskip(NEXT) | instid1(VALU_DEP_1)
	v_or3_b32 v176, v178, v177, v179
	v_cndmask_b32_e32 v167, 0, v176, vcc_lo
.LBB4_4095:                             ;   in Loop: Header=BB4_3574 Depth=3
	s_or_b32 exec_lo, exec_lo, s31
.LBB4_4096:                             ;   in Loop: Header=BB4_3574 Depth=3
	s_delay_alu instid0(SALU_CYCLE_1) | instskip(SKIP_3) | instid1(VALU_DEP_2)
	s_or_b32 exec_lo, exec_lo, s17
	v_lshrrev_b32_e32 v177, 16, v12
	v_lshrrev_b32_e32 v176, 16, v8
	s_and_not1_b32 vcc_lo, exec_lo, s16
	v_and_b32_e32 v178, 0xff, v177
	s_delay_alu instid0(VALU_DEP_1)
	v_cmp_lt_i16_e64 s13, 0x7f, v178
	s_cbranch_vccnz .LBB4_4106
; %bb.4097:                             ;   in Loop: Header=BB4_3574 Depth=3
	s_mov_b32 s17, 0
                                        ; implicit-def: $sgpr31
	s_delay_alu instid0(VALU_DEP_1) | instskip(NEXT) | instid1(SALU_CYCLE_1)
	s_and_saveexec_b32 vcc_lo, s13
	s_xor_b32 s13, exec_lo, vcc_lo
	s_cbranch_execnz .LBB4_4788
; %bb.4098:                             ;   in Loop: Header=BB4_3574 Depth=3
	s_or_saveexec_b32 s13, s13
	v_mov_b32_e32 v179, s31
	s_xor_b32 exec_lo, exec_lo, s13
	s_cbranch_execnz .LBB4_4791
.LBB4_4099:                             ;   in Loop: Header=BB4_3574 Depth=3
	s_or_b32 exec_lo, exec_lo, s13
	s_and_saveexec_b32 s13, s17
	s_cbranch_execz .LBB4_4101
.LBB4_4100:                             ;   in Loop: Header=BB4_3574 Depth=3
	v_bfe_u32 v179, v12, 16, 3
	v_bfe_u32 v182, v12, 19, 4
	v_lshlrev_b32_e32 v183, 24, v177
	s_delay_alu instid0(VALU_DEP_3) | instskip(NEXT) | instid1(VALU_DEP_3)
	v_clz_i32_u32_e32 v180, v179
	v_cmp_eq_u32_e32 vcc_lo, 0, v182
	s_delay_alu instid0(VALU_DEP_2) | instskip(NEXT) | instid1(VALU_DEP_1)
	v_min_u32_e32 v180, 32, v180
	v_subrev_nc_u32_e32 v181, 28, v180
	v_sub_nc_u32_e32 v180, 29, v180
	s_delay_alu instid0(VALU_DEP_1) | instskip(NEXT) | instid1(VALU_DEP_1)
	v_dual_cndmask_b32 v180, v182, v180 :: v_dual_lshlrev_b32 v181, v181, v177
	v_and_b32_e32 v181, 7, v181
	s_delay_alu instid0(VALU_DEP_2) | instskip(NEXT) | instid1(VALU_DEP_2)
	v_lshl_add_u32 v180, v180, 23, 0x3b800000
	v_cndmask_b32_e32 v179, v179, v181, vcc_lo
	v_and_b32_e32 v181, 0x80000000, v183
	s_delay_alu instid0(VALU_DEP_2) | instskip(NEXT) | instid1(VALU_DEP_1)
	v_lshlrev_b32_e32 v179, 20, v179
	v_or3_b32 v179, v181, v180, v179
.LBB4_4101:                             ;   in Loop: Header=BB4_3574 Depth=3
	s_or_b32 exec_lo, exec_lo, s13
	v_and_b32_e32 v181, 0xff, v176
	s_mov_b32 s13, 0
	s_mov_b32 s31, exec_lo
                                        ; implicit-def: $sgpr17
	s_delay_alu instid0(VALU_DEP_1)
	v_cmpx_lt_i16_e64 0x7f, v181
	s_xor_b32 s31, exec_lo, s31
	s_cbranch_execnz .LBB4_4792
; %bb.4102:                             ;   in Loop: Header=BB4_3574 Depth=3
	s_or_saveexec_b32 s31, s31
	v_mov_b32_e32 v180, s17
	s_xor_b32 exec_lo, exec_lo, s31
	s_cbranch_execnz .LBB4_4795
.LBB4_4103:                             ;   in Loop: Header=BB4_3574 Depth=3
	s_or_b32 exec_lo, exec_lo, s31
	s_and_saveexec_b32 s17, s13
	s_cbranch_execz .LBB4_4105
.LBB4_4104:                             ;   in Loop: Header=BB4_3574 Depth=3
	v_bfe_u32 v180, v8, 16, 3
	v_bfe_u32 v183, v8, 19, 4
	v_lshlrev_b32_e32 v40, 24, v176
	s_delay_alu instid0(VALU_DEP_3) | instskip(NEXT) | instid1(VALU_DEP_3)
	v_clz_i32_u32_e32 v181, v180
	v_cmp_eq_u32_e32 vcc_lo, 0, v183
	s_delay_alu instid0(VALU_DEP_2) | instskip(NEXT) | instid1(VALU_DEP_1)
	v_min_u32_e32 v181, 32, v181
	v_subrev_nc_u32_e32 v182, 28, v181
	v_sub_nc_u32_e32 v181, 29, v181
	s_delay_alu instid0(VALU_DEP_1) | instskip(NEXT) | instid1(VALU_DEP_1)
	v_dual_cndmask_b32 v181, v183, v181 :: v_dual_lshlrev_b32 v182, v182, v176
	v_and_b32_e32 v182, 7, v182
	s_delay_alu instid0(VALU_DEP_2) | instskip(NEXT) | instid1(VALU_DEP_2)
	v_lshl_add_u32 v181, v181, 23, 0x3b800000
	v_cndmask_b32_e32 v180, v180, v182, vcc_lo
	v_and_b32_e32 v182, 0x80000000, v40
	s_delay_alu instid0(VALU_DEP_2) | instskip(NEXT) | instid1(VALU_DEP_1)
	v_lshlrev_b32_e32 v180, 20, v180
	v_or3_b32 v180, v182, v181, v180
.LBB4_4105:                             ;   in Loop: Header=BB4_3574 Depth=3
	s_or_b32 exec_lo, exec_lo, s17
	s_delay_alu instid0(VALU_DEP_1) | instskip(SKIP_1) | instid1(VALU_DEP_1)
	v_dual_max_f32 v180, v180, v180 :: v_dual_max_f32 v179, v179, v179
	s_mov_b32 s13, 0
	v_max_f32_e32 v179, v179, v180
	s_branch .LBB4_4107
.LBB4_4106:                             ;   in Loop: Header=BB4_3574 Depth=3
	s_mov_b32 s13, -1
                                        ; implicit-def: $vgpr179
.LBB4_4107:                             ;   in Loop: Header=BB4_3574 Depth=3
	s_delay_alu instid0(SALU_CYCLE_1)
	s_and_b32 vcc_lo, exec_lo, s13
	s_cbranch_vccz .LBB4_4117
; %bb.4108:                             ;   in Loop: Header=BB4_3574 Depth=3
	s_mov_b32 s13, 0
	s_mov_b32 s31, exec_lo
                                        ; implicit-def: $sgpr17
	v_cmpx_lt_i16_e64 0x7f, v178
	s_xor_b32 s31, exec_lo, s31
	s_cbranch_execnz .LBB4_4796
; %bb.4109:                             ;   in Loop: Header=BB4_3574 Depth=3
	s_or_saveexec_b32 s31, s31
	v_mov_b32_e32 v179, s17
	s_xor_b32 exec_lo, exec_lo, s31
	s_cbranch_execnz .LBB4_4799
.LBB4_4110:                             ;   in Loop: Header=BB4_3574 Depth=3
	s_or_b32 exec_lo, exec_lo, s31
	s_and_saveexec_b32 s17, s13
	s_cbranch_execz .LBB4_4112
.LBB4_4111:                             ;   in Loop: Header=BB4_3574 Depth=3
	v_bfe_u32 v178, v12, 16, 3
	v_bfe_u32 v181, v12, 19, 4
	s_delay_alu instid0(VALU_DEP_2) | instskip(NEXT) | instid1(VALU_DEP_2)
	v_clz_i32_u32_e32 v179, v178
	v_cmp_eq_u32_e32 vcc_lo, 0, v181
	s_delay_alu instid0(VALU_DEP_2) | instskip(NEXT) | instid1(VALU_DEP_1)
	v_min_u32_e32 v179, 32, v179
	v_subrev_nc_u32_e32 v180, 28, v179
	v_sub_nc_u32_e32 v179, 29, v179
	s_delay_alu instid0(VALU_DEP_1) | instskip(NEXT) | instid1(VALU_DEP_1)
	v_dual_cndmask_b32 v179, v181, v179 :: v_dual_lshlrev_b32 v180, v180, v177
	v_and_b32_e32 v180, 7, v180
	v_lshlrev_b32_e32 v177, 24, v177
	s_delay_alu instid0(VALU_DEP_3) | instskip(NEXT) | instid1(VALU_DEP_2)
	v_lshl_add_u32 v179, v179, 23, 0x3b800000
	v_dual_cndmask_b32 v178, v178, v180 :: v_dual_and_b32 v177, 0x80000000, v177
	s_delay_alu instid0(VALU_DEP_1) | instskip(NEXT) | instid1(VALU_DEP_1)
	v_lshlrev_b32_e32 v178, 20, v178
	v_or3_b32 v179, v177, v179, v178
.LBB4_4112:                             ;   in Loop: Header=BB4_3574 Depth=3
	s_or_b32 exec_lo, exec_lo, s17
	v_and_b32_e32 v178, 0xff, v176
	s_mov_b32 s13, 0
	s_mov_b32 s31, exec_lo
                                        ; implicit-def: $sgpr17
	s_delay_alu instid0(VALU_DEP_1)
	v_cmpx_lt_i16_e64 0x7f, v178
	s_xor_b32 s31, exec_lo, s31
	s_cbranch_execnz .LBB4_4800
; %bb.4113:                             ;   in Loop: Header=BB4_3574 Depth=3
	s_or_saveexec_b32 s31, s31
	v_mov_b32_e32 v177, s17
	s_xor_b32 exec_lo, exec_lo, s31
	s_cbranch_execnz .LBB4_4803
.LBB4_4114:                             ;   in Loop: Header=BB4_3574 Depth=3
	s_or_b32 exec_lo, exec_lo, s31
	s_and_saveexec_b32 s17, s13
	s_cbranch_execz .LBB4_4116
.LBB4_4115:                             ;   in Loop: Header=BB4_3574 Depth=3
	v_bfe_u32 v177, v8, 16, 3
	v_bfe_u32 v181, v8, 19, 4
	s_delay_alu instid0(VALU_DEP_2) | instskip(NEXT) | instid1(VALU_DEP_2)
	v_clz_i32_u32_e32 v178, v177
	v_cmp_eq_u32_e32 vcc_lo, 0, v181
	s_delay_alu instid0(VALU_DEP_2) | instskip(NEXT) | instid1(VALU_DEP_1)
	v_min_u32_e32 v178, 32, v178
	v_subrev_nc_u32_e32 v180, 28, v178
	v_sub_nc_u32_e32 v178, 29, v178
	s_delay_alu instid0(VALU_DEP_2) | instskip(SKIP_1) | instid1(VALU_DEP_2)
	v_lshlrev_b32_e32 v180, v180, v176
	v_lshlrev_b32_e32 v176, 24, v176
	v_and_b32_e32 v180, 7, v180
	s_delay_alu instid0(VALU_DEP_2) | instskip(NEXT) | instid1(VALU_DEP_2)
	v_and_b32_e32 v176, 0x80000000, v176
	v_cndmask_b32_e32 v177, v177, v180, vcc_lo
	s_delay_alu instid0(VALU_DEP_1) | instskip(NEXT) | instid1(VALU_DEP_1)
	v_dual_cndmask_b32 v178, v181, v178 :: v_dual_lshlrev_b32 v177, 20, v177
	v_lshl_add_u32 v178, v178, 23, 0x3b800000
	s_delay_alu instid0(VALU_DEP_1)
	v_or3_b32 v177, v176, v178, v177
.LBB4_4116:                             ;   in Loop: Header=BB4_3574 Depth=3
	s_or_b32 exec_lo, exec_lo, s17
	s_delay_alu instid0(VALU_DEP_1) | instskip(NEXT) | instid1(VALU_DEP_1)
	v_dual_max_f32 v176, v177, v177 :: v_dual_max_f32 v177, v179, v179
	v_min_f32_e32 v179, v177, v176
.LBB4_4117:                             ;   in Loop: Header=BB4_3574 Depth=3
	s_delay_alu instid0(VALU_DEP_1) | instskip(NEXT) | instid1(VALU_DEP_1)
	v_and_b32_e32 v176, 0x7f800000, v179
	v_cmp_ne_u32_e32 vcc_lo, 0x7f800000, v176
	v_mov_b32_e32 v176, 0x80
	s_and_saveexec_b32 s17, vcc_lo
	s_cbranch_execz .LBB4_4125
; %bb.4118:                             ;   in Loop: Header=BB4_3574 Depth=3
	v_mov_b32_e32 v176, 0
	s_mov_b32 s31, exec_lo
	v_cmpx_ne_u32_e32 0, v179
	s_cbranch_execz .LBB4_4124
; %bb.4119:                             ;   in Loop: Header=BB4_3574 Depth=3
	v_bfe_u32 v176, v179, 23, 8
	s_delay_alu instid0(VALU_DEP_1) | instskip(SKIP_1) | instid1(VALU_DEP_2)
	v_sub_nc_u32_e32 v178, 0x78, v176
	v_cmp_gt_u32_e32 vcc_lo, 0x79, v176
	v_dual_cndmask_b32 v178, 0, v178 :: v_dual_and_b32 v177, 0x7fffff, v179
	s_delay_alu instid0(VALU_DEP_1) | instskip(SKIP_2) | instid1(VALU_DEP_4)
	v_or_b32_e32 v180, 0x800000, v177
	v_cmp_eq_u32_e32 vcc_lo, 0, v176
	v_add_nc_u32_e32 v176, 0xffffff89, v176
	v_cndmask_b32_e64 v178, v178, 0x77, vcc_lo
	s_delay_alu instid0(VALU_DEP_4) | instskip(NEXT) | instid1(VALU_DEP_3)
	v_cndmask_b32_e32 v177, v180, v177, vcc_lo
	v_cndmask_b32_e64 v176, v176, 0xffffff8a, vcc_lo
	s_delay_alu instid0(VALU_DEP_3) | instskip(NEXT) | instid1(VALU_DEP_3)
	v_lshl_add_u32 v180, 0x100000, v178, -1
	v_lshrrev_b32_e32 v181, v178, v177
	v_lshlrev_b32_e64 v183, v178, 0x80000
	s_delay_alu instid0(VALU_DEP_4) | instskip(NEXT) | instid1(VALU_DEP_4)
	v_add_nc_u32_e32 v178, v178, v176
	v_and_b32_e32 v177, v180, v177
	s_delay_alu instid0(VALU_DEP_4) | instskip(NEXT) | instid1(VALU_DEP_2)
	v_bfe_u32 v182, v181, 20, 1
	v_cmp_eq_u32_e64 s13, v177, v183
	s_delay_alu instid0(VALU_DEP_2) | instskip(NEXT) | instid1(VALU_DEP_1)
	v_add_nc_u32_e32 v180, -1, v182
	v_cndmask_b32_e64 v177, 0, v180, s13
	v_lshrrev_b32_e32 v180, 23, v181
	s_mov_b32 s13, exec_lo
	s_delay_alu instid0(VALU_DEP_2) | instskip(NEXT) | instid1(VALU_DEP_2)
	v_add_nc_u32_e32 v177, v177, v181
	v_xor_b32_e32 v180, 1, v180
	s_delay_alu instid0(VALU_DEP_2) | instskip(NEXT) | instid1(VALU_DEP_1)
	v_and_b32_e32 v176, 0xfffff, v177
	v_add_nc_u32_e32 v177, v176, v181
                                        ; implicit-def: $vgpr176
	s_delay_alu instid0(VALU_DEP_3)
	v_cmpx_ne_u32_e64 v178, v180
	s_xor_b32 s13, exec_lo, s13
; %bb.4120:                             ;   in Loop: Header=BB4_3574 Depth=3
	s_delay_alu instid0(VALU_DEP_2) | instskip(SKIP_2) | instid1(VALU_DEP_2)
	v_cmp_lt_u32_e32 vcc_lo, 0xffffff, v177
	v_sub_nc_u32_e32 v176, v178, v180
	v_cndmask_b32_e64 v178, 0, 1, vcc_lo
	v_add_co_ci_u32_e32 v176, vcc_lo, 0, v176, vcc_lo
	s_delay_alu instid0(VALU_DEP_2)
	v_lshrrev_b32_e32 v177, v178, v177
; %bb.4121:                             ;   in Loop: Header=BB4_3574 Depth=3
	s_and_not1_saveexec_b32 s13, s13
; %bb.4122:                             ;   in Loop: Header=BB4_3574 Depth=3
	s_delay_alu instid0(VALU_DEP_1)
	v_bfe_u32 v176, v177, 23, 1
; %bb.4123:                             ;   in Loop: Header=BB4_3574 Depth=3
	s_or_b32 exec_lo, exec_lo, s13
	v_lshrrev_b32_e32 v177, 20, v177
	s_delay_alu instid0(VALU_DEP_2) | instskip(SKIP_2) | instid1(VALU_DEP_2)
	v_cmp_gt_i32_e32 vcc_lo, 16, v176
	v_lshrrev_b32_e32 v178, 24, v179
	v_min_i32_e32 v179, 15, v176
	v_dual_cndmask_b32 v177, 7, v177 :: v_dual_and_b32 v178, 0x80, v178
	s_delay_alu instid0(VALU_DEP_1) | instskip(SKIP_1) | instid1(VALU_DEP_2)
	v_or_b32_e32 v176, v176, v177
	v_and_b32_e32 v180, 7, v177
	v_cmp_ne_u32_e32 vcc_lo, 0, v176
	v_lshlrev_b32_e32 v179, 3, v179
	s_delay_alu instid0(VALU_DEP_1) | instskip(NEXT) | instid1(VALU_DEP_1)
	v_or3_b32 v177, v179, v178, v180
	v_cndmask_b32_e32 v176, 0, v177, vcc_lo
.LBB4_4124:                             ;   in Loop: Header=BB4_3574 Depth=3
	s_or_b32 exec_lo, exec_lo, s31
.LBB4_4125:                             ;   in Loop: Header=BB4_3574 Depth=3
	s_delay_alu instid0(SALU_CYCLE_1) | instskip(SKIP_3) | instid1(VALU_DEP_2)
	s_or_b32 exec_lo, exec_lo, s17
	v_lshrrev_b32_e32 v178, 24, v12
	v_lshrrev_b32_e32 v177, 24, v8
	s_and_not1_b32 vcc_lo, exec_lo, s16
	v_cmp_lt_i16_e64 s13, 0x7f, v178
	s_cbranch_vccnz .LBB4_4135
; %bb.4126:                             ;   in Loop: Header=BB4_3574 Depth=3
	s_mov_b32 s17, 0
                                        ; implicit-def: $sgpr31
	s_delay_alu instid0(VALU_DEP_1) | instskip(NEXT) | instid1(SALU_CYCLE_1)
	s_and_saveexec_b32 vcc_lo, s13
	s_xor_b32 s13, exec_lo, vcc_lo
	s_cbranch_execnz .LBB4_4804
; %bb.4127:                             ;   in Loop: Header=BB4_3574 Depth=3
	s_or_saveexec_b32 s13, s13
	v_mov_b32_e32 v179, s31
	s_xor_b32 exec_lo, exec_lo, s13
	s_cbranch_execnz .LBB4_4807
.LBB4_4128:                             ;   in Loop: Header=BB4_3574 Depth=3
	s_or_b32 exec_lo, exec_lo, s13
	s_and_saveexec_b32 s13, s17
	s_cbranch_execz .LBB4_4130
.LBB4_4129:                             ;   in Loop: Header=BB4_3574 Depth=3
	v_bfe_u32 v179, v12, 24, 3
	v_bfe_u32 v182, v12, 27, 4
	s_delay_alu instid0(VALU_DEP_2) | instskip(NEXT) | instid1(VALU_DEP_2)
	v_clz_i32_u32_e32 v180, v179
	v_cmp_eq_u32_e32 vcc_lo, 0, v182
	s_delay_alu instid0(VALU_DEP_2) | instskip(NEXT) | instid1(VALU_DEP_1)
	v_min_u32_e32 v180, 32, v180
	v_subrev_nc_u32_e32 v181, 28, v180
	v_sub_nc_u32_e32 v180, 29, v180
	s_delay_alu instid0(VALU_DEP_1) | instskip(NEXT) | instid1(VALU_DEP_1)
	v_dual_cndmask_b32 v180, v182, v180 :: v_dual_lshlrev_b32 v181, v181, v178
	v_and_b32_e32 v181, 7, v181
	s_delay_alu instid0(VALU_DEP_2) | instskip(NEXT) | instid1(VALU_DEP_2)
	v_lshl_add_u32 v180, v180, 23, 0x3b800000
	v_cndmask_b32_e32 v179, v179, v181, vcc_lo
	v_and_b32_e32 v181, 0x80000000, v12
	s_delay_alu instid0(VALU_DEP_2) | instskip(NEXT) | instid1(VALU_DEP_1)
	v_lshlrev_b32_e32 v179, 20, v179
	v_or3_b32 v179, v181, v180, v179
.LBB4_4130:                             ;   in Loop: Header=BB4_3574 Depth=3
	s_or_b32 exec_lo, exec_lo, s13
	s_mov_b32 s13, 0
	s_mov_b32 s31, exec_lo
                                        ; implicit-def: $sgpr17
	v_cmpx_lt_i16_e64 0x7f, v177
	s_xor_b32 s31, exec_lo, s31
	s_cbranch_execnz .LBB4_4808
; %bb.4131:                             ;   in Loop: Header=BB4_3574 Depth=3
	s_or_saveexec_b32 s31, s31
	v_mov_b32_e32 v180, s17
	s_xor_b32 exec_lo, exec_lo, s31
	s_cbranch_execnz .LBB4_4811
.LBB4_4132:                             ;   in Loop: Header=BB4_3574 Depth=3
	s_or_b32 exec_lo, exec_lo, s31
	s_and_saveexec_b32 s17, s13
	s_cbranch_execz .LBB4_4134
.LBB4_4133:                             ;   in Loop: Header=BB4_3574 Depth=3
	v_bfe_u32 v180, v8, 24, 3
	v_bfe_u32 v183, v8, 27, 4
	s_delay_alu instid0(VALU_DEP_2) | instskip(NEXT) | instid1(VALU_DEP_2)
	v_clz_i32_u32_e32 v181, v180
	v_cmp_eq_u32_e32 vcc_lo, 0, v183
	s_delay_alu instid0(VALU_DEP_2) | instskip(NEXT) | instid1(VALU_DEP_1)
	v_min_u32_e32 v181, 32, v181
	v_subrev_nc_u32_e32 v182, 28, v181
	v_sub_nc_u32_e32 v181, 29, v181
	s_delay_alu instid0(VALU_DEP_2) | instskip(NEXT) | instid1(VALU_DEP_1)
	v_lshlrev_b32_e32 v182, v182, v177
	v_dual_cndmask_b32 v181, v183, v181 :: v_dual_and_b32 v182, 7, v182
	s_delay_alu instid0(VALU_DEP_1) | instskip(NEXT) | instid1(VALU_DEP_2)
	v_lshl_add_u32 v181, v181, 23, 0x3b800000
	v_cndmask_b32_e32 v180, v180, v182, vcc_lo
	v_and_b32_e32 v182, 0x80000000, v8
	s_delay_alu instid0(VALU_DEP_2) | instskip(NEXT) | instid1(VALU_DEP_1)
	v_lshlrev_b32_e32 v180, 20, v180
	v_or3_b32 v180, v182, v181, v180
.LBB4_4134:                             ;   in Loop: Header=BB4_3574 Depth=3
	s_or_b32 exec_lo, exec_lo, s17
	s_delay_alu instid0(VALU_DEP_1) | instskip(SKIP_1) | instid1(VALU_DEP_1)
	v_dual_max_f32 v180, v180, v180 :: v_dual_max_f32 v179, v179, v179
	s_mov_b32 s13, 0
	v_max_f32_e32 v179, v179, v180
	s_branch .LBB4_4136
.LBB4_4135:                             ;   in Loop: Header=BB4_3574 Depth=3
	s_mov_b32 s13, -1
                                        ; implicit-def: $vgpr179
.LBB4_4136:                             ;   in Loop: Header=BB4_3574 Depth=3
	s_delay_alu instid0(SALU_CYCLE_1)
	s_and_b32 vcc_lo, exec_lo, s13
	s_cbranch_vccz .LBB4_4146
; %bb.4137:                             ;   in Loop: Header=BB4_3574 Depth=3
	s_mov_b32 s13, 0
	s_mov_b32 s31, exec_lo
                                        ; implicit-def: $sgpr17
	v_cmpx_lt_i16_e64 0x7f, v178
	s_xor_b32 s31, exec_lo, s31
	s_cbranch_execnz .LBB4_4812
; %bb.4138:                             ;   in Loop: Header=BB4_3574 Depth=3
	s_or_saveexec_b32 s31, s31
	v_mov_b32_e32 v179, s17
	s_xor_b32 exec_lo, exec_lo, s31
	s_cbranch_execnz .LBB4_4815
.LBB4_4139:                             ;   in Loop: Header=BB4_3574 Depth=3
	s_or_b32 exec_lo, exec_lo, s31
	s_and_saveexec_b32 s17, s13
	s_cbranch_execz .LBB4_4141
.LBB4_4140:                             ;   in Loop: Header=BB4_3574 Depth=3
	v_bfe_u32 v179, v12, 24, 3
	s_delay_alu instid0(VALU_DEP_1) | instskip(NEXT) | instid1(VALU_DEP_1)
	v_clz_i32_u32_e32 v180, v179
	v_min_u32_e32 v180, 32, v180
	s_delay_alu instid0(VALU_DEP_1) | instskip(SKIP_1) | instid1(VALU_DEP_2)
	v_subrev_nc_u32_e32 v181, 28, v180
	v_sub_nc_u32_e32 v180, 29, v180
	v_lshlrev_b32_e32 v178, v181, v178
	v_bfe_u32 v181, v12, 27, 4
	v_and_b32_e32 v12, 0x80000000, v12
	s_delay_alu instid0(VALU_DEP_3) | instskip(NEXT) | instid1(VALU_DEP_3)
	v_and_b32_e32 v178, 7, v178
	v_cmp_eq_u32_e32 vcc_lo, 0, v181
	v_cndmask_b32_e32 v180, v181, v180, vcc_lo
	s_delay_alu instid0(VALU_DEP_3) | instskip(NEXT) | instid1(VALU_DEP_2)
	v_cndmask_b32_e32 v178, v179, v178, vcc_lo
	v_lshl_add_u32 v179, v180, 23, 0x3b800000
	s_delay_alu instid0(VALU_DEP_2) | instskip(NEXT) | instid1(VALU_DEP_1)
	v_lshlrev_b32_e32 v178, 20, v178
	v_or3_b32 v179, v12, v179, v178
.LBB4_4141:                             ;   in Loop: Header=BB4_3574 Depth=3
	s_or_b32 exec_lo, exec_lo, s17
	s_mov_b32 s13, 0
	s_mov_b32 s31, exec_lo
                                        ; implicit-def: $sgpr17
	v_cmpx_lt_i16_e64 0x7f, v177
	s_xor_b32 s31, exec_lo, s31
	s_cbranch_execnz .LBB4_4816
; %bb.4142:                             ;   in Loop: Header=BB4_3574 Depth=3
	s_or_saveexec_b32 s31, s31
	v_mov_b32_e32 v12, s17
	s_xor_b32 exec_lo, exec_lo, s31
	s_cbranch_execnz .LBB4_4819
.LBB4_4143:                             ;   in Loop: Header=BB4_3574 Depth=3
	s_or_b32 exec_lo, exec_lo, s31
	s_and_saveexec_b32 s17, s13
	s_cbranch_execz .LBB4_4145
.LBB4_4144:                             ;   in Loop: Header=BB4_3574 Depth=3
	v_bfe_u32 v12, v8, 24, 3
	s_delay_alu instid0(VALU_DEP_1) | instskip(NEXT) | instid1(VALU_DEP_1)
	v_clz_i32_u32_e32 v178, v12
	v_min_u32_e32 v178, 32, v178
	s_delay_alu instid0(VALU_DEP_1) | instskip(SKIP_1) | instid1(VALU_DEP_2)
	v_subrev_nc_u32_e32 v180, 28, v178
	v_sub_nc_u32_e32 v178, 29, v178
	v_lshlrev_b32_e32 v177, v180, v177
	v_bfe_u32 v180, v8, 27, 4
	v_and_b32_e32 v8, 0x80000000, v8
	s_delay_alu instid0(VALU_DEP_2) | instskip(NEXT) | instid1(VALU_DEP_4)
	v_cmp_eq_u32_e32 vcc_lo, 0, v180
	v_dual_cndmask_b32 v178, v180, v178 :: v_dual_and_b32 v177, 7, v177
	s_delay_alu instid0(VALU_DEP_1) | instskip(NEXT) | instid1(VALU_DEP_2)
	v_cndmask_b32_e32 v12, v12, v177, vcc_lo
	v_lshl_add_u32 v177, v178, 23, 0x3b800000
	s_delay_alu instid0(VALU_DEP_2) | instskip(NEXT) | instid1(VALU_DEP_1)
	v_lshlrev_b32_e32 v12, 20, v12
	v_or3_b32 v12, v8, v177, v12
.LBB4_4145:                             ;   in Loop: Header=BB4_3574 Depth=3
	s_or_b32 exec_lo, exec_lo, s17
	s_delay_alu instid0(VALU_DEP_1) | instskip(SKIP_1) | instid1(VALU_DEP_1)
	v_max_f32_e32 v8, v12, v12
	v_max_f32_e32 v12, v179, v179
	v_min_f32_e32 v179, v12, v8
.LBB4_4146:                             ;   in Loop: Header=BB4_3574 Depth=3
	s_delay_alu instid0(VALU_DEP_1) | instskip(NEXT) | instid1(VALU_DEP_1)
	v_and_b32_e32 v8, 0x7f800000, v179
	v_cmp_ne_u32_e32 vcc_lo, 0x7f800000, v8
	v_mov_b32_e32 v8, 0x80
	s_and_saveexec_b32 s17, vcc_lo
	s_cbranch_execz .LBB4_4154
; %bb.4147:                             ;   in Loop: Header=BB4_3574 Depth=3
	v_mov_b32_e32 v8, 0
	s_mov_b32 s31, exec_lo
	v_cmpx_ne_u32_e32 0, v179
	s_cbranch_execz .LBB4_4153
; %bb.4148:                             ;   in Loop: Header=BB4_3574 Depth=3
	v_bfe_u32 v8, v179, 23, 8
	s_delay_alu instid0(VALU_DEP_1) | instskip(SKIP_1) | instid1(VALU_DEP_2)
	v_sub_nc_u32_e32 v177, 0x78, v8
	v_cmp_gt_u32_e32 vcc_lo, 0x79, v8
	v_dual_cndmask_b32 v177, 0, v177 :: v_dual_and_b32 v12, 0x7fffff, v179
	s_delay_alu instid0(VALU_DEP_1) | instskip(SKIP_2) | instid1(VALU_DEP_4)
	v_or_b32_e32 v178, 0x800000, v12
	v_cmp_eq_u32_e32 vcc_lo, 0, v8
	v_add_nc_u32_e32 v8, 0xffffff89, v8
	v_cndmask_b32_e64 v177, v177, 0x77, vcc_lo
	s_delay_alu instid0(VALU_DEP_4) | instskip(NEXT) | instid1(VALU_DEP_3)
	v_cndmask_b32_e32 v12, v178, v12, vcc_lo
	v_cndmask_b32_e64 v8, v8, 0xffffff8a, vcc_lo
	s_delay_alu instid0(VALU_DEP_3) | instskip(NEXT) | instid1(VALU_DEP_3)
	v_lshl_add_u32 v178, 0x100000, v177, -1
	v_lshrrev_b32_e32 v180, v177, v12
	v_lshlrev_b32_e64 v182, v177, 0x80000
	s_delay_alu instid0(VALU_DEP_4) | instskip(NEXT) | instid1(VALU_DEP_4)
	v_add_nc_u32_e32 v177, v177, v8
	v_and_b32_e32 v12, v178, v12
	s_delay_alu instid0(VALU_DEP_4) | instskip(NEXT) | instid1(VALU_DEP_2)
	v_bfe_u32 v181, v180, 20, 1
	v_cmp_eq_u32_e64 s13, v12, v182
	s_delay_alu instid0(VALU_DEP_2) | instskip(NEXT) | instid1(VALU_DEP_1)
	v_add_nc_u32_e32 v178, -1, v181
	v_cndmask_b32_e64 v12, 0, v178, s13
	v_lshrrev_b32_e32 v178, 23, v180
	s_mov_b32 s13, exec_lo
	s_delay_alu instid0(VALU_DEP_2) | instskip(NEXT) | instid1(VALU_DEP_2)
	v_add_nc_u32_e32 v12, v12, v180
	v_xor_b32_e32 v178, 1, v178
	s_delay_alu instid0(VALU_DEP_2) | instskip(NEXT) | instid1(VALU_DEP_1)
	v_and_b32_e32 v8, 0xfffff, v12
	v_add_nc_u32_e32 v12, v8, v180
                                        ; implicit-def: $vgpr8
	s_delay_alu instid0(VALU_DEP_3)
	v_cmpx_ne_u32_e64 v177, v178
	s_xor_b32 s13, exec_lo, s13
; %bb.4149:                             ;   in Loop: Header=BB4_3574 Depth=3
	s_delay_alu instid0(VALU_DEP_2) | instskip(SKIP_2) | instid1(VALU_DEP_2)
	v_cmp_lt_u32_e32 vcc_lo, 0xffffff, v12
	v_sub_nc_u32_e32 v8, v177, v178
	v_cndmask_b32_e64 v177, 0, 1, vcc_lo
	v_add_co_ci_u32_e32 v8, vcc_lo, 0, v8, vcc_lo
	s_delay_alu instid0(VALU_DEP_2)
	v_lshrrev_b32_e32 v12, v177, v12
; %bb.4150:                             ;   in Loop: Header=BB4_3574 Depth=3
	s_and_not1_saveexec_b32 s13, s13
; %bb.4151:                             ;   in Loop: Header=BB4_3574 Depth=3
	s_delay_alu instid0(VALU_DEP_1)
	v_bfe_u32 v8, v12, 23, 1
; %bb.4152:                             ;   in Loop: Header=BB4_3574 Depth=3
	s_or_b32 exec_lo, exec_lo, s13
	v_lshrrev_b32_e32 v12, 20, v12
	s_delay_alu instid0(VALU_DEP_2) | instskip(SKIP_2) | instid1(VALU_DEP_2)
	v_cmp_gt_i32_e32 vcc_lo, 16, v8
	v_lshrrev_b32_e32 v177, 24, v179
	v_min_i32_e32 v178, 15, v8
	v_dual_cndmask_b32 v12, 7, v12 :: v_dual_and_b32 v177, 0x80, v177
	s_delay_alu instid0(VALU_DEP_2) | instskip(NEXT) | instid1(VALU_DEP_2)
	v_lshlrev_b32_e32 v178, 3, v178
	v_and_b32_e32 v179, 7, v12
	v_or_b32_e32 v8, v8, v12
	s_delay_alu instid0(VALU_DEP_2) | instskip(NEXT) | instid1(VALU_DEP_2)
	v_or3_b32 v12, v178, v177, v179
	v_cmp_ne_u32_e32 vcc_lo, 0, v8
	s_delay_alu instid0(VALU_DEP_2)
	v_cndmask_b32_e32 v8, 0, v12, vcc_lo
.LBB4_4153:                             ;   in Loop: Header=BB4_3574 Depth=3
	s_or_b32 exec_lo, exec_lo, s31
.LBB4_4154:                             ;   in Loop: Header=BB4_3574 Depth=3
	s_delay_alu instid0(SALU_CYCLE_1) | instskip(SKIP_2) | instid1(VALU_DEP_1)
	s_or_b32 exec_lo, exec_lo, s17
	v_and_b32_e32 v12, 0xff, v13
	s_and_not1_b32 vcc_lo, exec_lo, s16
	v_cmp_lt_i16_e64 s13, 0x7f, v12
	s_cbranch_vccnz .LBB4_4164
; %bb.4155:                             ;   in Loop: Header=BB4_3574 Depth=3
	s_mov_b32 s17, 0
                                        ; implicit-def: $sgpr31
	s_delay_alu instid0(VALU_DEP_1) | instskip(NEXT) | instid1(SALU_CYCLE_1)
	s_and_saveexec_b32 vcc_lo, s13
	s_xor_b32 s13, exec_lo, vcc_lo
	s_cbranch_execnz .LBB4_4820
; %bb.4156:                             ;   in Loop: Header=BB4_3574 Depth=3
	s_or_saveexec_b32 s13, s13
	v_mov_b32_e32 v177, s31
	s_xor_b32 exec_lo, exec_lo, s13
	s_cbranch_execnz .LBB4_4823
.LBB4_4157:                             ;   in Loop: Header=BB4_3574 Depth=3
	s_or_b32 exec_lo, exec_lo, s13
	s_and_saveexec_b32 s13, s17
	s_cbranch_execz .LBB4_4159
.LBB4_4158:                             ;   in Loop: Header=BB4_3574 Depth=3
	v_bfe_u32 v180, v13, 3, 4
	v_lshlrev_b32_e32 v181, 24, v13
	s_delay_alu instid0(VALU_DEP_2) | instskip(SKIP_1) | instid1(VALU_DEP_1)
	v_cmp_eq_u32_e32 vcc_lo, 0, v180
	v_and_b32_e32 v177, 7, v13
	v_clz_i32_u32_e32 v178, v177
	s_delay_alu instid0(VALU_DEP_1) | instskip(NEXT) | instid1(VALU_DEP_1)
	v_min_u32_e32 v178, 32, v178
	v_subrev_nc_u32_e32 v179, 28, v178
	v_sub_nc_u32_e32 v178, 29, v178
	s_delay_alu instid0(VALU_DEP_1) | instskip(NEXT) | instid1(VALU_DEP_1)
	v_dual_cndmask_b32 v178, v180, v178 :: v_dual_lshlrev_b32 v179, v179, v13
	v_and_b32_e32 v179, 7, v179
	s_delay_alu instid0(VALU_DEP_2) | instskip(NEXT) | instid1(VALU_DEP_2)
	v_lshl_add_u32 v178, v178, 23, 0x3b800000
	v_cndmask_b32_e32 v177, v177, v179, vcc_lo
	v_and_b32_e32 v179, 0x80000000, v181
	s_delay_alu instid0(VALU_DEP_2) | instskip(NEXT) | instid1(VALU_DEP_1)
	v_lshlrev_b32_e32 v177, 20, v177
	v_or3_b32 v177, v179, v178, v177
.LBB4_4159:                             ;   in Loop: Header=BB4_3574 Depth=3
	s_or_b32 exec_lo, exec_lo, s13
	v_and_b32_e32 v179, 0xff, v9
	s_mov_b32 s13, 0
	s_mov_b32 s31, exec_lo
                                        ; implicit-def: $sgpr17
	s_delay_alu instid0(VALU_DEP_1)
	v_cmpx_lt_i16_e64 0x7f, v179
	s_xor_b32 s31, exec_lo, s31
	s_cbranch_execnz .LBB4_4824
; %bb.4160:                             ;   in Loop: Header=BB4_3574 Depth=3
	s_or_saveexec_b32 s31, s31
	v_mov_b32_e32 v178, s17
	s_xor_b32 exec_lo, exec_lo, s31
	s_cbranch_execnz .LBB4_4827
.LBB4_4161:                             ;   in Loop: Header=BB4_3574 Depth=3
	s_or_b32 exec_lo, exec_lo, s31
	s_and_saveexec_b32 s17, s13
	s_cbranch_execz .LBB4_4163
.LBB4_4162:                             ;   in Loop: Header=BB4_3574 Depth=3
	v_bfe_u32 v181, v9, 3, 4
	v_lshlrev_b32_e32 v182, 24, v9
	s_delay_alu instid0(VALU_DEP_2) | instskip(SKIP_1) | instid1(VALU_DEP_1)
	v_cmp_eq_u32_e32 vcc_lo, 0, v181
	v_and_b32_e32 v178, 7, v9
	v_clz_i32_u32_e32 v179, v178
	s_delay_alu instid0(VALU_DEP_1) | instskip(NEXT) | instid1(VALU_DEP_1)
	v_min_u32_e32 v179, 32, v179
	v_subrev_nc_u32_e32 v180, 28, v179
	v_sub_nc_u32_e32 v179, 29, v179
	s_delay_alu instid0(VALU_DEP_1) | instskip(NEXT) | instid1(VALU_DEP_1)
	v_dual_cndmask_b32 v179, v181, v179 :: v_dual_lshlrev_b32 v180, v180, v9
	v_and_b32_e32 v180, 7, v180
	s_delay_alu instid0(VALU_DEP_2) | instskip(NEXT) | instid1(VALU_DEP_2)
	v_lshl_add_u32 v179, v179, 23, 0x3b800000
	v_cndmask_b32_e32 v178, v178, v180, vcc_lo
	v_and_b32_e32 v180, 0x80000000, v182
	s_delay_alu instid0(VALU_DEP_2) | instskip(NEXT) | instid1(VALU_DEP_1)
	v_lshlrev_b32_e32 v178, 20, v178
	v_or3_b32 v178, v180, v179, v178
.LBB4_4163:                             ;   in Loop: Header=BB4_3574 Depth=3
	s_or_b32 exec_lo, exec_lo, s17
	s_delay_alu instid0(VALU_DEP_1) | instskip(SKIP_1) | instid1(VALU_DEP_1)
	v_dual_max_f32 v178, v178, v178 :: v_dual_max_f32 v177, v177, v177
	s_mov_b32 s13, 0
	v_max_f32_e32 v177, v177, v178
	s_branch .LBB4_4165
.LBB4_4164:                             ;   in Loop: Header=BB4_3574 Depth=3
	s_mov_b32 s13, -1
                                        ; implicit-def: $vgpr177
.LBB4_4165:                             ;   in Loop: Header=BB4_3574 Depth=3
	s_delay_alu instid0(SALU_CYCLE_1)
	s_and_b32 vcc_lo, exec_lo, s13
	s_cbranch_vccz .LBB4_4175
; %bb.4166:                             ;   in Loop: Header=BB4_3574 Depth=3
	s_mov_b32 s13, 0
	s_mov_b32 s31, exec_lo
                                        ; implicit-def: $sgpr17
	v_cmpx_lt_i16_e32 0x7f, v12
	s_xor_b32 s31, exec_lo, s31
	s_cbranch_execnz .LBB4_4828
; %bb.4167:                             ;   in Loop: Header=BB4_3574 Depth=3
	s_or_saveexec_b32 s31, s31
	v_mov_b32_e32 v177, s17
	s_xor_b32 exec_lo, exec_lo, s31
	s_cbranch_execnz .LBB4_4831
.LBB4_4168:                             ;   in Loop: Header=BB4_3574 Depth=3
	s_or_b32 exec_lo, exec_lo, s31
	s_and_saveexec_b32 s17, s13
	s_cbranch_execz .LBB4_4170
.LBB4_4169:                             ;   in Loop: Header=BB4_3574 Depth=3
	v_and_b32_e32 v12, 7, v13
	v_bfe_u32 v179, v13, 3, 4
	v_lshlrev_b32_e32 v180, 24, v13
	s_delay_alu instid0(VALU_DEP_3) | instskip(NEXT) | instid1(VALU_DEP_3)
	v_clz_i32_u32_e32 v177, v12
	v_cmp_eq_u32_e32 vcc_lo, 0, v179
	s_delay_alu instid0(VALU_DEP_2) | instskip(NEXT) | instid1(VALU_DEP_1)
	v_min_u32_e32 v177, 32, v177
	v_subrev_nc_u32_e32 v178, 28, v177
	v_sub_nc_u32_e32 v177, 29, v177
	s_delay_alu instid0(VALU_DEP_2) | instskip(NEXT) | instid1(VALU_DEP_1)
	v_lshlrev_b32_e32 v178, v178, v13
	v_dual_cndmask_b32 v177, v179, v177 :: v_dual_and_b32 v178, 7, v178
	s_delay_alu instid0(VALU_DEP_1) | instskip(NEXT) | instid1(VALU_DEP_2)
	v_lshl_add_u32 v177, v177, 23, 0x3b800000
	v_cndmask_b32_e32 v12, v12, v178, vcc_lo
	v_and_b32_e32 v178, 0x80000000, v180
	s_delay_alu instid0(VALU_DEP_2) | instskip(NEXT) | instid1(VALU_DEP_1)
	v_lshlrev_b32_e32 v12, 20, v12
	v_or3_b32 v177, v178, v177, v12
.LBB4_4170:                             ;   in Loop: Header=BB4_3574 Depth=3
	s_or_b32 exec_lo, exec_lo, s17
	v_and_b32_e32 v178, 0xff, v9
	s_mov_b32 s13, 0
	s_mov_b32 s31, exec_lo
                                        ; implicit-def: $sgpr17
	s_delay_alu instid0(VALU_DEP_1)
	v_cmpx_lt_i16_e64 0x7f, v178
	s_xor_b32 s31, exec_lo, s31
	s_cbranch_execnz .LBB4_4832
; %bb.4171:                             ;   in Loop: Header=BB4_3574 Depth=3
	s_or_saveexec_b32 s31, s31
	v_mov_b32_e32 v12, s17
	s_xor_b32 exec_lo, exec_lo, s31
	s_cbranch_execnz .LBB4_4835
.LBB4_4172:                             ;   in Loop: Header=BB4_3574 Depth=3
	s_or_b32 exec_lo, exec_lo, s31
	s_and_saveexec_b32 s17, s13
	s_cbranch_execz .LBB4_4174
.LBB4_4173:                             ;   in Loop: Header=BB4_3574 Depth=3
	v_and_b32_e32 v12, 7, v9
	v_bfe_u32 v180, v9, 3, 4
	s_delay_alu instid0(VALU_DEP_2) | instskip(NEXT) | instid1(VALU_DEP_2)
	v_clz_i32_u32_e32 v178, v12
	v_cmp_eq_u32_e32 vcc_lo, 0, v180
	s_delay_alu instid0(VALU_DEP_2) | instskip(NEXT) | instid1(VALU_DEP_1)
	v_min_u32_e32 v178, 32, v178
	v_subrev_nc_u32_e32 v179, 28, v178
	v_sub_nc_u32_e32 v178, 29, v178
	s_delay_alu instid0(VALU_DEP_1) | instskip(NEXT) | instid1(VALU_DEP_1)
	v_dual_cndmask_b32 v178, v180, v178 :: v_dual_lshlrev_b32 v179, v179, v9
	v_and_b32_e32 v179, 7, v179
	v_lshlrev_b32_e32 v181, 24, v9
	s_delay_alu instid0(VALU_DEP_3) | instskip(NEXT) | instid1(VALU_DEP_2)
	v_lshl_add_u32 v178, v178, 23, 0x3b800000
	v_dual_cndmask_b32 v12, v12, v179 :: v_dual_and_b32 v179, 0x80000000, v181
	s_delay_alu instid0(VALU_DEP_1) | instskip(NEXT) | instid1(VALU_DEP_1)
	v_lshlrev_b32_e32 v12, 20, v12
	v_or3_b32 v12, v179, v178, v12
.LBB4_4174:                             ;   in Loop: Header=BB4_3574 Depth=3
	s_or_b32 exec_lo, exec_lo, s17
	s_delay_alu instid0(VALU_DEP_1) | instskip(NEXT) | instid1(VALU_DEP_1)
	v_dual_max_f32 v12, v12, v12 :: v_dual_max_f32 v177, v177, v177
	v_min_f32_e32 v177, v177, v12
.LBB4_4175:                             ;   in Loop: Header=BB4_3574 Depth=3
	s_delay_alu instid0(VALU_DEP_1) | instskip(NEXT) | instid1(VALU_DEP_1)
	v_and_b32_e32 v12, 0x7f800000, v177
	v_cmp_ne_u32_e32 vcc_lo, 0x7f800000, v12
	v_mov_b32_e32 v12, 0x80
	s_and_saveexec_b32 s17, vcc_lo
	s_cbranch_execz .LBB4_4183
; %bb.4176:                             ;   in Loop: Header=BB4_3574 Depth=3
	v_mov_b32_e32 v12, 0
	s_mov_b32 s31, exec_lo
	v_cmpx_ne_u32_e32 0, v177
	s_cbranch_execz .LBB4_4182
; %bb.4177:                             ;   in Loop: Header=BB4_3574 Depth=3
	v_bfe_u32 v12, v177, 23, 8
	s_delay_alu instid0(VALU_DEP_1) | instskip(SKIP_1) | instid1(VALU_DEP_2)
	v_sub_nc_u32_e32 v179, 0x78, v12
	v_cmp_gt_u32_e32 vcc_lo, 0x79, v12
	v_dual_cndmask_b32 v179, 0, v179 :: v_dual_and_b32 v178, 0x7fffff, v177
	s_delay_alu instid0(VALU_DEP_1) | instskip(SKIP_2) | instid1(VALU_DEP_4)
	v_or_b32_e32 v180, 0x800000, v178
	v_cmp_eq_u32_e32 vcc_lo, 0, v12
	v_add_nc_u32_e32 v12, 0xffffff89, v12
	v_cndmask_b32_e64 v179, v179, 0x77, vcc_lo
	s_delay_alu instid0(VALU_DEP_2) | instskip(SKIP_1) | instid1(VALU_DEP_3)
	v_cndmask_b32_e64 v12, v12, 0xffffff8a, vcc_lo
	v_cndmask_b32_e32 v178, v180, v178, vcc_lo
	v_lshl_add_u32 v180, 0x100000, v179, -1
	v_lshlrev_b32_e64 v183, v179, 0x80000
	s_delay_alu instid0(VALU_DEP_3) | instskip(SKIP_1) | instid1(VALU_DEP_4)
	v_lshrrev_b32_e32 v181, v179, v178
	v_add_nc_u32_e32 v179, v179, v12
	v_and_b32_e32 v178, v180, v178
	s_delay_alu instid0(VALU_DEP_3) | instskip(NEXT) | instid1(VALU_DEP_2)
	v_bfe_u32 v182, v181, 20, 1
	v_cmp_eq_u32_e64 s13, v178, v183
	s_delay_alu instid0(VALU_DEP_2) | instskip(NEXT) | instid1(VALU_DEP_1)
	v_add_nc_u32_e32 v180, -1, v182
	v_cndmask_b32_e64 v178, 0, v180, s13
	v_lshrrev_b32_e32 v180, 23, v181
	s_mov_b32 s13, exec_lo
	s_delay_alu instid0(VALU_DEP_2) | instskip(NEXT) | instid1(VALU_DEP_2)
	v_add_nc_u32_e32 v178, v178, v181
	v_xor_b32_e32 v180, 1, v180
	s_delay_alu instid0(VALU_DEP_2) | instskip(NEXT) | instid1(VALU_DEP_1)
	v_and_b32_e32 v12, 0xfffff, v178
	v_add_nc_u32_e32 v178, v12, v181
                                        ; implicit-def: $vgpr12
	s_delay_alu instid0(VALU_DEP_3)
	v_cmpx_ne_u32_e64 v179, v180
	s_xor_b32 s13, exec_lo, s13
; %bb.4178:                             ;   in Loop: Header=BB4_3574 Depth=3
	s_delay_alu instid0(VALU_DEP_2) | instskip(SKIP_2) | instid1(VALU_DEP_2)
	v_cmp_lt_u32_e32 vcc_lo, 0xffffff, v178
	v_sub_nc_u32_e32 v12, v179, v180
	v_cndmask_b32_e64 v179, 0, 1, vcc_lo
	v_add_co_ci_u32_e32 v12, vcc_lo, 0, v12, vcc_lo
	s_delay_alu instid0(VALU_DEP_2)
	v_lshrrev_b32_e32 v178, v179, v178
; %bb.4179:                             ;   in Loop: Header=BB4_3574 Depth=3
	s_and_not1_saveexec_b32 s13, s13
; %bb.4180:                             ;   in Loop: Header=BB4_3574 Depth=3
	s_delay_alu instid0(VALU_DEP_1)
	v_bfe_u32 v12, v178, 23, 1
; %bb.4181:                             ;   in Loop: Header=BB4_3574 Depth=3
	s_or_b32 exec_lo, exec_lo, s13
	v_lshrrev_b32_e32 v178, 20, v178
	s_delay_alu instid0(VALU_DEP_2) | instskip(SKIP_2) | instid1(VALU_DEP_2)
	v_cmp_gt_i32_e32 vcc_lo, 16, v12
	v_lshrrev_b32_e32 v177, 24, v177
	v_min_i32_e32 v179, 15, v12
	v_dual_cndmask_b32 v178, 7, v178 :: v_dual_and_b32 v177, 0x80, v177
	s_delay_alu instid0(VALU_DEP_1) | instskip(SKIP_1) | instid1(VALU_DEP_2)
	v_or_b32_e32 v12, v12, v178
	v_and_b32_e32 v180, 7, v178
	v_cmp_ne_u32_e32 vcc_lo, 0, v12
	v_lshlrev_b32_e32 v179, 3, v179
	s_delay_alu instid0(VALU_DEP_1) | instskip(NEXT) | instid1(VALU_DEP_1)
	v_or3_b32 v177, v179, v177, v180
	v_cndmask_b32_e32 v12, 0, v177, vcc_lo
.LBB4_4182:                             ;   in Loop: Header=BB4_3574 Depth=3
	s_or_b32 exec_lo, exec_lo, s31
.LBB4_4183:                             ;   in Loop: Header=BB4_3574 Depth=3
	s_delay_alu instid0(SALU_CYCLE_1) | instskip(SKIP_3) | instid1(VALU_DEP_2)
	s_or_b32 exec_lo, exec_lo, s17
	v_lshrrev_b16 v178, 8, v13
	v_lshrrev_b16 v177, 8, v9
	s_and_not1_b32 vcc_lo, exec_lo, s16
	v_cmp_lt_i16_e64 s13, 0x7f, v178
	s_cbranch_vccnz .LBB4_4193
; %bb.4184:                             ;   in Loop: Header=BB4_3574 Depth=3
	s_mov_b32 s17, 0
                                        ; implicit-def: $sgpr31
	s_delay_alu instid0(VALU_DEP_1) | instskip(NEXT) | instid1(SALU_CYCLE_1)
	s_and_saveexec_b32 vcc_lo, s13
	s_xor_b32 s13, exec_lo, vcc_lo
	s_cbranch_execnz .LBB4_4836
; %bb.4185:                             ;   in Loop: Header=BB4_3574 Depth=3
	s_or_saveexec_b32 s13, s13
	v_mov_b32_e32 v179, s31
	s_xor_b32 exec_lo, exec_lo, s13
	s_cbranch_execnz .LBB4_4839
.LBB4_4186:                             ;   in Loop: Header=BB4_3574 Depth=3
	s_or_b32 exec_lo, exec_lo, s13
	s_and_saveexec_b32 s13, s17
	s_cbranch_execz .LBB4_4188
.LBB4_4187:                             ;   in Loop: Header=BB4_3574 Depth=3
	v_and_b32_e32 v179, 0xffff, v178
	s_delay_alu instid0(VALU_DEP_1) | instskip(NEXT) | instid1(VALU_DEP_1)
	v_and_b32_e32 v180, 7, v179
	v_clz_i32_u32_e32 v181, v180
	s_delay_alu instid0(VALU_DEP_1) | instskip(NEXT) | instid1(VALU_DEP_1)
	v_min_u32_e32 v181, 32, v181
	v_subrev_nc_u32_e32 v182, 28, v181
	v_sub_nc_u32_e32 v181, 29, v181
	s_delay_alu instid0(VALU_DEP_2) | instskip(SKIP_1) | instid1(VALU_DEP_2)
	v_lshlrev_b32_e32 v182, v182, v179
	v_bfe_u32 v179, v179, 3, 4
	v_and_b32_e32 v182, 7, v182
	s_delay_alu instid0(VALU_DEP_2) | instskip(SKIP_1) | instid1(VALU_DEP_3)
	v_cmp_eq_u32_e32 vcc_lo, 0, v179
	v_cndmask_b32_e32 v179, v179, v181, vcc_lo
	v_dual_cndmask_b32 v180, v180, v182 :: v_dual_lshlrev_b32 v183, 16, v13
	s_delay_alu instid0(VALU_DEP_2) | instskip(NEXT) | instid1(VALU_DEP_2)
	v_lshl_add_u32 v179, v179, 23, 0x3b800000
	v_and_b32_e32 v181, 0x80000000, v183
	s_delay_alu instid0(VALU_DEP_3) | instskip(NEXT) | instid1(VALU_DEP_1)
	v_lshlrev_b32_e32 v180, 20, v180
	v_or3_b32 v179, v181, v179, v180
.LBB4_4188:                             ;   in Loop: Header=BB4_3574 Depth=3
	s_or_b32 exec_lo, exec_lo, s13
	s_mov_b32 s13, 0
	s_mov_b32 s31, exec_lo
                                        ; implicit-def: $sgpr17
	v_cmpx_lt_i16_e64 0x7f, v177
	s_xor_b32 s31, exec_lo, s31
	s_cbranch_execnz .LBB4_4840
; %bb.4189:                             ;   in Loop: Header=BB4_3574 Depth=3
	s_or_saveexec_b32 s31, s31
	v_mov_b32_e32 v180, s17
	s_xor_b32 exec_lo, exec_lo, s31
	s_cbranch_execnz .LBB4_4843
.LBB4_4190:                             ;   in Loop: Header=BB4_3574 Depth=3
	s_or_b32 exec_lo, exec_lo, s31
	s_and_saveexec_b32 s17, s13
	s_cbranch_execz .LBB4_4192
.LBB4_4191:                             ;   in Loop: Header=BB4_3574 Depth=3
	v_and_b32_e32 v180, 0xffff, v177
	v_lshlrev_b32_e32 v40, 16, v9
	s_delay_alu instid0(VALU_DEP_2) | instskip(NEXT) | instid1(VALU_DEP_1)
	v_and_b32_e32 v181, 7, v180
	v_clz_i32_u32_e32 v182, v181
	s_delay_alu instid0(VALU_DEP_1) | instskip(NEXT) | instid1(VALU_DEP_1)
	v_min_u32_e32 v182, 32, v182
	v_subrev_nc_u32_e32 v183, 28, v182
	v_sub_nc_u32_e32 v182, 29, v182
	s_delay_alu instid0(VALU_DEP_2) | instskip(SKIP_1) | instid1(VALU_DEP_2)
	v_lshlrev_b32_e32 v183, v183, v180
	v_bfe_u32 v180, v180, 3, 4
	v_and_b32_e32 v183, 7, v183
	s_delay_alu instid0(VALU_DEP_2) | instskip(NEXT) | instid1(VALU_DEP_2)
	v_cmp_eq_u32_e32 vcc_lo, 0, v180
	v_dual_cndmask_b32 v180, v180, v182 :: v_dual_cndmask_b32 v181, v181, v183
	v_and_b32_e32 v182, 0x80000000, v40
	s_delay_alu instid0(VALU_DEP_2) | instskip(NEXT) | instid1(VALU_DEP_3)
	v_lshl_add_u32 v180, v180, 23, 0x3b800000
	v_lshlrev_b32_e32 v181, 20, v181
	s_delay_alu instid0(VALU_DEP_1)
	v_or3_b32 v180, v182, v180, v181
.LBB4_4192:                             ;   in Loop: Header=BB4_3574 Depth=3
	s_or_b32 exec_lo, exec_lo, s17
	s_delay_alu instid0(VALU_DEP_1) | instskip(SKIP_1) | instid1(VALU_DEP_1)
	v_dual_max_f32 v180, v180, v180 :: v_dual_max_f32 v179, v179, v179
	s_mov_b32 s13, 0
	v_max_f32_e32 v179, v179, v180
	s_branch .LBB4_4194
.LBB4_4193:                             ;   in Loop: Header=BB4_3574 Depth=3
	s_mov_b32 s13, -1
                                        ; implicit-def: $vgpr179
.LBB4_4194:                             ;   in Loop: Header=BB4_3574 Depth=3
	s_delay_alu instid0(SALU_CYCLE_1)
	s_and_b32 vcc_lo, exec_lo, s13
	s_cbranch_vccz .LBB4_4204
; %bb.4195:                             ;   in Loop: Header=BB4_3574 Depth=3
	s_mov_b32 s13, 0
	s_mov_b32 s31, exec_lo
                                        ; implicit-def: $sgpr17
	v_cmpx_lt_i16_e64 0x7f, v178
	s_xor_b32 s31, exec_lo, s31
	s_cbranch_execnz .LBB4_4844
; %bb.4196:                             ;   in Loop: Header=BB4_3574 Depth=3
	s_or_saveexec_b32 s31, s31
	v_mov_b32_e32 v179, s17
	s_xor_b32 exec_lo, exec_lo, s31
	s_cbranch_execnz .LBB4_4847
.LBB4_4197:                             ;   in Loop: Header=BB4_3574 Depth=3
	s_or_b32 exec_lo, exec_lo, s31
	s_and_saveexec_b32 s17, s13
	s_cbranch_execz .LBB4_4199
.LBB4_4198:                             ;   in Loop: Header=BB4_3574 Depth=3
	v_and_b32_e32 v178, 0xffff, v178
	v_lshlrev_b32_e32 v182, 16, v13
	s_delay_alu instid0(VALU_DEP_2) | instskip(NEXT) | instid1(VALU_DEP_1)
	v_and_b32_e32 v179, 7, v178
	v_clz_i32_u32_e32 v180, v179
	s_delay_alu instid0(VALU_DEP_1) | instskip(NEXT) | instid1(VALU_DEP_1)
	v_min_u32_e32 v180, 32, v180
	v_subrev_nc_u32_e32 v181, 28, v180
	v_sub_nc_u32_e32 v180, 29, v180
	s_delay_alu instid0(VALU_DEP_2) | instskip(SKIP_1) | instid1(VALU_DEP_2)
	v_lshlrev_b32_e32 v181, v181, v178
	v_bfe_u32 v178, v178, 3, 4
	v_and_b32_e32 v181, 7, v181
	s_delay_alu instid0(VALU_DEP_2) | instskip(NEXT) | instid1(VALU_DEP_2)
	v_cmp_eq_u32_e32 vcc_lo, 0, v178
	v_dual_cndmask_b32 v178, v178, v180 :: v_dual_cndmask_b32 v179, v179, v181
	v_and_b32_e32 v180, 0x80000000, v182
	s_delay_alu instid0(VALU_DEP_2) | instskip(NEXT) | instid1(VALU_DEP_3)
	v_lshl_add_u32 v178, v178, 23, 0x3b800000
	v_lshlrev_b32_e32 v179, 20, v179
	s_delay_alu instid0(VALU_DEP_1)
	v_or3_b32 v179, v180, v178, v179
.LBB4_4199:                             ;   in Loop: Header=BB4_3574 Depth=3
	s_or_b32 exec_lo, exec_lo, s17
	s_mov_b32 s13, 0
	s_mov_b32 s31, exec_lo
                                        ; implicit-def: $sgpr17
	v_cmpx_lt_i16_e64 0x7f, v177
	s_xor_b32 s31, exec_lo, s31
	s_cbranch_execnz .LBB4_4848
; %bb.4200:                             ;   in Loop: Header=BB4_3574 Depth=3
	s_or_saveexec_b32 s31, s31
	v_mov_b32_e32 v178, s17
	s_xor_b32 exec_lo, exec_lo, s31
	s_cbranch_execnz .LBB4_4851
.LBB4_4201:                             ;   in Loop: Header=BB4_3574 Depth=3
	s_or_b32 exec_lo, exec_lo, s31
	s_and_saveexec_b32 s17, s13
	s_cbranch_execz .LBB4_4203
.LBB4_4202:                             ;   in Loop: Header=BB4_3574 Depth=3
	v_and_b32_e32 v177, 0xffff, v177
	v_lshlrev_b32_e32 v182, 16, v9
	s_delay_alu instid0(VALU_DEP_2) | instskip(NEXT) | instid1(VALU_DEP_1)
	v_and_b32_e32 v178, 7, v177
	v_clz_i32_u32_e32 v180, v178
	s_delay_alu instid0(VALU_DEP_1) | instskip(NEXT) | instid1(VALU_DEP_1)
	v_min_u32_e32 v180, 32, v180
	v_subrev_nc_u32_e32 v181, 28, v180
	v_sub_nc_u32_e32 v180, 29, v180
	s_delay_alu instid0(VALU_DEP_2) | instskip(SKIP_1) | instid1(VALU_DEP_2)
	v_lshlrev_b32_e32 v181, v181, v177
	v_bfe_u32 v177, v177, 3, 4
	v_and_b32_e32 v181, 7, v181
	s_delay_alu instid0(VALU_DEP_2) | instskip(NEXT) | instid1(VALU_DEP_2)
	v_cmp_eq_u32_e32 vcc_lo, 0, v177
	v_dual_cndmask_b32 v177, v177, v180 :: v_dual_cndmask_b32 v178, v178, v181
	v_and_b32_e32 v180, 0x80000000, v182
	s_delay_alu instid0(VALU_DEP_2) | instskip(NEXT) | instid1(VALU_DEP_3)
	v_lshl_add_u32 v177, v177, 23, 0x3b800000
	v_lshlrev_b32_e32 v178, 20, v178
	s_delay_alu instid0(VALU_DEP_1)
	v_or3_b32 v178, v180, v177, v178
.LBB4_4203:                             ;   in Loop: Header=BB4_3574 Depth=3
	s_or_b32 exec_lo, exec_lo, s17
	s_delay_alu instid0(VALU_DEP_1) | instskip(NEXT) | instid1(VALU_DEP_1)
	v_dual_max_f32 v177, v178, v178 :: v_dual_max_f32 v178, v179, v179
	v_min_f32_e32 v179, v178, v177
.LBB4_4204:                             ;   in Loop: Header=BB4_3574 Depth=3
	s_delay_alu instid0(VALU_DEP_1) | instskip(NEXT) | instid1(VALU_DEP_1)
	v_and_b32_e32 v177, 0x7f800000, v179
	v_cmp_ne_u32_e32 vcc_lo, 0x7f800000, v177
	v_mov_b32_e32 v177, 0x80
	s_and_saveexec_b32 s17, vcc_lo
	s_cbranch_execz .LBB4_4212
; %bb.4205:                             ;   in Loop: Header=BB4_3574 Depth=3
	v_mov_b32_e32 v177, 0
	s_mov_b32 s31, exec_lo
	v_cmpx_ne_u32_e32 0, v179
	s_cbranch_execz .LBB4_4211
; %bb.4206:                             ;   in Loop: Header=BB4_3574 Depth=3
	v_bfe_u32 v177, v179, 23, 8
	v_and_b32_e32 v178, 0x7fffff, v179
	s_delay_alu instid0(VALU_DEP_2) | instskip(SKIP_1) | instid1(VALU_DEP_3)
	v_sub_nc_u32_e32 v180, 0x78, v177
	v_cmp_gt_u32_e32 vcc_lo, 0x79, v177
	v_or_b32_e32 v181, 0x800000, v178
	s_delay_alu instid0(VALU_DEP_3) | instskip(SKIP_2) | instid1(VALU_DEP_3)
	v_cndmask_b32_e32 v180, 0, v180, vcc_lo
	v_cmp_eq_u32_e32 vcc_lo, 0, v177
	v_add_nc_u32_e32 v177, 0xffffff89, v177
	v_cndmask_b32_e64 v180, v180, 0x77, vcc_lo
	v_cndmask_b32_e32 v178, v181, v178, vcc_lo
	s_delay_alu instid0(VALU_DEP_3) | instskip(NEXT) | instid1(VALU_DEP_3)
	v_cndmask_b32_e64 v177, v177, 0xffffff8a, vcc_lo
	v_lshl_add_u32 v181, 0x100000, v180, -1
	s_delay_alu instid0(VALU_DEP_3) | instskip(SKIP_1) | instid1(VALU_DEP_4)
	v_lshrrev_b32_e32 v182, v180, v178
	v_lshlrev_b32_e64 v40, v180, 0x80000
	v_add_nc_u32_e32 v180, v180, v177
	s_delay_alu instid0(VALU_DEP_4) | instskip(NEXT) | instid1(VALU_DEP_4)
	v_and_b32_e32 v178, v181, v178
	v_bfe_u32 v183, v182, 20, 1
	s_delay_alu instid0(VALU_DEP_2) | instskip(NEXT) | instid1(VALU_DEP_2)
	v_cmp_eq_u32_e64 s13, v178, v40
	v_add_nc_u32_e32 v181, -1, v183
	s_delay_alu instid0(VALU_DEP_1) | instskip(SKIP_2) | instid1(VALU_DEP_2)
	v_cndmask_b32_e64 v178, 0, v181, s13
	v_lshrrev_b32_e32 v181, 23, v182
	s_mov_b32 s13, exec_lo
	v_add_nc_u32_e32 v178, v178, v182
	s_delay_alu instid0(VALU_DEP_2) | instskip(NEXT) | instid1(VALU_DEP_2)
	v_xor_b32_e32 v181, 1, v181
	v_and_b32_e32 v177, 0xfffff, v178
	s_delay_alu instid0(VALU_DEP_1) | instskip(NEXT) | instid1(VALU_DEP_3)
	v_add_nc_u32_e32 v178, v177, v182
                                        ; implicit-def: $vgpr177
	v_cmpx_ne_u32_e64 v180, v181
	s_xor_b32 s13, exec_lo, s13
; %bb.4207:                             ;   in Loop: Header=BB4_3574 Depth=3
	s_delay_alu instid0(VALU_DEP_2) | instskip(SKIP_2) | instid1(VALU_DEP_2)
	v_cmp_lt_u32_e32 vcc_lo, 0xffffff, v178
	v_sub_nc_u32_e32 v177, v180, v181
	v_cndmask_b32_e64 v180, 0, 1, vcc_lo
	v_add_co_ci_u32_e32 v177, vcc_lo, 0, v177, vcc_lo
	s_delay_alu instid0(VALU_DEP_2)
	v_lshrrev_b32_e32 v178, v180, v178
; %bb.4208:                             ;   in Loop: Header=BB4_3574 Depth=3
	s_and_not1_saveexec_b32 s13, s13
; %bb.4209:                             ;   in Loop: Header=BB4_3574 Depth=3
	s_delay_alu instid0(VALU_DEP_1)
	v_bfe_u32 v177, v178, 23, 1
; %bb.4210:                             ;   in Loop: Header=BB4_3574 Depth=3
	s_or_b32 exec_lo, exec_lo, s13
	v_lshrrev_b32_e32 v178, 20, v178
	s_delay_alu instid0(VALU_DEP_2) | instskip(SKIP_2) | instid1(VALU_DEP_2)
	v_cmp_gt_i32_e32 vcc_lo, 16, v177
	v_lshrrev_b32_e32 v179, 24, v179
	v_min_i32_e32 v180, 15, v177
	v_dual_cndmask_b32 v178, 7, v178 :: v_dual_and_b32 v179, 0x80, v179
	s_delay_alu instid0(VALU_DEP_1) | instskip(SKIP_1) | instid1(VALU_DEP_2)
	v_or_b32_e32 v177, v177, v178
	v_and_b32_e32 v181, 7, v178
	v_cmp_ne_u32_e32 vcc_lo, 0, v177
	v_lshlrev_b32_e32 v180, 3, v180
	s_delay_alu instid0(VALU_DEP_1) | instskip(NEXT) | instid1(VALU_DEP_1)
	v_or3_b32 v178, v180, v179, v181
	v_cndmask_b32_e32 v177, 0, v178, vcc_lo
.LBB4_4211:                             ;   in Loop: Header=BB4_3574 Depth=3
	s_or_b32 exec_lo, exec_lo, s31
.LBB4_4212:                             ;   in Loop: Header=BB4_3574 Depth=3
	s_delay_alu instid0(SALU_CYCLE_1) | instskip(SKIP_3) | instid1(VALU_DEP_2)
	s_or_b32 exec_lo, exec_lo, s17
	v_lshrrev_b32_e32 v179, 16, v13
	v_lshrrev_b32_e32 v178, 16, v9
	s_and_not1_b32 vcc_lo, exec_lo, s16
	v_and_b32_e32 v180, 0xff, v179
	s_delay_alu instid0(VALU_DEP_1)
	v_cmp_lt_i16_e64 s13, 0x7f, v180
	s_cbranch_vccnz .LBB4_4222
; %bb.4213:                             ;   in Loop: Header=BB4_3574 Depth=3
	s_mov_b32 s17, 0
                                        ; implicit-def: $sgpr31
	s_delay_alu instid0(VALU_DEP_1) | instskip(NEXT) | instid1(SALU_CYCLE_1)
	s_and_saveexec_b32 vcc_lo, s13
	s_xor_b32 s13, exec_lo, vcc_lo
	s_cbranch_execnz .LBB4_4852
; %bb.4214:                             ;   in Loop: Header=BB4_3574 Depth=3
	s_or_saveexec_b32 s13, s13
	v_mov_b32_e32 v181, s31
	s_xor_b32 exec_lo, exec_lo, s13
	s_cbranch_execnz .LBB4_4855
.LBB4_4215:                             ;   in Loop: Header=BB4_3574 Depth=3
	s_or_b32 exec_lo, exec_lo, s13
	s_and_saveexec_b32 s13, s17
	s_cbranch_execz .LBB4_4217
.LBB4_4216:                             ;   in Loop: Header=BB4_3574 Depth=3
	v_bfe_u32 v181, v13, 16, 3
	v_bfe_u32 v40, v13, 19, 4
	v_lshlrev_b32_e32 v41, 24, v179
	s_delay_alu instid0(VALU_DEP_3) | instskip(NEXT) | instid1(VALU_DEP_3)
	v_clz_i32_u32_e32 v182, v181
	v_cmp_eq_u32_e32 vcc_lo, 0, v40
	s_delay_alu instid0(VALU_DEP_2) | instskip(NEXT) | instid1(VALU_DEP_1)
	v_min_u32_e32 v182, 32, v182
	v_subrev_nc_u32_e32 v183, 28, v182
	v_sub_nc_u32_e32 v182, 29, v182
	s_delay_alu instid0(VALU_DEP_1) | instskip(NEXT) | instid1(VALU_DEP_1)
	v_dual_cndmask_b32 v182, v40, v182 :: v_dual_lshlrev_b32 v183, v183, v179
	v_and_b32_e32 v183, 7, v183
	s_delay_alu instid0(VALU_DEP_2) | instskip(NEXT) | instid1(VALU_DEP_2)
	v_lshl_add_u32 v182, v182, 23, 0x3b800000
	v_cndmask_b32_e32 v181, v181, v183, vcc_lo
	v_and_b32_e32 v183, 0x80000000, v41
	s_delay_alu instid0(VALU_DEP_2) | instskip(NEXT) | instid1(VALU_DEP_1)
	v_lshlrev_b32_e32 v181, 20, v181
	v_or3_b32 v181, v183, v182, v181
.LBB4_4217:                             ;   in Loop: Header=BB4_3574 Depth=3
	s_or_b32 exec_lo, exec_lo, s13
	v_and_b32_e32 v183, 0xff, v178
	s_mov_b32 s13, 0
	s_mov_b32 s31, exec_lo
                                        ; implicit-def: $sgpr17
	s_delay_alu instid0(VALU_DEP_1)
	v_cmpx_lt_i16_e64 0x7f, v183
	s_xor_b32 s31, exec_lo, s31
	s_cbranch_execnz .LBB4_4856
; %bb.4218:                             ;   in Loop: Header=BB4_3574 Depth=3
	s_or_saveexec_b32 s31, s31
	v_mov_b32_e32 v182, s17
	s_xor_b32 exec_lo, exec_lo, s31
	s_cbranch_execnz .LBB4_4859
.LBB4_4219:                             ;   in Loop: Header=BB4_3574 Depth=3
	s_or_b32 exec_lo, exec_lo, s31
	s_and_saveexec_b32 s17, s13
	s_cbranch_execz .LBB4_4221
.LBB4_4220:                             ;   in Loop: Header=BB4_3574 Depth=3
	v_bfe_u32 v182, v9, 16, 3
	v_bfe_u32 v41, v9, 19, 4
	v_lshlrev_b32_e32 v42, 24, v178
	s_delay_alu instid0(VALU_DEP_3) | instskip(NEXT) | instid1(VALU_DEP_3)
	v_clz_i32_u32_e32 v183, v182
	v_cmp_eq_u32_e32 vcc_lo, 0, v41
	s_delay_alu instid0(VALU_DEP_2) | instskip(NEXT) | instid1(VALU_DEP_1)
	v_min_u32_e32 v183, 32, v183
	v_subrev_nc_u32_e32 v40, 28, v183
	v_sub_nc_u32_e32 v183, 29, v183
	s_delay_alu instid0(VALU_DEP_1) | instskip(NEXT) | instid1(VALU_DEP_1)
	v_dual_cndmask_b32 v183, v41, v183 :: v_dual_lshlrev_b32 v40, v40, v178
	v_and_b32_e32 v40, 7, v40
	s_delay_alu instid0(VALU_DEP_2) | instskip(NEXT) | instid1(VALU_DEP_2)
	v_lshl_add_u32 v183, v183, 23, 0x3b800000
	v_cndmask_b32_e32 v182, v182, v40, vcc_lo
	v_and_b32_e32 v40, 0x80000000, v42
	s_delay_alu instid0(VALU_DEP_2) | instskip(NEXT) | instid1(VALU_DEP_1)
	v_lshlrev_b32_e32 v182, 20, v182
	v_or3_b32 v182, v40, v183, v182
.LBB4_4221:                             ;   in Loop: Header=BB4_3574 Depth=3
	s_or_b32 exec_lo, exec_lo, s17
	s_delay_alu instid0(VALU_DEP_1) | instskip(SKIP_1) | instid1(VALU_DEP_1)
	v_dual_max_f32 v182, v182, v182 :: v_dual_max_f32 v181, v181, v181
	s_mov_b32 s13, 0
	v_max_f32_e32 v181, v181, v182
	s_branch .LBB4_4223
.LBB4_4222:                             ;   in Loop: Header=BB4_3574 Depth=3
	s_mov_b32 s13, -1
                                        ; implicit-def: $vgpr181
.LBB4_4223:                             ;   in Loop: Header=BB4_3574 Depth=3
	s_delay_alu instid0(SALU_CYCLE_1)
	s_and_b32 vcc_lo, exec_lo, s13
	s_cbranch_vccz .LBB4_4233
; %bb.4224:                             ;   in Loop: Header=BB4_3574 Depth=3
	s_mov_b32 s13, 0
	s_mov_b32 s31, exec_lo
                                        ; implicit-def: $sgpr17
	v_cmpx_lt_i16_e64 0x7f, v180
	s_xor_b32 s31, exec_lo, s31
	s_cbranch_execnz .LBB4_4860
; %bb.4225:                             ;   in Loop: Header=BB4_3574 Depth=3
	s_or_saveexec_b32 s31, s31
	v_mov_b32_e32 v181, s17
	s_xor_b32 exec_lo, exec_lo, s31
	s_cbranch_execnz .LBB4_4863
.LBB4_4226:                             ;   in Loop: Header=BB4_3574 Depth=3
	s_or_b32 exec_lo, exec_lo, s31
	s_and_saveexec_b32 s17, s13
	s_cbranch_execz .LBB4_4228
.LBB4_4227:                             ;   in Loop: Header=BB4_3574 Depth=3
	v_bfe_u32 v180, v13, 16, 3
	v_bfe_u32 v183, v13, 19, 4
	s_delay_alu instid0(VALU_DEP_2) | instskip(NEXT) | instid1(VALU_DEP_2)
	v_clz_i32_u32_e32 v181, v180
	v_cmp_eq_u32_e32 vcc_lo, 0, v183
	s_delay_alu instid0(VALU_DEP_2) | instskip(NEXT) | instid1(VALU_DEP_1)
	v_min_u32_e32 v181, 32, v181
	v_subrev_nc_u32_e32 v182, 28, v181
	v_sub_nc_u32_e32 v181, 29, v181
	s_delay_alu instid0(VALU_DEP_1) | instskip(NEXT) | instid1(VALU_DEP_1)
	v_dual_cndmask_b32 v181, v183, v181 :: v_dual_lshlrev_b32 v182, v182, v179
	v_and_b32_e32 v182, 7, v182
	v_lshlrev_b32_e32 v179, 24, v179
	s_delay_alu instid0(VALU_DEP_3) | instskip(NEXT) | instid1(VALU_DEP_2)
	v_lshl_add_u32 v181, v181, 23, 0x3b800000
	v_dual_cndmask_b32 v180, v180, v182 :: v_dual_and_b32 v179, 0x80000000, v179
	s_delay_alu instid0(VALU_DEP_1) | instskip(NEXT) | instid1(VALU_DEP_1)
	v_lshlrev_b32_e32 v180, 20, v180
	v_or3_b32 v181, v179, v181, v180
.LBB4_4228:                             ;   in Loop: Header=BB4_3574 Depth=3
	s_or_b32 exec_lo, exec_lo, s17
	v_and_b32_e32 v180, 0xff, v178
	s_mov_b32 s13, 0
	s_mov_b32 s31, exec_lo
                                        ; implicit-def: $sgpr17
	s_delay_alu instid0(VALU_DEP_1)
	v_cmpx_lt_i16_e64 0x7f, v180
	s_xor_b32 s31, exec_lo, s31
	s_cbranch_execnz .LBB4_4864
; %bb.4229:                             ;   in Loop: Header=BB4_3574 Depth=3
	s_or_saveexec_b32 s31, s31
	v_mov_b32_e32 v179, s17
	s_xor_b32 exec_lo, exec_lo, s31
	s_cbranch_execnz .LBB4_4867
.LBB4_4230:                             ;   in Loop: Header=BB4_3574 Depth=3
	s_or_b32 exec_lo, exec_lo, s31
	s_and_saveexec_b32 s17, s13
	s_cbranch_execz .LBB4_4232
.LBB4_4231:                             ;   in Loop: Header=BB4_3574 Depth=3
	v_bfe_u32 v179, v9, 16, 3
	v_bfe_u32 v183, v9, 19, 4
	s_delay_alu instid0(VALU_DEP_2) | instskip(NEXT) | instid1(VALU_DEP_2)
	v_clz_i32_u32_e32 v180, v179
	v_cmp_eq_u32_e32 vcc_lo, 0, v183
	s_delay_alu instid0(VALU_DEP_2) | instskip(NEXT) | instid1(VALU_DEP_1)
	v_min_u32_e32 v180, 32, v180
	v_subrev_nc_u32_e32 v182, 28, v180
	v_sub_nc_u32_e32 v180, 29, v180
	s_delay_alu instid0(VALU_DEP_2) | instskip(SKIP_1) | instid1(VALU_DEP_2)
	v_lshlrev_b32_e32 v182, v182, v178
	v_lshlrev_b32_e32 v178, 24, v178
	v_and_b32_e32 v182, 7, v182
	s_delay_alu instid0(VALU_DEP_2) | instskip(NEXT) | instid1(VALU_DEP_2)
	v_and_b32_e32 v178, 0x80000000, v178
	v_cndmask_b32_e32 v179, v179, v182, vcc_lo
	s_delay_alu instid0(VALU_DEP_1) | instskip(NEXT) | instid1(VALU_DEP_1)
	v_dual_cndmask_b32 v180, v183, v180 :: v_dual_lshlrev_b32 v179, 20, v179
	v_lshl_add_u32 v180, v180, 23, 0x3b800000
	s_delay_alu instid0(VALU_DEP_1)
	v_or3_b32 v179, v178, v180, v179
.LBB4_4232:                             ;   in Loop: Header=BB4_3574 Depth=3
	s_or_b32 exec_lo, exec_lo, s17
	s_delay_alu instid0(VALU_DEP_1) | instskip(NEXT) | instid1(VALU_DEP_1)
	v_dual_max_f32 v178, v179, v179 :: v_dual_max_f32 v179, v181, v181
	v_min_f32_e32 v181, v179, v178
.LBB4_4233:                             ;   in Loop: Header=BB4_3574 Depth=3
	s_delay_alu instid0(VALU_DEP_1) | instskip(NEXT) | instid1(VALU_DEP_1)
	v_and_b32_e32 v178, 0x7f800000, v181
	v_cmp_ne_u32_e32 vcc_lo, 0x7f800000, v178
	v_mov_b32_e32 v178, 0x80
	s_and_saveexec_b32 s17, vcc_lo
	s_cbranch_execz .LBB4_4241
; %bb.4234:                             ;   in Loop: Header=BB4_3574 Depth=3
	v_mov_b32_e32 v178, 0
	s_mov_b32 s31, exec_lo
	v_cmpx_ne_u32_e32 0, v181
	s_cbranch_execz .LBB4_4240
; %bb.4235:                             ;   in Loop: Header=BB4_3574 Depth=3
	v_bfe_u32 v178, v181, 23, 8
	s_delay_alu instid0(VALU_DEP_1) | instskip(SKIP_1) | instid1(VALU_DEP_2)
	v_sub_nc_u32_e32 v180, 0x78, v178
	v_cmp_gt_u32_e32 vcc_lo, 0x79, v178
	v_dual_cndmask_b32 v180, 0, v180 :: v_dual_and_b32 v179, 0x7fffff, v181
	s_delay_alu instid0(VALU_DEP_1) | instskip(SKIP_2) | instid1(VALU_DEP_4)
	v_or_b32_e32 v182, 0x800000, v179
	v_cmp_eq_u32_e32 vcc_lo, 0, v178
	v_add_nc_u32_e32 v178, 0xffffff89, v178
	v_cndmask_b32_e64 v180, v180, 0x77, vcc_lo
	s_delay_alu instid0(VALU_DEP_4) | instskip(NEXT) | instid1(VALU_DEP_3)
	v_cndmask_b32_e32 v179, v182, v179, vcc_lo
	v_cndmask_b32_e64 v178, v178, 0xffffff8a, vcc_lo
	s_delay_alu instid0(VALU_DEP_3) | instskip(NEXT) | instid1(VALU_DEP_3)
	v_lshl_add_u32 v182, 0x100000, v180, -1
	v_lshrrev_b32_e32 v183, v180, v179
	v_lshlrev_b32_e64 v41, v180, 0x80000
	s_delay_alu instid0(VALU_DEP_4) | instskip(NEXT) | instid1(VALU_DEP_4)
	v_add_nc_u32_e32 v180, v180, v178
	v_and_b32_e32 v179, v182, v179
	s_delay_alu instid0(VALU_DEP_4) | instskip(NEXT) | instid1(VALU_DEP_2)
	v_bfe_u32 v40, v183, 20, 1
	v_cmp_eq_u32_e64 s13, v179, v41
	s_delay_alu instid0(VALU_DEP_2) | instskip(NEXT) | instid1(VALU_DEP_1)
	v_add_nc_u32_e32 v182, -1, v40
	v_cndmask_b32_e64 v179, 0, v182, s13
	v_lshrrev_b32_e32 v182, 23, v183
	s_mov_b32 s13, exec_lo
	s_delay_alu instid0(VALU_DEP_2) | instskip(NEXT) | instid1(VALU_DEP_2)
	v_add_nc_u32_e32 v179, v179, v183
	v_xor_b32_e32 v182, 1, v182
	s_delay_alu instid0(VALU_DEP_2) | instskip(NEXT) | instid1(VALU_DEP_1)
	v_and_b32_e32 v178, 0xfffff, v179
	v_add_nc_u32_e32 v179, v178, v183
                                        ; implicit-def: $vgpr178
	s_delay_alu instid0(VALU_DEP_3)
	v_cmpx_ne_u32_e64 v180, v182
	s_xor_b32 s13, exec_lo, s13
; %bb.4236:                             ;   in Loop: Header=BB4_3574 Depth=3
	s_delay_alu instid0(VALU_DEP_2) | instskip(SKIP_2) | instid1(VALU_DEP_2)
	v_cmp_lt_u32_e32 vcc_lo, 0xffffff, v179
	v_sub_nc_u32_e32 v178, v180, v182
	v_cndmask_b32_e64 v180, 0, 1, vcc_lo
	v_add_co_ci_u32_e32 v178, vcc_lo, 0, v178, vcc_lo
	s_delay_alu instid0(VALU_DEP_2)
	v_lshrrev_b32_e32 v179, v180, v179
; %bb.4237:                             ;   in Loop: Header=BB4_3574 Depth=3
	s_and_not1_saveexec_b32 s13, s13
; %bb.4238:                             ;   in Loop: Header=BB4_3574 Depth=3
	s_delay_alu instid0(VALU_DEP_1)
	v_bfe_u32 v178, v179, 23, 1
; %bb.4239:                             ;   in Loop: Header=BB4_3574 Depth=3
	s_or_b32 exec_lo, exec_lo, s13
	v_lshrrev_b32_e32 v179, 20, v179
	s_delay_alu instid0(VALU_DEP_2) | instskip(SKIP_2) | instid1(VALU_DEP_2)
	v_cmp_gt_i32_e32 vcc_lo, 16, v178
	v_min_i32_e32 v180, 15, v178
	v_lshrrev_b32_e32 v181, 24, v181
	v_dual_cndmask_b32 v179, 7, v179 :: v_dual_lshlrev_b32 v180, 3, v180
	s_delay_alu instid0(VALU_DEP_1) | instskip(SKIP_1) | instid1(VALU_DEP_3)
	v_or_b32_e32 v178, v178, v179
	v_and_b32_e32 v182, 7, v179
	v_and_b32_e32 v180, 0xf8, v180
	s_delay_alu instid0(VALU_DEP_3) | instskip(SKIP_1) | instid1(VALU_DEP_1)
	v_cmp_ne_u32_e32 vcc_lo, 0, v178
	v_and_b32_e32 v181, 0x80, v181
	v_or3_b32 v179, v180, v181, v182
	s_delay_alu instid0(VALU_DEP_1)
	v_cndmask_b32_e32 v178, 0, v179, vcc_lo
.LBB4_4240:                             ;   in Loop: Header=BB4_3574 Depth=3
	s_or_b32 exec_lo, exec_lo, s31
.LBB4_4241:                             ;   in Loop: Header=BB4_3574 Depth=3
	s_delay_alu instid0(SALU_CYCLE_1) | instskip(SKIP_3) | instid1(VALU_DEP_2)
	s_or_b32 exec_lo, exec_lo, s17
	v_lshrrev_b32_e32 v180, 24, v13
	v_lshrrev_b32_e32 v179, 24, v9
	s_and_not1_b32 vcc_lo, exec_lo, s16
	v_cmp_lt_i16_e64 s13, 0x7f, v180
	s_cbranch_vccnz .LBB4_4251
; %bb.4242:                             ;   in Loop: Header=BB4_3574 Depth=3
	s_mov_b32 s17, 0
                                        ; implicit-def: $sgpr31
	s_delay_alu instid0(VALU_DEP_1) | instskip(NEXT) | instid1(SALU_CYCLE_1)
	s_and_saveexec_b32 vcc_lo, s13
	s_xor_b32 s13, exec_lo, vcc_lo
	s_cbranch_execnz .LBB4_4868
; %bb.4243:                             ;   in Loop: Header=BB4_3574 Depth=3
	s_or_saveexec_b32 s13, s13
	v_mov_b32_e32 v181, s31
	s_xor_b32 exec_lo, exec_lo, s13
	s_cbranch_execnz .LBB4_4871
.LBB4_4244:                             ;   in Loop: Header=BB4_3574 Depth=3
	s_or_b32 exec_lo, exec_lo, s13
	s_and_saveexec_b32 s13, s17
	s_cbranch_execz .LBB4_4246
.LBB4_4245:                             ;   in Loop: Header=BB4_3574 Depth=3
	v_bfe_u32 v181, v13, 24, 3
	v_bfe_u32 v40, v13, 27, 4
	s_delay_alu instid0(VALU_DEP_2) | instskip(NEXT) | instid1(VALU_DEP_2)
	v_clz_i32_u32_e32 v182, v181
	v_cmp_eq_u32_e32 vcc_lo, 0, v40
	s_delay_alu instid0(VALU_DEP_2) | instskip(NEXT) | instid1(VALU_DEP_1)
	v_min_u32_e32 v182, 32, v182
	v_subrev_nc_u32_e32 v183, 28, v182
	v_sub_nc_u32_e32 v182, 29, v182
	s_delay_alu instid0(VALU_DEP_1) | instskip(NEXT) | instid1(VALU_DEP_1)
	v_dual_cndmask_b32 v182, v40, v182 :: v_dual_lshlrev_b32 v183, v183, v180
	v_and_b32_e32 v183, 7, v183
	s_delay_alu instid0(VALU_DEP_2) | instskip(NEXT) | instid1(VALU_DEP_2)
	v_lshl_add_u32 v182, v182, 23, 0x3b800000
	v_cndmask_b32_e32 v181, v181, v183, vcc_lo
	v_and_b32_e32 v183, 0x80000000, v13
	s_delay_alu instid0(VALU_DEP_2) | instskip(NEXT) | instid1(VALU_DEP_1)
	v_lshlrev_b32_e32 v181, 20, v181
	v_or3_b32 v181, v183, v182, v181
.LBB4_4246:                             ;   in Loop: Header=BB4_3574 Depth=3
	s_or_b32 exec_lo, exec_lo, s13
	s_mov_b32 s13, 0
	s_mov_b32 s31, exec_lo
                                        ; implicit-def: $sgpr17
	v_cmpx_lt_i16_e64 0x7f, v179
	s_xor_b32 s31, exec_lo, s31
	s_cbranch_execnz .LBB4_4872
; %bb.4247:                             ;   in Loop: Header=BB4_3574 Depth=3
	s_or_saveexec_b32 s31, s31
	v_mov_b32_e32 v182, s17
	s_xor_b32 exec_lo, exec_lo, s31
	s_cbranch_execnz .LBB4_4875
.LBB4_4248:                             ;   in Loop: Header=BB4_3574 Depth=3
	s_or_b32 exec_lo, exec_lo, s31
	s_and_saveexec_b32 s17, s13
	s_cbranch_execz .LBB4_4250
.LBB4_4249:                             ;   in Loop: Header=BB4_3574 Depth=3
	v_bfe_u32 v182, v9, 24, 3
	v_bfe_u32 v41, v9, 27, 4
	s_delay_alu instid0(VALU_DEP_2) | instskip(NEXT) | instid1(VALU_DEP_2)
	v_clz_i32_u32_e32 v183, v182
	v_cmp_eq_u32_e32 vcc_lo, 0, v41
	s_delay_alu instid0(VALU_DEP_2) | instskip(NEXT) | instid1(VALU_DEP_1)
	v_min_u32_e32 v183, 32, v183
	v_subrev_nc_u32_e32 v40, 28, v183
	v_sub_nc_u32_e32 v183, 29, v183
	s_delay_alu instid0(VALU_DEP_2) | instskip(NEXT) | instid1(VALU_DEP_1)
	v_lshlrev_b32_e32 v40, v40, v179
	v_dual_cndmask_b32 v183, v41, v183 :: v_dual_and_b32 v40, 7, v40
	s_delay_alu instid0(VALU_DEP_1) | instskip(NEXT) | instid1(VALU_DEP_2)
	v_lshl_add_u32 v183, v183, 23, 0x3b800000
	v_cndmask_b32_e32 v182, v182, v40, vcc_lo
	v_and_b32_e32 v40, 0x80000000, v9
	s_delay_alu instid0(VALU_DEP_2) | instskip(NEXT) | instid1(VALU_DEP_1)
	v_lshlrev_b32_e32 v182, 20, v182
	v_or3_b32 v182, v40, v183, v182
.LBB4_4250:                             ;   in Loop: Header=BB4_3574 Depth=3
	s_or_b32 exec_lo, exec_lo, s17
	s_delay_alu instid0(VALU_DEP_1) | instskip(SKIP_1) | instid1(VALU_DEP_1)
	v_dual_max_f32 v182, v182, v182 :: v_dual_max_f32 v181, v181, v181
	s_mov_b32 s13, 0
	v_max_f32_e32 v181, v181, v182
	s_branch .LBB4_4252
.LBB4_4251:                             ;   in Loop: Header=BB4_3574 Depth=3
	s_mov_b32 s13, -1
                                        ; implicit-def: $vgpr181
.LBB4_4252:                             ;   in Loop: Header=BB4_3574 Depth=3
	s_delay_alu instid0(SALU_CYCLE_1)
	s_and_b32 vcc_lo, exec_lo, s13
	s_cbranch_vccz .LBB4_4262
; %bb.4253:                             ;   in Loop: Header=BB4_3574 Depth=3
	s_mov_b32 s13, 0
	s_mov_b32 s31, exec_lo
                                        ; implicit-def: $sgpr17
	v_cmpx_lt_i16_e64 0x7f, v180
	s_xor_b32 s31, exec_lo, s31
	s_cbranch_execnz .LBB4_4876
; %bb.4254:                             ;   in Loop: Header=BB4_3574 Depth=3
	s_or_saveexec_b32 s31, s31
	v_mov_b32_e32 v181, s17
	s_xor_b32 exec_lo, exec_lo, s31
	s_cbranch_execnz .LBB4_4879
.LBB4_4255:                             ;   in Loop: Header=BB4_3574 Depth=3
	s_or_b32 exec_lo, exec_lo, s31
	s_and_saveexec_b32 s17, s13
	s_cbranch_execz .LBB4_4257
.LBB4_4256:                             ;   in Loop: Header=BB4_3574 Depth=3
	v_bfe_u32 v181, v13, 24, 3
	s_delay_alu instid0(VALU_DEP_1) | instskip(NEXT) | instid1(VALU_DEP_1)
	v_clz_i32_u32_e32 v182, v181
	v_min_u32_e32 v182, 32, v182
	s_delay_alu instid0(VALU_DEP_1) | instskip(SKIP_1) | instid1(VALU_DEP_2)
	v_subrev_nc_u32_e32 v183, 28, v182
	v_sub_nc_u32_e32 v182, 29, v182
	v_lshlrev_b32_e32 v180, v183, v180
	v_bfe_u32 v183, v13, 27, 4
	v_and_b32_e32 v13, 0x80000000, v13
	s_delay_alu instid0(VALU_DEP_3) | instskip(NEXT) | instid1(VALU_DEP_3)
	v_and_b32_e32 v180, 7, v180
	v_cmp_eq_u32_e32 vcc_lo, 0, v183
	v_cndmask_b32_e32 v182, v183, v182, vcc_lo
	s_delay_alu instid0(VALU_DEP_3) | instskip(NEXT) | instid1(VALU_DEP_2)
	v_cndmask_b32_e32 v180, v181, v180, vcc_lo
	v_lshl_add_u32 v181, v182, 23, 0x3b800000
	s_delay_alu instid0(VALU_DEP_2) | instskip(NEXT) | instid1(VALU_DEP_1)
	v_lshlrev_b32_e32 v180, 20, v180
	v_or3_b32 v181, v13, v181, v180
.LBB4_4257:                             ;   in Loop: Header=BB4_3574 Depth=3
	s_or_b32 exec_lo, exec_lo, s17
	s_mov_b32 s13, 0
	s_mov_b32 s31, exec_lo
                                        ; implicit-def: $sgpr17
	v_cmpx_lt_i16_e64 0x7f, v179
	s_xor_b32 s31, exec_lo, s31
	s_cbranch_execnz .LBB4_4880
; %bb.4258:                             ;   in Loop: Header=BB4_3574 Depth=3
	s_or_saveexec_b32 s31, s31
	v_mov_b32_e32 v13, s17
	s_xor_b32 exec_lo, exec_lo, s31
	s_cbranch_execnz .LBB4_4883
.LBB4_4259:                             ;   in Loop: Header=BB4_3574 Depth=3
	s_or_b32 exec_lo, exec_lo, s31
	s_and_saveexec_b32 s17, s13
	s_cbranch_execz .LBB4_4261
.LBB4_4260:                             ;   in Loop: Header=BB4_3574 Depth=3
	v_bfe_u32 v13, v9, 24, 3
	s_delay_alu instid0(VALU_DEP_1) | instskip(NEXT) | instid1(VALU_DEP_1)
	v_clz_i32_u32_e32 v180, v13
	v_min_u32_e32 v180, 32, v180
	s_delay_alu instid0(VALU_DEP_1) | instskip(SKIP_1) | instid1(VALU_DEP_2)
	v_subrev_nc_u32_e32 v182, 28, v180
	v_sub_nc_u32_e32 v180, 29, v180
	v_lshlrev_b32_e32 v179, v182, v179
	v_bfe_u32 v182, v9, 27, 4
	v_and_b32_e32 v9, 0x80000000, v9
	s_delay_alu instid0(VALU_DEP_2) | instskip(NEXT) | instid1(VALU_DEP_4)
	v_cmp_eq_u32_e32 vcc_lo, 0, v182
	v_dual_cndmask_b32 v180, v182, v180 :: v_dual_and_b32 v179, 7, v179
	s_delay_alu instid0(VALU_DEP_1) | instskip(NEXT) | instid1(VALU_DEP_2)
	v_cndmask_b32_e32 v13, v13, v179, vcc_lo
	v_lshl_add_u32 v179, v180, 23, 0x3b800000
	s_delay_alu instid0(VALU_DEP_2) | instskip(NEXT) | instid1(VALU_DEP_1)
	v_lshlrev_b32_e32 v13, 20, v13
	v_or3_b32 v13, v9, v179, v13
.LBB4_4261:                             ;   in Loop: Header=BB4_3574 Depth=3
	s_or_b32 exec_lo, exec_lo, s17
	s_delay_alu instid0(VALU_DEP_1) | instskip(SKIP_1) | instid1(VALU_DEP_1)
	v_max_f32_e32 v9, v13, v13
	v_max_f32_e32 v13, v181, v181
	v_min_f32_e32 v181, v13, v9
.LBB4_4262:                             ;   in Loop: Header=BB4_3574 Depth=3
	s_delay_alu instid0(VALU_DEP_1) | instskip(NEXT) | instid1(VALU_DEP_1)
	v_and_b32_e32 v9, 0x7f800000, v181
	v_cmp_ne_u32_e32 vcc_lo, 0x7f800000, v9
	v_mov_b32_e32 v9, 0x8000
	s_and_saveexec_b32 s17, vcc_lo
	s_cbranch_execz .LBB4_4270
; %bb.4263:                             ;   in Loop: Header=BB4_3574 Depth=3
	v_mov_b32_e32 v9, 0
	s_mov_b32 s31, exec_lo
	v_cmpx_ne_u32_e32 0, v181
	s_cbranch_execz .LBB4_4269
; %bb.4264:                             ;   in Loop: Header=BB4_3574 Depth=3
	v_bfe_u32 v9, v181, 23, 8
	v_and_b32_e32 v13, 0x7fffff, v181
	s_delay_alu instid0(VALU_DEP_2) | instskip(SKIP_1) | instid1(VALU_DEP_3)
	v_sub_nc_u32_e32 v179, 0x78, v9
	v_cmp_gt_u32_e32 vcc_lo, 0x79, v9
	v_or_b32_e32 v180, 0x800000, v13
	s_delay_alu instid0(VALU_DEP_3) | instskip(SKIP_2) | instid1(VALU_DEP_3)
	v_cndmask_b32_e32 v179, 0, v179, vcc_lo
	v_cmp_eq_u32_e32 vcc_lo, 0, v9
	v_add_nc_u32_e32 v9, 0xffffff89, v9
	v_cndmask_b32_e64 v179, v179, 0x77, vcc_lo
	v_cndmask_b32_e32 v13, v180, v13, vcc_lo
	s_delay_alu instid0(VALU_DEP_3) | instskip(NEXT) | instid1(VALU_DEP_3)
	v_cndmask_b32_e64 v9, v9, 0xffffff8a, vcc_lo
	v_lshl_add_u32 v180, 0x100000, v179, -1
	s_delay_alu instid0(VALU_DEP_3) | instskip(SKIP_1) | instid1(VALU_DEP_4)
	v_lshrrev_b32_e32 v182, v179, v13
	v_lshlrev_b32_e64 v40, v179, 0x80000
	v_add_nc_u32_e32 v179, v179, v9
	s_delay_alu instid0(VALU_DEP_4) | instskip(NEXT) | instid1(VALU_DEP_4)
	v_and_b32_e32 v13, v180, v13
	v_bfe_u32 v183, v182, 20, 1
	s_delay_alu instid0(VALU_DEP_2) | instskip(NEXT) | instid1(VALU_DEP_2)
	v_cmp_eq_u32_e64 s13, v13, v40
	v_add_nc_u32_e32 v180, -1, v183
	s_delay_alu instid0(VALU_DEP_1) | instskip(SKIP_2) | instid1(VALU_DEP_2)
	v_cndmask_b32_e64 v13, 0, v180, s13
	v_lshrrev_b32_e32 v180, 23, v182
	s_mov_b32 s13, exec_lo
	v_add_nc_u32_e32 v13, v13, v182
	s_delay_alu instid0(VALU_DEP_2) | instskip(NEXT) | instid1(VALU_DEP_2)
	v_xor_b32_e32 v180, 1, v180
	v_and_b32_e32 v9, 0xfffff, v13
	s_delay_alu instid0(VALU_DEP_1) | instskip(NEXT) | instid1(VALU_DEP_3)
	v_add_nc_u32_e32 v13, v9, v182
                                        ; implicit-def: $vgpr9
	v_cmpx_ne_u32_e64 v179, v180
	s_xor_b32 s13, exec_lo, s13
; %bb.4265:                             ;   in Loop: Header=BB4_3574 Depth=3
	s_delay_alu instid0(VALU_DEP_2) | instskip(SKIP_2) | instid1(VALU_DEP_2)
	v_cmp_lt_u32_e32 vcc_lo, 0xffffff, v13
	v_sub_nc_u32_e32 v9, v179, v180
	v_cndmask_b32_e64 v179, 0, 1, vcc_lo
	v_add_co_ci_u32_e32 v9, vcc_lo, 0, v9, vcc_lo
	s_delay_alu instid0(VALU_DEP_2)
	v_lshrrev_b32_e32 v13, v179, v13
; %bb.4266:                             ;   in Loop: Header=BB4_3574 Depth=3
	s_and_not1_saveexec_b32 s13, s13
; %bb.4267:                             ;   in Loop: Header=BB4_3574 Depth=3
	s_delay_alu instid0(VALU_DEP_1)
	v_bfe_u32 v9, v13, 23, 1
; %bb.4268:                             ;   in Loop: Header=BB4_3574 Depth=3
	s_or_b32 exec_lo, exec_lo, s13
	v_lshrrev_b32_e32 v13, 20, v13
	s_delay_alu instid0(VALU_DEP_2) | instskip(SKIP_2) | instid1(VALU_DEP_3)
	v_min_i32_e32 v179, 15, v9
	v_cmp_gt_i32_e32 vcc_lo, 16, v9
	v_lshrrev_b32_e32 v180, 24, v181
	v_lshlrev_b32_e32 v179, 3, v179
	s_delay_alu instid0(VALU_DEP_2) | instskip(NEXT) | instid1(VALU_DEP_2)
	v_dual_cndmask_b32 v13, 7, v13 :: v_dual_and_b32 v180, 0x80, v180
	v_and_b32_e32 v179, 0xf8, v179
	s_delay_alu instid0(VALU_DEP_2) | instskip(SKIP_1) | instid1(VALU_DEP_2)
	v_and_b32_e32 v181, 7, v13
	v_or_b32_e32 v9, v9, v13
	v_or3_b32 v179, v180, v179, v181
	s_delay_alu instid0(VALU_DEP_2) | instskip(NEXT) | instid1(VALU_DEP_2)
	v_cmp_ne_u32_e32 vcc_lo, 0, v9
	v_lshlrev_b32_e32 v13, 8, v179
	s_delay_alu instid0(VALU_DEP_1)
	v_cndmask_b32_e32 v9, 0, v13, vcc_lo
.LBB4_4269:                             ;   in Loop: Header=BB4_3574 Depth=3
	s_or_b32 exec_lo, exec_lo, s31
.LBB4_4270:                             ;   in Loop: Header=BB4_3574 Depth=3
	s_delay_alu instid0(SALU_CYCLE_1) | instskip(SKIP_2) | instid1(VALU_DEP_1)
	s_or_b32 exec_lo, exec_lo, s17
	v_and_b32_e32 v13, 0xff, v14
	s_and_not1_b32 vcc_lo, exec_lo, s16
	v_cmp_lt_i16_e64 s13, 0x7f, v13
	s_cbranch_vccnz .LBB4_4280
; %bb.4271:                             ;   in Loop: Header=BB4_3574 Depth=3
	s_mov_b32 s17, 0
                                        ; implicit-def: $sgpr31
	s_delay_alu instid0(VALU_DEP_1) | instskip(NEXT) | instid1(SALU_CYCLE_1)
	s_and_saveexec_b32 vcc_lo, s13
	s_xor_b32 s13, exec_lo, vcc_lo
	s_cbranch_execnz .LBB4_4884
; %bb.4272:                             ;   in Loop: Header=BB4_3574 Depth=3
	s_or_saveexec_b32 s13, s13
	v_mov_b32_e32 v179, s31
	s_xor_b32 exec_lo, exec_lo, s13
	s_cbranch_execnz .LBB4_4887
.LBB4_4273:                             ;   in Loop: Header=BB4_3574 Depth=3
	s_or_b32 exec_lo, exec_lo, s13
	s_and_saveexec_b32 s13, s17
	s_cbranch_execz .LBB4_4275
.LBB4_4274:                             ;   in Loop: Header=BB4_3574 Depth=3
	v_bfe_u32 v182, v14, 3, 4
	v_lshlrev_b32_e32 v183, 24, v14
	s_delay_alu instid0(VALU_DEP_2) | instskip(SKIP_1) | instid1(VALU_DEP_1)
	v_cmp_eq_u32_e32 vcc_lo, 0, v182
	v_and_b32_e32 v179, 7, v14
	v_clz_i32_u32_e32 v180, v179
	s_delay_alu instid0(VALU_DEP_1) | instskip(NEXT) | instid1(VALU_DEP_1)
	v_min_u32_e32 v180, 32, v180
	v_subrev_nc_u32_e32 v181, 28, v180
	v_sub_nc_u32_e32 v180, 29, v180
	s_delay_alu instid0(VALU_DEP_1) | instskip(NEXT) | instid1(VALU_DEP_1)
	v_dual_cndmask_b32 v180, v182, v180 :: v_dual_lshlrev_b32 v181, v181, v14
	v_and_b32_e32 v181, 7, v181
	s_delay_alu instid0(VALU_DEP_2) | instskip(NEXT) | instid1(VALU_DEP_2)
	v_lshl_add_u32 v180, v180, 23, 0x3b800000
	v_cndmask_b32_e32 v179, v179, v181, vcc_lo
	v_and_b32_e32 v181, 0x80000000, v183
	s_delay_alu instid0(VALU_DEP_2) | instskip(NEXT) | instid1(VALU_DEP_1)
	v_lshlrev_b32_e32 v179, 20, v179
	v_or3_b32 v179, v181, v180, v179
.LBB4_4275:                             ;   in Loop: Header=BB4_3574 Depth=3
	s_or_b32 exec_lo, exec_lo, s13
	v_and_b32_e32 v181, 0xff, v10
	s_mov_b32 s13, 0
	s_mov_b32 s31, exec_lo
                                        ; implicit-def: $sgpr17
	s_delay_alu instid0(VALU_DEP_1)
	v_cmpx_lt_i16_e64 0x7f, v181
	s_xor_b32 s31, exec_lo, s31
	s_cbranch_execnz .LBB4_4888
; %bb.4276:                             ;   in Loop: Header=BB4_3574 Depth=3
	s_or_saveexec_b32 s31, s31
	v_mov_b32_e32 v180, s17
	s_xor_b32 exec_lo, exec_lo, s31
	s_cbranch_execnz .LBB4_4891
.LBB4_4277:                             ;   in Loop: Header=BB4_3574 Depth=3
	s_or_b32 exec_lo, exec_lo, s31
	s_and_saveexec_b32 s17, s13
	s_cbranch_execz .LBB4_4279
.LBB4_4278:                             ;   in Loop: Header=BB4_3574 Depth=3
	v_bfe_u32 v183, v10, 3, 4
	v_lshlrev_b32_e32 v40, 24, v10
	s_delay_alu instid0(VALU_DEP_2) | instskip(SKIP_1) | instid1(VALU_DEP_1)
	v_cmp_eq_u32_e32 vcc_lo, 0, v183
	v_and_b32_e32 v180, 7, v10
	v_clz_i32_u32_e32 v181, v180
	s_delay_alu instid0(VALU_DEP_1) | instskip(NEXT) | instid1(VALU_DEP_1)
	v_min_u32_e32 v181, 32, v181
	v_subrev_nc_u32_e32 v182, 28, v181
	v_sub_nc_u32_e32 v181, 29, v181
	s_delay_alu instid0(VALU_DEP_1) | instskip(NEXT) | instid1(VALU_DEP_1)
	v_dual_cndmask_b32 v181, v183, v181 :: v_dual_lshlrev_b32 v182, v182, v10
	v_and_b32_e32 v182, 7, v182
	s_delay_alu instid0(VALU_DEP_2) | instskip(NEXT) | instid1(VALU_DEP_2)
	v_lshl_add_u32 v181, v181, 23, 0x3b800000
	v_cndmask_b32_e32 v180, v180, v182, vcc_lo
	v_and_b32_e32 v182, 0x80000000, v40
	s_delay_alu instid0(VALU_DEP_2) | instskip(NEXT) | instid1(VALU_DEP_1)
	v_lshlrev_b32_e32 v180, 20, v180
	v_or3_b32 v180, v182, v181, v180
.LBB4_4279:                             ;   in Loop: Header=BB4_3574 Depth=3
	s_or_b32 exec_lo, exec_lo, s17
	s_delay_alu instid0(VALU_DEP_1) | instskip(SKIP_1) | instid1(VALU_DEP_1)
	v_dual_max_f32 v180, v180, v180 :: v_dual_max_f32 v179, v179, v179
	s_mov_b32 s13, 0
	v_max_f32_e32 v179, v179, v180
	s_branch .LBB4_4281
.LBB4_4280:                             ;   in Loop: Header=BB4_3574 Depth=3
	s_mov_b32 s13, -1
                                        ; implicit-def: $vgpr179
.LBB4_4281:                             ;   in Loop: Header=BB4_3574 Depth=3
	s_delay_alu instid0(SALU_CYCLE_1)
	s_and_b32 vcc_lo, exec_lo, s13
	s_cbranch_vccz .LBB4_4291
; %bb.4282:                             ;   in Loop: Header=BB4_3574 Depth=3
	s_mov_b32 s13, 0
	s_mov_b32 s31, exec_lo
                                        ; implicit-def: $sgpr17
	v_cmpx_lt_i16_e32 0x7f, v13
	s_xor_b32 s31, exec_lo, s31
	s_cbranch_execnz .LBB4_4892
; %bb.4283:                             ;   in Loop: Header=BB4_3574 Depth=3
	s_or_saveexec_b32 s31, s31
	v_mov_b32_e32 v179, s17
	s_xor_b32 exec_lo, exec_lo, s31
	s_cbranch_execnz .LBB4_4895
.LBB4_4284:                             ;   in Loop: Header=BB4_3574 Depth=3
	s_or_b32 exec_lo, exec_lo, s31
	s_and_saveexec_b32 s17, s13
	s_cbranch_execz .LBB4_4286
.LBB4_4285:                             ;   in Loop: Header=BB4_3574 Depth=3
	v_and_b32_e32 v13, 7, v14
	v_bfe_u32 v181, v14, 3, 4
	s_delay_alu instid0(VALU_DEP_2) | instskip(NEXT) | instid1(VALU_DEP_2)
	v_clz_i32_u32_e32 v179, v13
	v_cmp_eq_u32_e32 vcc_lo, 0, v181
	s_delay_alu instid0(VALU_DEP_2) | instskip(NEXT) | instid1(VALU_DEP_1)
	v_min_u32_e32 v179, 32, v179
	v_subrev_nc_u32_e32 v180, 28, v179
	v_sub_nc_u32_e32 v179, 29, v179
	s_delay_alu instid0(VALU_DEP_1) | instskip(NEXT) | instid1(VALU_DEP_1)
	v_dual_cndmask_b32 v179, v181, v179 :: v_dual_lshlrev_b32 v180, v180, v14
	v_and_b32_e32 v180, 7, v180
	v_lshlrev_b32_e32 v182, 24, v14
	s_delay_alu instid0(VALU_DEP_3) | instskip(NEXT) | instid1(VALU_DEP_2)
	v_lshl_add_u32 v179, v179, 23, 0x3b800000
	v_dual_cndmask_b32 v13, v13, v180 :: v_dual_and_b32 v180, 0x80000000, v182
	s_delay_alu instid0(VALU_DEP_1) | instskip(NEXT) | instid1(VALU_DEP_1)
	v_lshlrev_b32_e32 v13, 20, v13
	v_or3_b32 v179, v180, v179, v13
.LBB4_4286:                             ;   in Loop: Header=BB4_3574 Depth=3
	s_or_b32 exec_lo, exec_lo, s17
	v_and_b32_e32 v180, 0xff, v10
	s_mov_b32 s13, 0
	s_mov_b32 s31, exec_lo
                                        ; implicit-def: $sgpr17
	s_delay_alu instid0(VALU_DEP_1)
	v_cmpx_lt_i16_e64 0x7f, v180
	s_xor_b32 s31, exec_lo, s31
	s_cbranch_execnz .LBB4_4896
; %bb.4287:                             ;   in Loop: Header=BB4_3574 Depth=3
	s_or_saveexec_b32 s31, s31
	v_mov_b32_e32 v13, s17
	s_xor_b32 exec_lo, exec_lo, s31
	s_cbranch_execnz .LBB4_4899
.LBB4_4288:                             ;   in Loop: Header=BB4_3574 Depth=3
	s_or_b32 exec_lo, exec_lo, s31
	s_and_saveexec_b32 s17, s13
	s_cbranch_execz .LBB4_4290
.LBB4_4289:                             ;   in Loop: Header=BB4_3574 Depth=3
	v_bfe_u32 v182, v10, 3, 4
	v_lshlrev_b32_e32 v183, 24, v10
	s_delay_alu instid0(VALU_DEP_2) | instskip(SKIP_1) | instid1(VALU_DEP_1)
	v_cmp_eq_u32_e32 vcc_lo, 0, v182
	v_and_b32_e32 v13, 7, v10
	v_clz_i32_u32_e32 v180, v13
	s_delay_alu instid0(VALU_DEP_1) | instskip(NEXT) | instid1(VALU_DEP_1)
	v_min_u32_e32 v180, 32, v180
	v_subrev_nc_u32_e32 v181, 28, v180
	v_sub_nc_u32_e32 v180, 29, v180
	s_delay_alu instid0(VALU_DEP_1) | instskip(NEXT) | instid1(VALU_DEP_1)
	v_dual_cndmask_b32 v180, v182, v180 :: v_dual_lshlrev_b32 v181, v181, v10
	v_and_b32_e32 v181, 7, v181
	s_delay_alu instid0(VALU_DEP_2) | instskip(NEXT) | instid1(VALU_DEP_2)
	v_lshl_add_u32 v180, v180, 23, 0x3b800000
	v_cndmask_b32_e32 v13, v13, v181, vcc_lo
	v_and_b32_e32 v181, 0x80000000, v183
	s_delay_alu instid0(VALU_DEP_2) | instskip(NEXT) | instid1(VALU_DEP_1)
	v_lshlrev_b32_e32 v13, 20, v13
	v_or3_b32 v13, v181, v180, v13
.LBB4_4290:                             ;   in Loop: Header=BB4_3574 Depth=3
	s_or_b32 exec_lo, exec_lo, s17
	s_delay_alu instid0(VALU_DEP_1) | instskip(SKIP_1) | instid1(VALU_DEP_1)
	v_max_f32_e32 v13, v13, v13
	v_max_f32_e32 v179, v179, v179
	v_min_f32_e32 v179, v179, v13
.LBB4_4291:                             ;   in Loop: Header=BB4_3574 Depth=3
	s_delay_alu instid0(VALU_DEP_1) | instskip(NEXT) | instid1(VALU_DEP_1)
	v_and_b32_e32 v13, 0x7f800000, v179
	v_cmp_ne_u32_e32 vcc_lo, 0x7f800000, v13
	v_mov_b32_e32 v13, 0x80
	s_and_saveexec_b32 s17, vcc_lo
	s_cbranch_execz .LBB4_4299
; %bb.4292:                             ;   in Loop: Header=BB4_3574 Depth=3
	v_mov_b32_e32 v13, 0
	s_mov_b32 s31, exec_lo
	v_cmpx_ne_u32_e32 0, v179
	s_cbranch_execz .LBB4_4298
; %bb.4293:                             ;   in Loop: Header=BB4_3574 Depth=3
	v_bfe_u32 v13, v179, 23, 8
	s_delay_alu instid0(VALU_DEP_1) | instskip(SKIP_1) | instid1(VALU_DEP_2)
	v_sub_nc_u32_e32 v181, 0x78, v13
	v_cmp_gt_u32_e32 vcc_lo, 0x79, v13
	v_dual_cndmask_b32 v181, 0, v181 :: v_dual_and_b32 v180, 0x7fffff, v179
	s_delay_alu instid0(VALU_DEP_1) | instskip(SKIP_2) | instid1(VALU_DEP_4)
	v_or_b32_e32 v182, 0x800000, v180
	v_cmp_eq_u32_e32 vcc_lo, 0, v13
	v_add_nc_u32_e32 v13, 0xffffff89, v13
	v_cndmask_b32_e64 v181, v181, 0x77, vcc_lo
	s_delay_alu instid0(VALU_DEP_4) | instskip(NEXT) | instid1(VALU_DEP_3)
	v_cndmask_b32_e32 v180, v182, v180, vcc_lo
	v_cndmask_b32_e64 v13, v13, 0xffffff8a, vcc_lo
	s_delay_alu instid0(VALU_DEP_3) | instskip(NEXT) | instid1(VALU_DEP_3)
	v_lshl_add_u32 v182, 0x100000, v181, -1
	v_lshrrev_b32_e32 v183, v181, v180
	v_lshlrev_b32_e64 v41, v181, 0x80000
	s_delay_alu instid0(VALU_DEP_4) | instskip(NEXT) | instid1(VALU_DEP_4)
	v_add_nc_u32_e32 v181, v181, v13
	v_and_b32_e32 v180, v182, v180
	s_delay_alu instid0(VALU_DEP_4) | instskip(NEXT) | instid1(VALU_DEP_2)
	v_bfe_u32 v40, v183, 20, 1
	v_cmp_eq_u32_e64 s13, v180, v41
	s_delay_alu instid0(VALU_DEP_2) | instskip(NEXT) | instid1(VALU_DEP_1)
	v_add_nc_u32_e32 v182, -1, v40
	v_cndmask_b32_e64 v180, 0, v182, s13
	v_lshrrev_b32_e32 v182, 23, v183
	s_mov_b32 s13, exec_lo
	s_delay_alu instid0(VALU_DEP_2) | instskip(NEXT) | instid1(VALU_DEP_2)
	v_add_nc_u32_e32 v180, v180, v183
	v_xor_b32_e32 v182, 1, v182
	s_delay_alu instid0(VALU_DEP_2) | instskip(NEXT) | instid1(VALU_DEP_1)
	v_and_b32_e32 v13, 0xfffff, v180
	v_add_nc_u32_e32 v180, v13, v183
                                        ; implicit-def: $vgpr13
	s_delay_alu instid0(VALU_DEP_3)
	v_cmpx_ne_u32_e64 v181, v182
	s_xor_b32 s13, exec_lo, s13
; %bb.4294:                             ;   in Loop: Header=BB4_3574 Depth=3
	s_delay_alu instid0(VALU_DEP_2) | instskip(SKIP_2) | instid1(VALU_DEP_2)
	v_cmp_lt_u32_e32 vcc_lo, 0xffffff, v180
	v_sub_nc_u32_e32 v13, v181, v182
	v_cndmask_b32_e64 v181, 0, 1, vcc_lo
	v_add_co_ci_u32_e32 v13, vcc_lo, 0, v13, vcc_lo
	s_delay_alu instid0(VALU_DEP_2)
	v_lshrrev_b32_e32 v180, v181, v180
; %bb.4295:                             ;   in Loop: Header=BB4_3574 Depth=3
	s_and_not1_saveexec_b32 s13, s13
; %bb.4296:                             ;   in Loop: Header=BB4_3574 Depth=3
	s_delay_alu instid0(VALU_DEP_1)
	v_bfe_u32 v13, v180, 23, 1
; %bb.4297:                             ;   in Loop: Header=BB4_3574 Depth=3
	s_or_b32 exec_lo, exec_lo, s13
	v_lshrrev_b32_e32 v180, 20, v180
	s_delay_alu instid0(VALU_DEP_2) | instskip(SKIP_2) | instid1(VALU_DEP_2)
	v_cmp_gt_i32_e32 vcc_lo, 16, v13
	v_lshrrev_b32_e32 v179, 24, v179
	v_min_i32_e32 v181, 15, v13
	v_dual_cndmask_b32 v180, 7, v180 :: v_dual_and_b32 v179, 0x80, v179
	s_delay_alu instid0(VALU_DEP_2) | instskip(NEXT) | instid1(VALU_DEP_2)
	v_lshlrev_b32_e32 v181, 3, v181
	v_or_b32_e32 v13, v13, v180
	s_delay_alu instid0(VALU_DEP_1) | instskip(SKIP_1) | instid1(VALU_DEP_1)
	v_cmp_ne_u32_e32 vcc_lo, 0, v13
	v_and_b32_e32 v182, 7, v180
	v_or3_b32 v179, v181, v179, v182
	s_delay_alu instid0(VALU_DEP_1)
	v_cndmask_b32_e32 v13, 0, v179, vcc_lo
.LBB4_4298:                             ;   in Loop: Header=BB4_3574 Depth=3
	s_or_b32 exec_lo, exec_lo, s31
.LBB4_4299:                             ;   in Loop: Header=BB4_3574 Depth=3
	s_delay_alu instid0(SALU_CYCLE_1) | instskip(SKIP_3) | instid1(VALU_DEP_2)
	s_or_b32 exec_lo, exec_lo, s17
	v_lshrrev_b16 v180, 8, v14
	v_lshrrev_b16 v179, 8, v10
	s_and_not1_b32 vcc_lo, exec_lo, s16
	v_cmp_lt_i16_e64 s13, 0x7f, v180
	s_cbranch_vccnz .LBB4_4309
; %bb.4300:                             ;   in Loop: Header=BB4_3574 Depth=3
	s_mov_b32 s17, 0
                                        ; implicit-def: $sgpr31
	s_delay_alu instid0(VALU_DEP_1) | instskip(NEXT) | instid1(SALU_CYCLE_1)
	s_and_saveexec_b32 vcc_lo, s13
	s_xor_b32 s13, exec_lo, vcc_lo
	s_cbranch_execnz .LBB4_4900
; %bb.4301:                             ;   in Loop: Header=BB4_3574 Depth=3
	s_or_saveexec_b32 s13, s13
	v_mov_b32_e32 v181, s31
	s_xor_b32 exec_lo, exec_lo, s13
	s_cbranch_execnz .LBB4_4903
.LBB4_4302:                             ;   in Loop: Header=BB4_3574 Depth=3
	s_or_b32 exec_lo, exec_lo, s13
	s_and_saveexec_b32 s13, s17
	s_cbranch_execz .LBB4_4304
.LBB4_4303:                             ;   in Loop: Header=BB4_3574 Depth=3
	v_and_b32_e32 v181, 0xffff, v180
	s_delay_alu instid0(VALU_DEP_1) | instskip(NEXT) | instid1(VALU_DEP_1)
	v_and_b32_e32 v182, 7, v181
	v_clz_i32_u32_e32 v183, v182
	s_delay_alu instid0(VALU_DEP_1) | instskip(NEXT) | instid1(VALU_DEP_1)
	v_min_u32_e32 v183, 32, v183
	v_subrev_nc_u32_e32 v40, 28, v183
	v_sub_nc_u32_e32 v183, 29, v183
	s_delay_alu instid0(VALU_DEP_2) | instskip(SKIP_1) | instid1(VALU_DEP_2)
	v_lshlrev_b32_e32 v40, v40, v181
	v_bfe_u32 v181, v181, 3, 4
	v_and_b32_e32 v40, 7, v40
	s_delay_alu instid0(VALU_DEP_2) | instskip(SKIP_1) | instid1(VALU_DEP_3)
	v_cmp_eq_u32_e32 vcc_lo, 0, v181
	v_cndmask_b32_e32 v181, v181, v183, vcc_lo
	v_dual_cndmask_b32 v182, v182, v40 :: v_dual_lshlrev_b32 v41, 16, v14
	s_delay_alu instid0(VALU_DEP_2) | instskip(NEXT) | instid1(VALU_DEP_2)
	v_lshl_add_u32 v181, v181, 23, 0x3b800000
	v_and_b32_e32 v183, 0x80000000, v41
	s_delay_alu instid0(VALU_DEP_3) | instskip(NEXT) | instid1(VALU_DEP_1)
	v_lshlrev_b32_e32 v182, 20, v182
	v_or3_b32 v181, v183, v181, v182
.LBB4_4304:                             ;   in Loop: Header=BB4_3574 Depth=3
	s_or_b32 exec_lo, exec_lo, s13
	s_mov_b32 s13, 0
	s_mov_b32 s31, exec_lo
                                        ; implicit-def: $sgpr17
	v_cmpx_lt_i16_e64 0x7f, v179
	s_xor_b32 s31, exec_lo, s31
	s_cbranch_execnz .LBB4_4904
; %bb.4305:                             ;   in Loop: Header=BB4_3574 Depth=3
	s_or_saveexec_b32 s31, s31
	v_mov_b32_e32 v182, s17
	s_xor_b32 exec_lo, exec_lo, s31
	s_cbranch_execnz .LBB4_4907
.LBB4_4306:                             ;   in Loop: Header=BB4_3574 Depth=3
	s_or_b32 exec_lo, exec_lo, s31
	s_and_saveexec_b32 s17, s13
	s_cbranch_execz .LBB4_4308
.LBB4_4307:                             ;   in Loop: Header=BB4_3574 Depth=3
	v_and_b32_e32 v182, 0xffff, v179
	v_lshlrev_b32_e32 v42, 16, v10
	s_delay_alu instid0(VALU_DEP_2) | instskip(NEXT) | instid1(VALU_DEP_1)
	v_and_b32_e32 v183, 7, v182
	v_clz_i32_u32_e32 v40, v183
	s_delay_alu instid0(VALU_DEP_1) | instskip(NEXT) | instid1(VALU_DEP_1)
	v_min_u32_e32 v40, 32, v40
	v_subrev_nc_u32_e32 v41, 28, v40
	v_sub_nc_u32_e32 v40, 29, v40
	s_delay_alu instid0(VALU_DEP_2) | instskip(SKIP_1) | instid1(VALU_DEP_2)
	v_lshlrev_b32_e32 v41, v41, v182
	v_bfe_u32 v182, v182, 3, 4
	v_and_b32_e32 v41, 7, v41
	s_delay_alu instid0(VALU_DEP_2) | instskip(NEXT) | instid1(VALU_DEP_2)
	v_cmp_eq_u32_e32 vcc_lo, 0, v182
	v_dual_cndmask_b32 v182, v182, v40 :: v_dual_cndmask_b32 v183, v183, v41
	v_and_b32_e32 v40, 0x80000000, v42
	s_delay_alu instid0(VALU_DEP_2) | instskip(NEXT) | instid1(VALU_DEP_3)
	v_lshl_add_u32 v182, v182, 23, 0x3b800000
	v_lshlrev_b32_e32 v183, 20, v183
	s_delay_alu instid0(VALU_DEP_1)
	v_or3_b32 v182, v40, v182, v183
.LBB4_4308:                             ;   in Loop: Header=BB4_3574 Depth=3
	s_or_b32 exec_lo, exec_lo, s17
	s_delay_alu instid0(VALU_DEP_1) | instskip(SKIP_1) | instid1(VALU_DEP_1)
	v_dual_max_f32 v182, v182, v182 :: v_dual_max_f32 v181, v181, v181
	s_mov_b32 s13, 0
	v_max_f32_e32 v181, v181, v182
	s_branch .LBB4_4310
.LBB4_4309:                             ;   in Loop: Header=BB4_3574 Depth=3
	s_mov_b32 s13, -1
                                        ; implicit-def: $vgpr181
.LBB4_4310:                             ;   in Loop: Header=BB4_3574 Depth=3
	s_delay_alu instid0(SALU_CYCLE_1)
	s_and_b32 vcc_lo, exec_lo, s13
	s_cbranch_vccz .LBB4_4320
; %bb.4311:                             ;   in Loop: Header=BB4_3574 Depth=3
	s_mov_b32 s13, 0
	s_mov_b32 s31, exec_lo
                                        ; implicit-def: $sgpr17
	v_cmpx_lt_i16_e64 0x7f, v180
	s_xor_b32 s31, exec_lo, s31
	s_cbranch_execnz .LBB4_4908
; %bb.4312:                             ;   in Loop: Header=BB4_3574 Depth=3
	s_or_saveexec_b32 s31, s31
	v_mov_b32_e32 v181, s17
	s_xor_b32 exec_lo, exec_lo, s31
	s_cbranch_execnz .LBB4_4911
.LBB4_4313:                             ;   in Loop: Header=BB4_3574 Depth=3
	s_or_b32 exec_lo, exec_lo, s31
	s_and_saveexec_b32 s17, s13
	s_cbranch_execz .LBB4_4315
.LBB4_4314:                             ;   in Loop: Header=BB4_3574 Depth=3
	v_and_b32_e32 v180, 0xffff, v180
	v_lshlrev_b32_e32 v40, 16, v14
	s_delay_alu instid0(VALU_DEP_2) | instskip(NEXT) | instid1(VALU_DEP_1)
	v_and_b32_e32 v181, 7, v180
	v_clz_i32_u32_e32 v182, v181
	s_delay_alu instid0(VALU_DEP_1) | instskip(NEXT) | instid1(VALU_DEP_1)
	v_min_u32_e32 v182, 32, v182
	v_subrev_nc_u32_e32 v183, 28, v182
	v_sub_nc_u32_e32 v182, 29, v182
	s_delay_alu instid0(VALU_DEP_2) | instskip(SKIP_1) | instid1(VALU_DEP_2)
	v_lshlrev_b32_e32 v183, v183, v180
	v_bfe_u32 v180, v180, 3, 4
	v_and_b32_e32 v183, 7, v183
	s_delay_alu instid0(VALU_DEP_2) | instskip(NEXT) | instid1(VALU_DEP_2)
	v_cmp_eq_u32_e32 vcc_lo, 0, v180
	v_dual_cndmask_b32 v180, v180, v182 :: v_dual_cndmask_b32 v181, v181, v183
	v_and_b32_e32 v182, 0x80000000, v40
	s_delay_alu instid0(VALU_DEP_2) | instskip(NEXT) | instid1(VALU_DEP_3)
	v_lshl_add_u32 v180, v180, 23, 0x3b800000
	v_lshlrev_b32_e32 v181, 20, v181
	s_delay_alu instid0(VALU_DEP_1)
	v_or3_b32 v181, v182, v180, v181
.LBB4_4315:                             ;   in Loop: Header=BB4_3574 Depth=3
	s_or_b32 exec_lo, exec_lo, s17
	s_mov_b32 s13, 0
	s_mov_b32 s31, exec_lo
                                        ; implicit-def: $sgpr17
	v_cmpx_lt_i16_e64 0x7f, v179
	s_xor_b32 s31, exec_lo, s31
	s_cbranch_execnz .LBB4_4912
; %bb.4316:                             ;   in Loop: Header=BB4_3574 Depth=3
	s_or_saveexec_b32 s31, s31
	v_mov_b32_e32 v180, s17
	s_xor_b32 exec_lo, exec_lo, s31
	s_cbranch_execnz .LBB4_4915
.LBB4_4317:                             ;   in Loop: Header=BB4_3574 Depth=3
	s_or_b32 exec_lo, exec_lo, s31
	s_and_saveexec_b32 s17, s13
	s_cbranch_execz .LBB4_4319
.LBB4_4318:                             ;   in Loop: Header=BB4_3574 Depth=3
	v_and_b32_e32 v179, 0xffff, v179
	v_lshlrev_b32_e32 v40, 16, v10
	s_delay_alu instid0(VALU_DEP_2) | instskip(NEXT) | instid1(VALU_DEP_1)
	v_and_b32_e32 v180, 7, v179
	v_clz_i32_u32_e32 v182, v180
	s_delay_alu instid0(VALU_DEP_1) | instskip(NEXT) | instid1(VALU_DEP_1)
	v_min_u32_e32 v182, 32, v182
	v_subrev_nc_u32_e32 v183, 28, v182
	v_sub_nc_u32_e32 v182, 29, v182
	s_delay_alu instid0(VALU_DEP_2) | instskip(SKIP_1) | instid1(VALU_DEP_2)
	v_lshlrev_b32_e32 v183, v183, v179
	v_bfe_u32 v179, v179, 3, 4
	v_and_b32_e32 v183, 7, v183
	s_delay_alu instid0(VALU_DEP_2) | instskip(NEXT) | instid1(VALU_DEP_2)
	v_cmp_eq_u32_e32 vcc_lo, 0, v179
	v_dual_cndmask_b32 v179, v179, v182 :: v_dual_cndmask_b32 v180, v180, v183
	v_and_b32_e32 v182, 0x80000000, v40
	s_delay_alu instid0(VALU_DEP_2) | instskip(NEXT) | instid1(VALU_DEP_3)
	v_lshl_add_u32 v179, v179, 23, 0x3b800000
	v_lshlrev_b32_e32 v180, 20, v180
	s_delay_alu instid0(VALU_DEP_1)
	v_or3_b32 v180, v182, v179, v180
.LBB4_4319:                             ;   in Loop: Header=BB4_3574 Depth=3
	s_or_b32 exec_lo, exec_lo, s17
	s_delay_alu instid0(VALU_DEP_1) | instskip(NEXT) | instid1(VALU_DEP_1)
	v_dual_max_f32 v179, v180, v180 :: v_dual_max_f32 v180, v181, v181
	v_min_f32_e32 v181, v180, v179
.LBB4_4320:                             ;   in Loop: Header=BB4_3574 Depth=3
	s_delay_alu instid0(VALU_DEP_1) | instskip(NEXT) | instid1(VALU_DEP_1)
	v_and_b32_e32 v179, 0x7f800000, v181
	v_cmp_ne_u32_e32 vcc_lo, 0x7f800000, v179
	v_mov_b32_e32 v179, 0x80
	s_and_saveexec_b32 s17, vcc_lo
	s_cbranch_execz .LBB4_4328
; %bb.4321:                             ;   in Loop: Header=BB4_3574 Depth=3
	v_mov_b32_e32 v179, 0
	s_mov_b32 s31, exec_lo
	v_cmpx_ne_u32_e32 0, v181
	s_cbranch_execz .LBB4_4327
; %bb.4322:                             ;   in Loop: Header=BB4_3574 Depth=3
	v_bfe_u32 v179, v181, 23, 8
	v_and_b32_e32 v180, 0x7fffff, v181
	s_delay_alu instid0(VALU_DEP_2) | instskip(SKIP_1) | instid1(VALU_DEP_3)
	v_sub_nc_u32_e32 v182, 0x78, v179
	v_cmp_gt_u32_e32 vcc_lo, 0x79, v179
	v_or_b32_e32 v183, 0x800000, v180
	s_delay_alu instid0(VALU_DEP_3) | instskip(SKIP_2) | instid1(VALU_DEP_3)
	v_cndmask_b32_e32 v182, 0, v182, vcc_lo
	v_cmp_eq_u32_e32 vcc_lo, 0, v179
	v_add_nc_u32_e32 v179, 0xffffff89, v179
	v_cndmask_b32_e64 v182, v182, 0x77, vcc_lo
	v_cndmask_b32_e32 v180, v183, v180, vcc_lo
	s_delay_alu instid0(VALU_DEP_3) | instskip(NEXT) | instid1(VALU_DEP_3)
	v_cndmask_b32_e64 v179, v179, 0xffffff8a, vcc_lo
	v_lshl_add_u32 v183, 0x100000, v182, -1
	s_delay_alu instid0(VALU_DEP_3) | instskip(SKIP_1) | instid1(VALU_DEP_4)
	v_lshrrev_b32_e32 v40, v182, v180
	v_lshlrev_b32_e64 v42, v182, 0x80000
	v_add_nc_u32_e32 v182, v182, v179
	s_delay_alu instid0(VALU_DEP_4) | instskip(NEXT) | instid1(VALU_DEP_4)
	v_and_b32_e32 v180, v183, v180
	v_bfe_u32 v41, v40, 20, 1
	s_delay_alu instid0(VALU_DEP_2) | instskip(NEXT) | instid1(VALU_DEP_2)
	v_cmp_eq_u32_e64 s13, v180, v42
	v_add_nc_u32_e32 v183, -1, v41
	s_delay_alu instid0(VALU_DEP_1) | instskip(SKIP_2) | instid1(VALU_DEP_2)
	v_cndmask_b32_e64 v180, 0, v183, s13
	v_lshrrev_b32_e32 v183, 23, v40
	s_mov_b32 s13, exec_lo
	v_add_nc_u32_e32 v180, v180, v40
	s_delay_alu instid0(VALU_DEP_2) | instskip(NEXT) | instid1(VALU_DEP_2)
	v_xor_b32_e32 v183, 1, v183
	v_and_b32_e32 v179, 0xfffff, v180
	s_delay_alu instid0(VALU_DEP_1) | instskip(NEXT) | instid1(VALU_DEP_3)
	v_add_nc_u32_e32 v180, v179, v40
                                        ; implicit-def: $vgpr179
	v_cmpx_ne_u32_e64 v182, v183
	s_xor_b32 s13, exec_lo, s13
; %bb.4323:                             ;   in Loop: Header=BB4_3574 Depth=3
	s_delay_alu instid0(VALU_DEP_2) | instskip(SKIP_2) | instid1(VALU_DEP_2)
	v_cmp_lt_u32_e32 vcc_lo, 0xffffff, v180
	v_sub_nc_u32_e32 v179, v182, v183
	v_cndmask_b32_e64 v182, 0, 1, vcc_lo
	v_add_co_ci_u32_e32 v179, vcc_lo, 0, v179, vcc_lo
	s_delay_alu instid0(VALU_DEP_2)
	v_lshrrev_b32_e32 v180, v182, v180
; %bb.4324:                             ;   in Loop: Header=BB4_3574 Depth=3
	s_and_not1_saveexec_b32 s13, s13
; %bb.4325:                             ;   in Loop: Header=BB4_3574 Depth=3
	s_delay_alu instid0(VALU_DEP_1)
	v_bfe_u32 v179, v180, 23, 1
; %bb.4326:                             ;   in Loop: Header=BB4_3574 Depth=3
	s_or_b32 exec_lo, exec_lo, s13
	v_lshrrev_b32_e32 v180, 20, v180
	s_delay_alu instid0(VALU_DEP_2) | instskip(SKIP_2) | instid1(VALU_DEP_2)
	v_cmp_gt_i32_e32 vcc_lo, 16, v179
	v_lshrrev_b32_e32 v181, 24, v181
	v_min_i32_e32 v182, 15, v179
	v_dual_cndmask_b32 v180, 7, v180 :: v_dual_and_b32 v181, 0x80, v181
	s_delay_alu instid0(VALU_DEP_1) | instskip(SKIP_1) | instid1(VALU_DEP_2)
	v_or_b32_e32 v179, v179, v180
	v_and_b32_e32 v183, 7, v180
	v_cmp_ne_u32_e32 vcc_lo, 0, v179
	v_lshlrev_b32_e32 v182, 3, v182
	s_delay_alu instid0(VALU_DEP_1) | instskip(NEXT) | instid1(VALU_DEP_1)
	v_or3_b32 v180, v182, v181, v183
	v_cndmask_b32_e32 v179, 0, v180, vcc_lo
.LBB4_4327:                             ;   in Loop: Header=BB4_3574 Depth=3
	s_or_b32 exec_lo, exec_lo, s31
.LBB4_4328:                             ;   in Loop: Header=BB4_3574 Depth=3
	s_delay_alu instid0(SALU_CYCLE_1) | instskip(SKIP_3) | instid1(VALU_DEP_2)
	s_or_b32 exec_lo, exec_lo, s17
	v_lshrrev_b32_e32 v181, 16, v14
	v_lshrrev_b32_e32 v180, 16, v10
	s_and_not1_b32 vcc_lo, exec_lo, s16
	v_and_b32_e32 v182, 0xff, v181
	s_delay_alu instid0(VALU_DEP_1)
	v_cmp_lt_i16_e64 s13, 0x7f, v182
	s_cbranch_vccnz .LBB4_4338
; %bb.4329:                             ;   in Loop: Header=BB4_3574 Depth=3
	s_mov_b32 s17, 0
                                        ; implicit-def: $sgpr31
	s_delay_alu instid0(VALU_DEP_1) | instskip(NEXT) | instid1(SALU_CYCLE_1)
	s_and_saveexec_b32 vcc_lo, s13
	s_xor_b32 s13, exec_lo, vcc_lo
	s_cbranch_execnz .LBB4_4916
; %bb.4330:                             ;   in Loop: Header=BB4_3574 Depth=3
	s_or_saveexec_b32 s13, s13
	v_mov_b32_e32 v183, s31
	s_xor_b32 exec_lo, exec_lo, s13
	s_cbranch_execnz .LBB4_4919
.LBB4_4331:                             ;   in Loop: Header=BB4_3574 Depth=3
	s_or_b32 exec_lo, exec_lo, s13
	s_and_saveexec_b32 s13, s17
	s_cbranch_execz .LBB4_4333
.LBB4_4332:                             ;   in Loop: Header=BB4_3574 Depth=3
	v_bfe_u32 v183, v14, 16, 3
	v_bfe_u32 v42, v14, 19, 4
	v_lshlrev_b32_e32 v43, 24, v181
	s_delay_alu instid0(VALU_DEP_3) | instskip(NEXT) | instid1(VALU_DEP_3)
	v_clz_i32_u32_e32 v40, v183
	v_cmp_eq_u32_e32 vcc_lo, 0, v42
	s_delay_alu instid0(VALU_DEP_2) | instskip(NEXT) | instid1(VALU_DEP_1)
	v_min_u32_e32 v40, 32, v40
	v_subrev_nc_u32_e32 v41, 28, v40
	v_sub_nc_u32_e32 v40, 29, v40
	s_delay_alu instid0(VALU_DEP_1) | instskip(NEXT) | instid1(VALU_DEP_1)
	v_dual_cndmask_b32 v40, v42, v40 :: v_dual_lshlrev_b32 v41, v41, v181
	v_and_b32_e32 v41, 7, v41
	s_delay_alu instid0(VALU_DEP_2) | instskip(NEXT) | instid1(VALU_DEP_2)
	v_lshl_add_u32 v40, v40, 23, 0x3b800000
	v_cndmask_b32_e32 v183, v183, v41, vcc_lo
	v_and_b32_e32 v41, 0x80000000, v43
	s_delay_alu instid0(VALU_DEP_2) | instskip(NEXT) | instid1(VALU_DEP_1)
	v_lshlrev_b32_e32 v183, 20, v183
	v_or3_b32 v183, v41, v40, v183
.LBB4_4333:                             ;   in Loop: Header=BB4_3574 Depth=3
	s_or_b32 exec_lo, exec_lo, s13
	v_and_b32_e32 v41, 0xff, v180
	s_mov_b32 s13, 0
	s_mov_b32 s31, exec_lo
                                        ; implicit-def: $sgpr17
	s_delay_alu instid0(VALU_DEP_1)
	v_cmpx_lt_i16_e32 0x7f, v41
	s_xor_b32 s31, exec_lo, s31
	s_cbranch_execnz .LBB4_4920
; %bb.4334:                             ;   in Loop: Header=BB4_3574 Depth=3
	s_or_saveexec_b32 s31, s31
	v_mov_b32_e32 v40, s17
	s_xor_b32 exec_lo, exec_lo, s31
	s_cbranch_execnz .LBB4_4923
.LBB4_4335:                             ;   in Loop: Header=BB4_3574 Depth=3
	s_or_b32 exec_lo, exec_lo, s31
	s_and_saveexec_b32 s17, s13
	s_cbranch_execz .LBB4_4337
.LBB4_4336:                             ;   in Loop: Header=BB4_3574 Depth=3
	v_bfe_u32 v40, v10, 16, 3
	v_bfe_u32 v43, v10, 19, 4
	v_lshlrev_b32_e32 v44, 24, v180
	s_delay_alu instid0(VALU_DEP_3) | instskip(NEXT) | instid1(VALU_DEP_3)
	v_clz_i32_u32_e32 v41, v40
	v_cmp_eq_u32_e32 vcc_lo, 0, v43
	s_delay_alu instid0(VALU_DEP_2) | instskip(NEXT) | instid1(VALU_DEP_1)
	v_min_u32_e32 v41, 32, v41
	v_subrev_nc_u32_e32 v42, 28, v41
	v_sub_nc_u32_e32 v41, 29, v41
	s_delay_alu instid0(VALU_DEP_1) | instskip(NEXT) | instid1(VALU_DEP_1)
	v_dual_cndmask_b32 v41, v43, v41 :: v_dual_lshlrev_b32 v42, v42, v180
	v_and_b32_e32 v42, 7, v42
	s_delay_alu instid0(VALU_DEP_2) | instskip(NEXT) | instid1(VALU_DEP_2)
	v_lshl_add_u32 v41, v41, 23, 0x3b800000
	v_cndmask_b32_e32 v40, v40, v42, vcc_lo
	v_and_b32_e32 v42, 0x80000000, v44
	s_delay_alu instid0(VALU_DEP_2) | instskip(NEXT) | instid1(VALU_DEP_1)
	v_lshlrev_b32_e32 v40, 20, v40
	v_or3_b32 v40, v42, v41, v40
.LBB4_4337:                             ;   in Loop: Header=BB4_3574 Depth=3
	s_or_b32 exec_lo, exec_lo, s17
	s_delay_alu instid0(VALU_DEP_1) | instskip(SKIP_1) | instid1(VALU_DEP_1)
	v_dual_max_f32 v40, v40, v40 :: v_dual_max_f32 v183, v183, v183
	s_mov_b32 s13, 0
	v_max_f32_e32 v183, v183, v40
	s_branch .LBB4_4339
.LBB4_4338:                             ;   in Loop: Header=BB4_3574 Depth=3
	s_mov_b32 s13, -1
                                        ; implicit-def: $vgpr183
.LBB4_4339:                             ;   in Loop: Header=BB4_3574 Depth=3
	s_delay_alu instid0(SALU_CYCLE_1)
	s_and_b32 vcc_lo, exec_lo, s13
	s_cbranch_vccz .LBB4_4349
; %bb.4340:                             ;   in Loop: Header=BB4_3574 Depth=3
	s_mov_b32 s13, 0
	s_mov_b32 s31, exec_lo
                                        ; implicit-def: $sgpr17
	v_cmpx_lt_i16_e64 0x7f, v182
	s_xor_b32 s31, exec_lo, s31
	s_cbranch_execnz .LBB4_4924
; %bb.4341:                             ;   in Loop: Header=BB4_3574 Depth=3
	s_or_saveexec_b32 s31, s31
	v_mov_b32_e32 v183, s17
	s_xor_b32 exec_lo, exec_lo, s31
	s_cbranch_execnz .LBB4_4927
.LBB4_4342:                             ;   in Loop: Header=BB4_3574 Depth=3
	s_or_b32 exec_lo, exec_lo, s31
	s_and_saveexec_b32 s17, s13
	s_cbranch_execz .LBB4_4344
.LBB4_4343:                             ;   in Loop: Header=BB4_3574 Depth=3
	v_bfe_u32 v182, v14, 16, 3
	v_bfe_u32 v41, v14, 19, 4
	s_delay_alu instid0(VALU_DEP_2) | instskip(NEXT) | instid1(VALU_DEP_2)
	v_clz_i32_u32_e32 v183, v182
	v_cmp_eq_u32_e32 vcc_lo, 0, v41
	s_delay_alu instid0(VALU_DEP_2) | instskip(NEXT) | instid1(VALU_DEP_1)
	v_min_u32_e32 v183, 32, v183
	v_subrev_nc_u32_e32 v40, 28, v183
	v_sub_nc_u32_e32 v183, 29, v183
	s_delay_alu instid0(VALU_DEP_1) | instskip(NEXT) | instid1(VALU_DEP_1)
	v_dual_cndmask_b32 v183, v41, v183 :: v_dual_lshlrev_b32 v40, v40, v181
	v_and_b32_e32 v40, 7, v40
	v_lshlrev_b32_e32 v181, 24, v181
	s_delay_alu instid0(VALU_DEP_3) | instskip(NEXT) | instid1(VALU_DEP_2)
	v_lshl_add_u32 v183, v183, 23, 0x3b800000
	v_dual_cndmask_b32 v182, v182, v40 :: v_dual_and_b32 v181, 0x80000000, v181
	s_delay_alu instid0(VALU_DEP_1) | instskip(NEXT) | instid1(VALU_DEP_1)
	v_lshlrev_b32_e32 v182, 20, v182
	v_or3_b32 v183, v181, v183, v182
.LBB4_4344:                             ;   in Loop: Header=BB4_3574 Depth=3
	s_or_b32 exec_lo, exec_lo, s17
	v_and_b32_e32 v182, 0xff, v180
	s_mov_b32 s13, 0
	s_mov_b32 s31, exec_lo
                                        ; implicit-def: $sgpr17
	s_delay_alu instid0(VALU_DEP_1)
	v_cmpx_lt_i16_e64 0x7f, v182
	s_xor_b32 s31, exec_lo, s31
	s_cbranch_execnz .LBB4_4928
; %bb.4345:                             ;   in Loop: Header=BB4_3574 Depth=3
	s_or_saveexec_b32 s31, s31
	v_mov_b32_e32 v181, s17
	s_xor_b32 exec_lo, exec_lo, s31
	s_cbranch_execnz .LBB4_4931
.LBB4_4346:                             ;   in Loop: Header=BB4_3574 Depth=3
	s_or_b32 exec_lo, exec_lo, s31
	s_and_saveexec_b32 s17, s13
	s_cbranch_execz .LBB4_4348
.LBB4_4347:                             ;   in Loop: Header=BB4_3574 Depth=3
	v_bfe_u32 v181, v10, 16, 3
	v_bfe_u32 v41, v10, 19, 4
	s_delay_alu instid0(VALU_DEP_2) | instskip(NEXT) | instid1(VALU_DEP_2)
	v_clz_i32_u32_e32 v182, v181
	v_cmp_eq_u32_e32 vcc_lo, 0, v41
	s_delay_alu instid0(VALU_DEP_2) | instskip(NEXT) | instid1(VALU_DEP_1)
	v_min_u32_e32 v182, 32, v182
	v_subrev_nc_u32_e32 v40, 28, v182
	v_sub_nc_u32_e32 v182, 29, v182
	s_delay_alu instid0(VALU_DEP_2) | instskip(SKIP_1) | instid1(VALU_DEP_2)
	v_lshlrev_b32_e32 v40, v40, v180
	v_lshlrev_b32_e32 v180, 24, v180
	v_and_b32_e32 v40, 7, v40
	s_delay_alu instid0(VALU_DEP_2) | instskip(NEXT) | instid1(VALU_DEP_2)
	v_and_b32_e32 v180, 0x80000000, v180
	v_cndmask_b32_e32 v181, v181, v40, vcc_lo
	s_delay_alu instid0(VALU_DEP_1) | instskip(NEXT) | instid1(VALU_DEP_1)
	v_dual_cndmask_b32 v182, v41, v182 :: v_dual_lshlrev_b32 v181, 20, v181
	v_lshl_add_u32 v182, v182, 23, 0x3b800000
	s_delay_alu instid0(VALU_DEP_1)
	v_or3_b32 v181, v180, v182, v181
.LBB4_4348:                             ;   in Loop: Header=BB4_3574 Depth=3
	s_or_b32 exec_lo, exec_lo, s17
	s_delay_alu instid0(VALU_DEP_1) | instskip(NEXT) | instid1(VALU_DEP_1)
	v_dual_max_f32 v180, v181, v181 :: v_dual_max_f32 v181, v183, v183
	v_min_f32_e32 v183, v181, v180
.LBB4_4349:                             ;   in Loop: Header=BB4_3574 Depth=3
	s_delay_alu instid0(VALU_DEP_1) | instskip(NEXT) | instid1(VALU_DEP_1)
	v_and_b32_e32 v180, 0x7f800000, v183
	v_cmp_ne_u32_e32 vcc_lo, 0x7f800000, v180
	v_mov_b32_e32 v180, 0x80
	s_and_saveexec_b32 s17, vcc_lo
	s_cbranch_execz .LBB4_4357
; %bb.4350:                             ;   in Loop: Header=BB4_3574 Depth=3
	v_mov_b32_e32 v180, 0
	s_mov_b32 s31, exec_lo
	v_cmpx_ne_u32_e32 0, v183
	s_cbranch_execz .LBB4_4356
; %bb.4351:                             ;   in Loop: Header=BB4_3574 Depth=3
	v_bfe_u32 v180, v183, 23, 8
	s_delay_alu instid0(VALU_DEP_1) | instskip(SKIP_1) | instid1(VALU_DEP_2)
	v_sub_nc_u32_e32 v182, 0x78, v180
	v_cmp_gt_u32_e32 vcc_lo, 0x79, v180
	v_dual_cndmask_b32 v182, 0, v182 :: v_dual_and_b32 v181, 0x7fffff, v183
	s_delay_alu instid0(VALU_DEP_1) | instskip(SKIP_2) | instid1(VALU_DEP_4)
	v_or_b32_e32 v40, 0x800000, v181
	v_cmp_eq_u32_e32 vcc_lo, 0, v180
	v_add_nc_u32_e32 v180, 0xffffff89, v180
	v_cndmask_b32_e64 v182, v182, 0x77, vcc_lo
	s_delay_alu instid0(VALU_DEP_4) | instskip(NEXT) | instid1(VALU_DEP_3)
	v_cndmask_b32_e32 v181, v40, v181, vcc_lo
	v_cndmask_b32_e64 v180, v180, 0xffffff8a, vcc_lo
	s_delay_alu instid0(VALU_DEP_3) | instskip(NEXT) | instid1(VALU_DEP_3)
	v_lshl_add_u32 v40, 0x100000, v182, -1
	v_lshrrev_b32_e32 v41, v182, v181
	v_lshlrev_b32_e64 v43, v182, 0x80000
	s_delay_alu instid0(VALU_DEP_4) | instskip(NEXT) | instid1(VALU_DEP_4)
	v_add_nc_u32_e32 v182, v182, v180
	v_and_b32_e32 v181, v40, v181
	s_delay_alu instid0(VALU_DEP_4) | instskip(NEXT) | instid1(VALU_DEP_2)
	v_bfe_u32 v42, v41, 20, 1
	v_cmp_eq_u32_e64 s13, v181, v43
	s_delay_alu instid0(VALU_DEP_2) | instskip(NEXT) | instid1(VALU_DEP_1)
	v_add_nc_u32_e32 v40, -1, v42
	v_cndmask_b32_e64 v181, 0, v40, s13
	v_lshrrev_b32_e32 v40, 23, v41
	s_mov_b32 s13, exec_lo
	s_delay_alu instid0(VALU_DEP_2) | instskip(NEXT) | instid1(VALU_DEP_2)
	v_add_nc_u32_e32 v181, v181, v41
	v_xor_b32_e32 v40, 1, v40
	s_delay_alu instid0(VALU_DEP_2) | instskip(NEXT) | instid1(VALU_DEP_1)
	v_and_b32_e32 v180, 0xfffff, v181
	v_add_nc_u32_e32 v181, v180, v41
                                        ; implicit-def: $vgpr180
	s_delay_alu instid0(VALU_DEP_3)
	v_cmpx_ne_u32_e64 v182, v40
	s_xor_b32 s13, exec_lo, s13
; %bb.4352:                             ;   in Loop: Header=BB4_3574 Depth=3
	s_delay_alu instid0(VALU_DEP_2) | instskip(SKIP_2) | instid1(VALU_DEP_2)
	v_cmp_lt_u32_e32 vcc_lo, 0xffffff, v181
	v_sub_nc_u32_e32 v180, v182, v40
	v_cndmask_b32_e64 v182, 0, 1, vcc_lo
	v_add_co_ci_u32_e32 v180, vcc_lo, 0, v180, vcc_lo
	s_delay_alu instid0(VALU_DEP_2)
	v_lshrrev_b32_e32 v181, v182, v181
; %bb.4353:                             ;   in Loop: Header=BB4_3574 Depth=3
	s_and_not1_saveexec_b32 s13, s13
; %bb.4354:                             ;   in Loop: Header=BB4_3574 Depth=3
	s_delay_alu instid0(VALU_DEP_1)
	v_bfe_u32 v180, v181, 23, 1
; %bb.4355:                             ;   in Loop: Header=BB4_3574 Depth=3
	s_or_b32 exec_lo, exec_lo, s13
	v_lshrrev_b32_e32 v181, 20, v181
	s_delay_alu instid0(VALU_DEP_2) | instskip(SKIP_2) | instid1(VALU_DEP_2)
	v_cmp_gt_i32_e32 vcc_lo, 16, v180
	v_lshrrev_b32_e32 v182, 24, v183
	v_min_i32_e32 v183, 15, v180
	v_dual_cndmask_b32 v181, 7, v181 :: v_dual_and_b32 v182, 0x80, v182
	s_delay_alu instid0(VALU_DEP_1) | instskip(SKIP_1) | instid1(VALU_DEP_2)
	v_or_b32_e32 v180, v180, v181
	v_and_b32_e32 v40, 7, v181
	v_cmp_ne_u32_e32 vcc_lo, 0, v180
	v_lshlrev_b32_e32 v183, 3, v183
	s_delay_alu instid0(VALU_DEP_1) | instskip(NEXT) | instid1(VALU_DEP_1)
	v_or3_b32 v181, v183, v182, v40
	v_cndmask_b32_e32 v180, 0, v181, vcc_lo
.LBB4_4356:                             ;   in Loop: Header=BB4_3574 Depth=3
	s_or_b32 exec_lo, exec_lo, s31
.LBB4_4357:                             ;   in Loop: Header=BB4_3574 Depth=3
	s_delay_alu instid0(SALU_CYCLE_1) | instskip(SKIP_3) | instid1(VALU_DEP_2)
	s_or_b32 exec_lo, exec_lo, s17
	v_lshrrev_b32_e32 v182, 24, v14
	v_lshrrev_b32_e32 v181, 24, v10
	s_and_not1_b32 vcc_lo, exec_lo, s16
	v_cmp_lt_i16_e64 s13, 0x7f, v182
	s_cbranch_vccnz .LBB4_4367
; %bb.4358:                             ;   in Loop: Header=BB4_3574 Depth=3
	s_mov_b32 s17, 0
                                        ; implicit-def: $sgpr31
	s_delay_alu instid0(VALU_DEP_1) | instskip(NEXT) | instid1(SALU_CYCLE_1)
	s_and_saveexec_b32 vcc_lo, s13
	s_xor_b32 s13, exec_lo, vcc_lo
	s_cbranch_execnz .LBB4_4932
; %bb.4359:                             ;   in Loop: Header=BB4_3574 Depth=3
	s_or_saveexec_b32 s13, s13
	v_mov_b32_e32 v183, s31
	s_xor_b32 exec_lo, exec_lo, s13
	s_cbranch_execnz .LBB4_4935
.LBB4_4360:                             ;   in Loop: Header=BB4_3574 Depth=3
	s_or_b32 exec_lo, exec_lo, s13
	s_and_saveexec_b32 s13, s17
	s_cbranch_execz .LBB4_4362
.LBB4_4361:                             ;   in Loop: Header=BB4_3574 Depth=3
	v_bfe_u32 v183, v14, 24, 3
	v_bfe_u32 v42, v14, 27, 4
	s_delay_alu instid0(VALU_DEP_2) | instskip(NEXT) | instid1(VALU_DEP_2)
	v_clz_i32_u32_e32 v40, v183
	v_cmp_eq_u32_e32 vcc_lo, 0, v42
	s_delay_alu instid0(VALU_DEP_2) | instskip(NEXT) | instid1(VALU_DEP_1)
	v_min_u32_e32 v40, 32, v40
	v_subrev_nc_u32_e32 v41, 28, v40
	v_sub_nc_u32_e32 v40, 29, v40
	s_delay_alu instid0(VALU_DEP_1) | instskip(NEXT) | instid1(VALU_DEP_1)
	v_dual_cndmask_b32 v40, v42, v40 :: v_dual_lshlrev_b32 v41, v41, v182
	v_and_b32_e32 v41, 7, v41
	s_delay_alu instid0(VALU_DEP_2) | instskip(NEXT) | instid1(VALU_DEP_2)
	v_lshl_add_u32 v40, v40, 23, 0x3b800000
	v_cndmask_b32_e32 v183, v183, v41, vcc_lo
	v_and_b32_e32 v41, 0x80000000, v14
	s_delay_alu instid0(VALU_DEP_2) | instskip(NEXT) | instid1(VALU_DEP_1)
	v_lshlrev_b32_e32 v183, 20, v183
	v_or3_b32 v183, v41, v40, v183
.LBB4_4362:                             ;   in Loop: Header=BB4_3574 Depth=3
	s_or_b32 exec_lo, exec_lo, s13
	s_mov_b32 s13, 0
	s_mov_b32 s31, exec_lo
                                        ; implicit-def: $sgpr17
	v_cmpx_lt_i16_e64 0x7f, v181
	s_xor_b32 s31, exec_lo, s31
	s_cbranch_execnz .LBB4_4936
; %bb.4363:                             ;   in Loop: Header=BB4_3574 Depth=3
	s_or_saveexec_b32 s31, s31
	v_mov_b32_e32 v40, s17
	s_xor_b32 exec_lo, exec_lo, s31
	s_cbranch_execnz .LBB4_4939
.LBB4_4364:                             ;   in Loop: Header=BB4_3574 Depth=3
	s_or_b32 exec_lo, exec_lo, s31
	s_and_saveexec_b32 s17, s13
	s_cbranch_execz .LBB4_4366
.LBB4_4365:                             ;   in Loop: Header=BB4_3574 Depth=3
	v_bfe_u32 v40, v10, 24, 3
	v_bfe_u32 v43, v10, 27, 4
	s_delay_alu instid0(VALU_DEP_2) | instskip(NEXT) | instid1(VALU_DEP_2)
	v_clz_i32_u32_e32 v41, v40
	v_cmp_eq_u32_e32 vcc_lo, 0, v43
	s_delay_alu instid0(VALU_DEP_2) | instskip(NEXT) | instid1(VALU_DEP_1)
	v_min_u32_e32 v41, 32, v41
	v_subrev_nc_u32_e32 v42, 28, v41
	v_sub_nc_u32_e32 v41, 29, v41
	s_delay_alu instid0(VALU_DEP_2) | instskip(NEXT) | instid1(VALU_DEP_1)
	v_lshlrev_b32_e32 v42, v42, v181
	v_dual_cndmask_b32 v41, v43, v41 :: v_dual_and_b32 v42, 7, v42
	s_delay_alu instid0(VALU_DEP_1) | instskip(NEXT) | instid1(VALU_DEP_2)
	v_lshl_add_u32 v41, v41, 23, 0x3b800000
	v_cndmask_b32_e32 v40, v40, v42, vcc_lo
	v_and_b32_e32 v42, 0x80000000, v10
	s_delay_alu instid0(VALU_DEP_2) | instskip(NEXT) | instid1(VALU_DEP_1)
	v_lshlrev_b32_e32 v40, 20, v40
	v_or3_b32 v40, v42, v41, v40
.LBB4_4366:                             ;   in Loop: Header=BB4_3574 Depth=3
	s_or_b32 exec_lo, exec_lo, s17
	s_delay_alu instid0(VALU_DEP_1) | instskip(SKIP_1) | instid1(VALU_DEP_1)
	v_dual_max_f32 v40, v40, v40 :: v_dual_max_f32 v183, v183, v183
	s_mov_b32 s13, 0
	v_max_f32_e32 v183, v183, v40
	s_branch .LBB4_4368
.LBB4_4367:                             ;   in Loop: Header=BB4_3574 Depth=3
	s_mov_b32 s13, -1
                                        ; implicit-def: $vgpr183
.LBB4_4368:                             ;   in Loop: Header=BB4_3574 Depth=3
	s_delay_alu instid0(SALU_CYCLE_1)
	s_and_b32 vcc_lo, exec_lo, s13
	s_cbranch_vccz .LBB4_4378
; %bb.4369:                             ;   in Loop: Header=BB4_3574 Depth=3
	s_mov_b32 s13, 0
	s_mov_b32 s31, exec_lo
                                        ; implicit-def: $sgpr17
	v_cmpx_lt_i16_e64 0x7f, v182
	s_xor_b32 s31, exec_lo, s31
	s_cbranch_execnz .LBB4_4940
; %bb.4370:                             ;   in Loop: Header=BB4_3574 Depth=3
	s_or_saveexec_b32 s31, s31
	v_mov_b32_e32 v183, s17
	s_xor_b32 exec_lo, exec_lo, s31
	s_cbranch_execnz .LBB4_4943
.LBB4_4371:                             ;   in Loop: Header=BB4_3574 Depth=3
	s_or_b32 exec_lo, exec_lo, s31
	s_and_saveexec_b32 s17, s13
	s_cbranch_execz .LBB4_4373
.LBB4_4372:                             ;   in Loop: Header=BB4_3574 Depth=3
	v_bfe_u32 v183, v14, 24, 3
	s_delay_alu instid0(VALU_DEP_1) | instskip(NEXT) | instid1(VALU_DEP_1)
	v_clz_i32_u32_e32 v40, v183
	v_min_u32_e32 v40, 32, v40
	s_delay_alu instid0(VALU_DEP_1) | instskip(SKIP_1) | instid1(VALU_DEP_2)
	v_subrev_nc_u32_e32 v41, 28, v40
	v_sub_nc_u32_e32 v40, 29, v40
	v_lshlrev_b32_e32 v182, v41, v182
	v_bfe_u32 v41, v14, 27, 4
	v_and_b32_e32 v14, 0x80000000, v14
	s_delay_alu instid0(VALU_DEP_3) | instskip(NEXT) | instid1(VALU_DEP_3)
	v_and_b32_e32 v182, 7, v182
	v_cmp_eq_u32_e32 vcc_lo, 0, v41
	v_cndmask_b32_e32 v40, v41, v40, vcc_lo
	s_delay_alu instid0(VALU_DEP_3) | instskip(NEXT) | instid1(VALU_DEP_2)
	v_cndmask_b32_e32 v182, v183, v182, vcc_lo
	v_lshl_add_u32 v183, v40, 23, 0x3b800000
	s_delay_alu instid0(VALU_DEP_2) | instskip(NEXT) | instid1(VALU_DEP_1)
	v_lshlrev_b32_e32 v182, 20, v182
	v_or3_b32 v183, v14, v183, v182
.LBB4_4373:                             ;   in Loop: Header=BB4_3574 Depth=3
	s_or_b32 exec_lo, exec_lo, s17
	s_mov_b32 s13, 0
	s_mov_b32 s31, exec_lo
                                        ; implicit-def: $sgpr17
	v_cmpx_lt_i16_e64 0x7f, v181
	s_xor_b32 s31, exec_lo, s31
	s_cbranch_execnz .LBB4_4944
; %bb.4374:                             ;   in Loop: Header=BB4_3574 Depth=3
	s_or_saveexec_b32 s31, s31
	v_mov_b32_e32 v14, s17
	s_xor_b32 exec_lo, exec_lo, s31
	s_cbranch_execnz .LBB4_4947
.LBB4_4375:                             ;   in Loop: Header=BB4_3574 Depth=3
	s_or_b32 exec_lo, exec_lo, s31
	s_and_saveexec_b32 s17, s13
	s_cbranch_execz .LBB4_4377
.LBB4_4376:                             ;   in Loop: Header=BB4_3574 Depth=3
	v_bfe_u32 v14, v10, 24, 3
	s_delay_alu instid0(VALU_DEP_1) | instskip(NEXT) | instid1(VALU_DEP_1)
	v_clz_i32_u32_e32 v182, v14
	v_min_u32_e32 v182, 32, v182
	s_delay_alu instid0(VALU_DEP_1) | instskip(SKIP_1) | instid1(VALU_DEP_2)
	v_subrev_nc_u32_e32 v40, 28, v182
	v_sub_nc_u32_e32 v182, 29, v182
	v_lshlrev_b32_e32 v181, v40, v181
	v_bfe_u32 v40, v10, 27, 4
	v_and_b32_e32 v10, 0x80000000, v10
	s_delay_alu instid0(VALU_DEP_2) | instskip(NEXT) | instid1(VALU_DEP_4)
	v_cmp_eq_u32_e32 vcc_lo, 0, v40
	v_dual_cndmask_b32 v182, v40, v182 :: v_dual_and_b32 v181, 7, v181
	s_delay_alu instid0(VALU_DEP_1) | instskip(NEXT) | instid1(VALU_DEP_2)
	v_cndmask_b32_e32 v14, v14, v181, vcc_lo
	v_lshl_add_u32 v181, v182, 23, 0x3b800000
	s_delay_alu instid0(VALU_DEP_2) | instskip(NEXT) | instid1(VALU_DEP_1)
	v_lshlrev_b32_e32 v14, 20, v14
	v_or3_b32 v14, v10, v181, v14
.LBB4_4377:                             ;   in Loop: Header=BB4_3574 Depth=3
	s_or_b32 exec_lo, exec_lo, s17
	s_delay_alu instid0(VALU_DEP_1) | instskip(SKIP_1) | instid1(VALU_DEP_1)
	v_max_f32_e32 v10, v14, v14
	v_max_f32_e32 v14, v183, v183
	v_min_f32_e32 v183, v14, v10
.LBB4_4378:                             ;   in Loop: Header=BB4_3574 Depth=3
	s_delay_alu instid0(VALU_DEP_1) | instskip(NEXT) | instid1(VALU_DEP_1)
	v_and_b32_e32 v10, 0x7f800000, v183
	v_cmp_ne_u32_e32 vcc_lo, 0x7f800000, v10
	v_mov_b32_e32 v10, 0x80
	s_and_saveexec_b32 s17, vcc_lo
	s_cbranch_execz .LBB4_4386
; %bb.4379:                             ;   in Loop: Header=BB4_3574 Depth=3
	v_mov_b32_e32 v10, 0
	s_mov_b32 s31, exec_lo
	v_cmpx_ne_u32_e32 0, v183
	s_cbranch_execz .LBB4_4385
; %bb.4380:                             ;   in Loop: Header=BB4_3574 Depth=3
	v_bfe_u32 v10, v183, 23, 8
	s_delay_alu instid0(VALU_DEP_1) | instskip(SKIP_1) | instid1(VALU_DEP_2)
	v_sub_nc_u32_e32 v181, 0x78, v10
	v_cmp_gt_u32_e32 vcc_lo, 0x79, v10
	v_dual_cndmask_b32 v181, 0, v181 :: v_dual_and_b32 v14, 0x7fffff, v183
	s_delay_alu instid0(VALU_DEP_1) | instskip(SKIP_2) | instid1(VALU_DEP_4)
	v_or_b32_e32 v182, 0x800000, v14
	v_cmp_eq_u32_e32 vcc_lo, 0, v10
	v_add_nc_u32_e32 v10, 0xffffff89, v10
	v_cndmask_b32_e64 v181, v181, 0x77, vcc_lo
	s_delay_alu instid0(VALU_DEP_4) | instskip(NEXT) | instid1(VALU_DEP_3)
	v_cndmask_b32_e32 v14, v182, v14, vcc_lo
	v_cndmask_b32_e64 v10, v10, 0xffffff8a, vcc_lo
	s_delay_alu instid0(VALU_DEP_3) | instskip(NEXT) | instid1(VALU_DEP_3)
	v_lshl_add_u32 v182, 0x100000, v181, -1
	v_lshrrev_b32_e32 v40, v181, v14
	v_lshlrev_b32_e64 v42, v181, 0x80000
	s_delay_alu instid0(VALU_DEP_4) | instskip(NEXT) | instid1(VALU_DEP_4)
	v_add_nc_u32_e32 v181, v181, v10
	v_and_b32_e32 v14, v182, v14
	s_delay_alu instid0(VALU_DEP_4) | instskip(NEXT) | instid1(VALU_DEP_2)
	v_bfe_u32 v41, v40, 20, 1
	v_cmp_eq_u32_e64 s13, v14, v42
	s_delay_alu instid0(VALU_DEP_2) | instskip(NEXT) | instid1(VALU_DEP_1)
	v_add_nc_u32_e32 v182, -1, v41
	v_cndmask_b32_e64 v14, 0, v182, s13
	v_lshrrev_b32_e32 v182, 23, v40
	s_mov_b32 s13, exec_lo
	s_delay_alu instid0(VALU_DEP_2) | instskip(NEXT) | instid1(VALU_DEP_2)
	v_add_nc_u32_e32 v14, v14, v40
	v_xor_b32_e32 v182, 1, v182
	s_delay_alu instid0(VALU_DEP_2) | instskip(NEXT) | instid1(VALU_DEP_1)
	v_and_b32_e32 v10, 0xfffff, v14
	v_add_nc_u32_e32 v14, v10, v40
                                        ; implicit-def: $vgpr10
	s_delay_alu instid0(VALU_DEP_3)
	v_cmpx_ne_u32_e64 v181, v182
	s_xor_b32 s13, exec_lo, s13
; %bb.4381:                             ;   in Loop: Header=BB4_3574 Depth=3
	s_delay_alu instid0(VALU_DEP_2) | instskip(SKIP_2) | instid1(VALU_DEP_2)
	v_cmp_lt_u32_e32 vcc_lo, 0xffffff, v14
	v_sub_nc_u32_e32 v10, v181, v182
	v_cndmask_b32_e64 v181, 0, 1, vcc_lo
	v_add_co_ci_u32_e32 v10, vcc_lo, 0, v10, vcc_lo
	s_delay_alu instid0(VALU_DEP_2)
	v_lshrrev_b32_e32 v14, v181, v14
; %bb.4382:                             ;   in Loop: Header=BB4_3574 Depth=3
	s_and_not1_saveexec_b32 s13, s13
; %bb.4383:                             ;   in Loop: Header=BB4_3574 Depth=3
	s_delay_alu instid0(VALU_DEP_1)
	v_bfe_u32 v10, v14, 23, 1
; %bb.4384:                             ;   in Loop: Header=BB4_3574 Depth=3
	s_or_b32 exec_lo, exec_lo, s13
	v_lshrrev_b32_e32 v14, 20, v14
	s_delay_alu instid0(VALU_DEP_2) | instskip(SKIP_2) | instid1(VALU_DEP_2)
	v_cmp_gt_i32_e32 vcc_lo, 16, v10
	v_lshrrev_b32_e32 v181, 24, v183
	v_min_i32_e32 v182, 15, v10
	v_dual_cndmask_b32 v14, 7, v14 :: v_dual_and_b32 v181, 0x80, v181
	s_delay_alu instid0(VALU_DEP_2) | instskip(NEXT) | instid1(VALU_DEP_2)
	v_lshlrev_b32_e32 v182, 3, v182
	v_and_b32_e32 v183, 7, v14
	v_or_b32_e32 v10, v10, v14
	s_delay_alu instid0(VALU_DEP_2) | instskip(NEXT) | instid1(VALU_DEP_2)
	v_or3_b32 v14, v182, v181, v183
	v_cmp_ne_u32_e32 vcc_lo, 0, v10
	s_delay_alu instid0(VALU_DEP_2)
	v_cndmask_b32_e32 v10, 0, v14, vcc_lo
.LBB4_4385:                             ;   in Loop: Header=BB4_3574 Depth=3
	s_or_b32 exec_lo, exec_lo, s31
.LBB4_4386:                             ;   in Loop: Header=BB4_3574 Depth=3
	s_delay_alu instid0(SALU_CYCLE_1) | instskip(SKIP_2) | instid1(VALU_DEP_1)
	s_or_b32 exec_lo, exec_lo, s17
	v_and_b32_e32 v14, 0xff, v15
	s_and_not1_b32 vcc_lo, exec_lo, s16
	v_cmp_lt_i16_e64 s13, 0x7f, v14
	s_cbranch_vccnz .LBB4_4396
; %bb.4387:                             ;   in Loop: Header=BB4_3574 Depth=3
	s_mov_b32 s17, 0
                                        ; implicit-def: $sgpr31
	s_delay_alu instid0(VALU_DEP_1) | instskip(NEXT) | instid1(SALU_CYCLE_1)
	s_and_saveexec_b32 vcc_lo, s13
	s_xor_b32 s13, exec_lo, vcc_lo
	s_cbranch_execnz .LBB4_4948
; %bb.4388:                             ;   in Loop: Header=BB4_3574 Depth=3
	s_or_saveexec_b32 s13, s13
	v_mov_b32_e32 v181, s31
	s_xor_b32 exec_lo, exec_lo, s13
	s_cbranch_execnz .LBB4_4951
.LBB4_4389:                             ;   in Loop: Header=BB4_3574 Depth=3
	s_or_b32 exec_lo, exec_lo, s13
	s_and_saveexec_b32 s13, s17
	s_cbranch_execz .LBB4_4391
.LBB4_4390:                             ;   in Loop: Header=BB4_3574 Depth=3
	v_bfe_u32 v40, v15, 3, 4
	v_lshlrev_b32_e32 v41, 24, v15
	s_delay_alu instid0(VALU_DEP_2) | instskip(SKIP_1) | instid1(VALU_DEP_1)
	v_cmp_eq_u32_e32 vcc_lo, 0, v40
	v_and_b32_e32 v181, 7, v15
	v_clz_i32_u32_e32 v182, v181
	s_delay_alu instid0(VALU_DEP_1) | instskip(NEXT) | instid1(VALU_DEP_1)
	v_min_u32_e32 v182, 32, v182
	v_subrev_nc_u32_e32 v183, 28, v182
	v_sub_nc_u32_e32 v182, 29, v182
	s_delay_alu instid0(VALU_DEP_1) | instskip(NEXT) | instid1(VALU_DEP_1)
	v_dual_cndmask_b32 v182, v40, v182 :: v_dual_lshlrev_b32 v183, v183, v15
	v_and_b32_e32 v183, 7, v183
	s_delay_alu instid0(VALU_DEP_2) | instskip(NEXT) | instid1(VALU_DEP_2)
	v_lshl_add_u32 v182, v182, 23, 0x3b800000
	v_cndmask_b32_e32 v181, v181, v183, vcc_lo
	v_and_b32_e32 v183, 0x80000000, v41
	s_delay_alu instid0(VALU_DEP_2) | instskip(NEXT) | instid1(VALU_DEP_1)
	v_lshlrev_b32_e32 v181, 20, v181
	v_or3_b32 v181, v183, v182, v181
.LBB4_4391:                             ;   in Loop: Header=BB4_3574 Depth=3
	s_or_b32 exec_lo, exec_lo, s13
	v_and_b32_e32 v183, 0xff, v11
	s_mov_b32 s13, 0
	s_mov_b32 s31, exec_lo
                                        ; implicit-def: $sgpr17
	s_delay_alu instid0(VALU_DEP_1)
	v_cmpx_lt_i16_e64 0x7f, v183
	s_xor_b32 s31, exec_lo, s31
	s_cbranch_execnz .LBB4_4952
; %bb.4392:                             ;   in Loop: Header=BB4_3574 Depth=3
	s_or_saveexec_b32 s31, s31
	v_mov_b32_e32 v182, s17
	s_xor_b32 exec_lo, exec_lo, s31
	s_cbranch_execnz .LBB4_4955
.LBB4_4393:                             ;   in Loop: Header=BB4_3574 Depth=3
	s_or_b32 exec_lo, exec_lo, s31
	s_and_saveexec_b32 s17, s13
	s_cbranch_execz .LBB4_4395
.LBB4_4394:                             ;   in Loop: Header=BB4_3574 Depth=3
	v_and_b32_e32 v182, 7, v11
	v_bfe_u32 v41, v11, 3, 4
	v_lshlrev_b32_e32 v42, 24, v11
	s_delay_alu instid0(VALU_DEP_3) | instskip(NEXT) | instid1(VALU_DEP_3)
	v_clz_i32_u32_e32 v183, v182
	v_cmp_eq_u32_e32 vcc_lo, 0, v41
	s_delay_alu instid0(VALU_DEP_2) | instskip(NEXT) | instid1(VALU_DEP_1)
	v_min_u32_e32 v183, 32, v183
	v_subrev_nc_u32_e32 v40, 28, v183
	v_sub_nc_u32_e32 v183, 29, v183
	s_delay_alu instid0(VALU_DEP_2) | instskip(NEXT) | instid1(VALU_DEP_1)
	v_lshlrev_b32_e32 v40, v40, v11
	v_dual_cndmask_b32 v183, v41, v183 :: v_dual_and_b32 v40, 7, v40
	s_delay_alu instid0(VALU_DEP_1) | instskip(NEXT) | instid1(VALU_DEP_2)
	v_lshl_add_u32 v183, v183, 23, 0x3b800000
	v_cndmask_b32_e32 v182, v182, v40, vcc_lo
	v_and_b32_e32 v40, 0x80000000, v42
	s_delay_alu instid0(VALU_DEP_2) | instskip(NEXT) | instid1(VALU_DEP_1)
	v_lshlrev_b32_e32 v182, 20, v182
	v_or3_b32 v182, v40, v183, v182
.LBB4_4395:                             ;   in Loop: Header=BB4_3574 Depth=3
	s_or_b32 exec_lo, exec_lo, s17
	s_delay_alu instid0(VALU_DEP_1) | instskip(SKIP_1) | instid1(VALU_DEP_1)
	v_dual_max_f32 v182, v182, v182 :: v_dual_max_f32 v181, v181, v181
	s_mov_b32 s13, 0
	v_max_f32_e32 v181, v181, v182
	s_branch .LBB4_4397
.LBB4_4396:                             ;   in Loop: Header=BB4_3574 Depth=3
	s_mov_b32 s13, -1
                                        ; implicit-def: $vgpr181
.LBB4_4397:                             ;   in Loop: Header=BB4_3574 Depth=3
	s_delay_alu instid0(SALU_CYCLE_1)
	s_and_b32 vcc_lo, exec_lo, s13
	s_cbranch_vccz .LBB4_4407
; %bb.4398:                             ;   in Loop: Header=BB4_3574 Depth=3
	s_mov_b32 s13, 0
	s_mov_b32 s31, exec_lo
                                        ; implicit-def: $sgpr17
	v_cmpx_lt_i16_e32 0x7f, v14
	s_xor_b32 s31, exec_lo, s31
	s_cbranch_execnz .LBB4_4956
; %bb.4399:                             ;   in Loop: Header=BB4_3574 Depth=3
	s_or_saveexec_b32 s31, s31
	v_mov_b32_e32 v181, s17
	s_xor_b32 exec_lo, exec_lo, s31
	s_cbranch_execnz .LBB4_4959
.LBB4_4400:                             ;   in Loop: Header=BB4_3574 Depth=3
	s_or_b32 exec_lo, exec_lo, s31
	s_and_saveexec_b32 s17, s13
	s_cbranch_execz .LBB4_4402
.LBB4_4401:                             ;   in Loop: Header=BB4_3574 Depth=3
	v_bfe_u32 v183, v15, 3, 4
	v_lshlrev_b32_e32 v40, 24, v15
	s_delay_alu instid0(VALU_DEP_2) | instskip(SKIP_1) | instid1(VALU_DEP_1)
	v_cmp_eq_u32_e32 vcc_lo, 0, v183
	v_and_b32_e32 v14, 7, v15
	v_clz_i32_u32_e32 v181, v14
	s_delay_alu instid0(VALU_DEP_1) | instskip(NEXT) | instid1(VALU_DEP_1)
	v_min_u32_e32 v181, 32, v181
	v_subrev_nc_u32_e32 v182, 28, v181
	v_sub_nc_u32_e32 v181, 29, v181
	s_delay_alu instid0(VALU_DEP_1) | instskip(NEXT) | instid1(VALU_DEP_1)
	v_dual_cndmask_b32 v181, v183, v181 :: v_dual_lshlrev_b32 v182, v182, v15
	v_and_b32_e32 v182, 7, v182
	s_delay_alu instid0(VALU_DEP_2) | instskip(NEXT) | instid1(VALU_DEP_2)
	v_lshl_add_u32 v181, v181, 23, 0x3b800000
	v_cndmask_b32_e32 v14, v14, v182, vcc_lo
	v_and_b32_e32 v182, 0x80000000, v40
	s_delay_alu instid0(VALU_DEP_2) | instskip(NEXT) | instid1(VALU_DEP_1)
	v_lshlrev_b32_e32 v14, 20, v14
	v_or3_b32 v181, v182, v181, v14
.LBB4_4402:                             ;   in Loop: Header=BB4_3574 Depth=3
	s_or_b32 exec_lo, exec_lo, s17
	v_and_b32_e32 v182, 0xff, v11
	s_mov_b32 s13, 0
	s_mov_b32 s31, exec_lo
                                        ; implicit-def: $sgpr17
	s_delay_alu instid0(VALU_DEP_1)
	v_cmpx_lt_i16_e64 0x7f, v182
	s_xor_b32 s31, exec_lo, s31
	s_cbranch_execnz .LBB4_4960
; %bb.4403:                             ;   in Loop: Header=BB4_3574 Depth=3
	s_or_saveexec_b32 s31, s31
	v_mov_b32_e32 v14, s17
	s_xor_b32 exec_lo, exec_lo, s31
	s_cbranch_execnz .LBB4_4963
.LBB4_4404:                             ;   in Loop: Header=BB4_3574 Depth=3
	s_or_b32 exec_lo, exec_lo, s31
	s_and_saveexec_b32 s17, s13
	s_cbranch_execz .LBB4_4406
.LBB4_4405:                             ;   in Loop: Header=BB4_3574 Depth=3
	v_and_b32_e32 v14, 7, v11
	v_bfe_u32 v40, v11, 3, 4
	v_lshlrev_b32_e32 v41, 24, v11
	s_delay_alu instid0(VALU_DEP_3) | instskip(NEXT) | instid1(VALU_DEP_3)
	v_clz_i32_u32_e32 v182, v14
	v_cmp_eq_u32_e32 vcc_lo, 0, v40
	s_delay_alu instid0(VALU_DEP_2) | instskip(NEXT) | instid1(VALU_DEP_1)
	v_min_u32_e32 v182, 32, v182
	v_subrev_nc_u32_e32 v183, 28, v182
	v_sub_nc_u32_e32 v182, 29, v182
	s_delay_alu instid0(VALU_DEP_1) | instskip(NEXT) | instid1(VALU_DEP_1)
	v_dual_cndmask_b32 v182, v40, v182 :: v_dual_lshlrev_b32 v183, v183, v11
	v_and_b32_e32 v183, 7, v183
	s_delay_alu instid0(VALU_DEP_2) | instskip(NEXT) | instid1(VALU_DEP_2)
	v_lshl_add_u32 v182, v182, 23, 0x3b800000
	v_dual_cndmask_b32 v14, v14, v183 :: v_dual_and_b32 v183, 0x80000000, v41
	s_delay_alu instid0(VALU_DEP_1) | instskip(NEXT) | instid1(VALU_DEP_1)
	v_lshlrev_b32_e32 v14, 20, v14
	v_or3_b32 v14, v183, v182, v14
.LBB4_4406:                             ;   in Loop: Header=BB4_3574 Depth=3
	s_or_b32 exec_lo, exec_lo, s17
	s_delay_alu instid0(VALU_DEP_1) | instskip(NEXT) | instid1(VALU_DEP_1)
	v_dual_max_f32 v14, v14, v14 :: v_dual_max_f32 v181, v181, v181
	v_min_f32_e32 v181, v181, v14
.LBB4_4407:                             ;   in Loop: Header=BB4_3574 Depth=3
	s_delay_alu instid0(VALU_DEP_1) | instskip(NEXT) | instid1(VALU_DEP_1)
	v_and_b32_e32 v14, 0x7f800000, v181
	v_cmp_ne_u32_e32 vcc_lo, 0x7f800000, v14
	v_mov_b32_e32 v14, 0x80
	s_and_saveexec_b32 s17, vcc_lo
	s_cbranch_execz .LBB4_4415
; %bb.4408:                             ;   in Loop: Header=BB4_3574 Depth=3
	v_mov_b32_e32 v14, 0
	s_mov_b32 s31, exec_lo
	v_cmpx_ne_u32_e32 0, v181
	s_cbranch_execz .LBB4_4414
; %bb.4409:                             ;   in Loop: Header=BB4_3574 Depth=3
	v_bfe_u32 v14, v181, 23, 8
	s_delay_alu instid0(VALU_DEP_1) | instskip(SKIP_1) | instid1(VALU_DEP_2)
	v_sub_nc_u32_e32 v183, 0x78, v14
	v_cmp_gt_u32_e32 vcc_lo, 0x79, v14
	v_dual_cndmask_b32 v183, 0, v183 :: v_dual_and_b32 v182, 0x7fffff, v181
	s_delay_alu instid0(VALU_DEP_1) | instskip(SKIP_2) | instid1(VALU_DEP_4)
	v_or_b32_e32 v40, 0x800000, v182
	v_cmp_eq_u32_e32 vcc_lo, 0, v14
	v_add_nc_u32_e32 v14, 0xffffff89, v14
	v_cndmask_b32_e64 v183, v183, 0x77, vcc_lo
	s_delay_alu instid0(VALU_DEP_4) | instskip(NEXT) | instid1(VALU_DEP_3)
	v_cndmask_b32_e32 v182, v40, v182, vcc_lo
	v_cndmask_b32_e64 v14, v14, 0xffffff8a, vcc_lo
	s_delay_alu instid0(VALU_DEP_3) | instskip(NEXT) | instid1(VALU_DEP_3)
	v_lshl_add_u32 v40, 0x100000, v183, -1
	v_lshrrev_b32_e32 v41, v183, v182
	v_lshlrev_b32_e64 v43, v183, 0x80000
	s_delay_alu instid0(VALU_DEP_4) | instskip(NEXT) | instid1(VALU_DEP_4)
	v_add_nc_u32_e32 v183, v183, v14
	v_and_b32_e32 v182, v40, v182
	s_delay_alu instid0(VALU_DEP_4) | instskip(NEXT) | instid1(VALU_DEP_2)
	v_bfe_u32 v42, v41, 20, 1
	v_cmp_eq_u32_e64 s13, v182, v43
	s_delay_alu instid0(VALU_DEP_2) | instskip(NEXT) | instid1(VALU_DEP_1)
	v_add_nc_u32_e32 v40, -1, v42
	v_cndmask_b32_e64 v182, 0, v40, s13
	v_lshrrev_b32_e32 v40, 23, v41
	s_mov_b32 s13, exec_lo
	s_delay_alu instid0(VALU_DEP_2) | instskip(NEXT) | instid1(VALU_DEP_2)
	v_add_nc_u32_e32 v182, v182, v41
	v_xor_b32_e32 v40, 1, v40
	s_delay_alu instid0(VALU_DEP_2) | instskip(NEXT) | instid1(VALU_DEP_1)
	v_and_b32_e32 v14, 0xfffff, v182
	v_add_nc_u32_e32 v182, v14, v41
                                        ; implicit-def: $vgpr14
	s_delay_alu instid0(VALU_DEP_3)
	v_cmpx_ne_u32_e64 v183, v40
	s_xor_b32 s13, exec_lo, s13
; %bb.4410:                             ;   in Loop: Header=BB4_3574 Depth=3
	s_delay_alu instid0(VALU_DEP_2) | instskip(SKIP_2) | instid1(VALU_DEP_2)
	v_cmp_lt_u32_e32 vcc_lo, 0xffffff, v182
	v_sub_nc_u32_e32 v14, v183, v40
	v_cndmask_b32_e64 v183, 0, 1, vcc_lo
	v_add_co_ci_u32_e32 v14, vcc_lo, 0, v14, vcc_lo
	s_delay_alu instid0(VALU_DEP_2)
	v_lshrrev_b32_e32 v182, v183, v182
; %bb.4411:                             ;   in Loop: Header=BB4_3574 Depth=3
	s_and_not1_saveexec_b32 s13, s13
; %bb.4412:                             ;   in Loop: Header=BB4_3574 Depth=3
	s_delay_alu instid0(VALU_DEP_1)
	v_bfe_u32 v14, v182, 23, 1
; %bb.4413:                             ;   in Loop: Header=BB4_3574 Depth=3
	s_or_b32 exec_lo, exec_lo, s13
	v_lshrrev_b32_e32 v182, 20, v182
	s_delay_alu instid0(VALU_DEP_2) | instskip(SKIP_2) | instid1(VALU_DEP_2)
	v_cmp_gt_i32_e32 vcc_lo, 16, v14
	v_lshrrev_b32_e32 v181, 24, v181
	v_min_i32_e32 v183, 15, v14
	v_dual_cndmask_b32 v182, 7, v182 :: v_dual_and_b32 v181, 0x80, v181
	s_delay_alu instid0(VALU_DEP_1) | instskip(SKIP_1) | instid1(VALU_DEP_2)
	v_or_b32_e32 v14, v14, v182
	v_and_b32_e32 v40, 7, v182
	v_cmp_ne_u32_e32 vcc_lo, 0, v14
	v_lshlrev_b32_e32 v183, 3, v183
	s_delay_alu instid0(VALU_DEP_1) | instskip(NEXT) | instid1(VALU_DEP_1)
	v_or3_b32 v181, v183, v181, v40
	v_cndmask_b32_e32 v14, 0, v181, vcc_lo
.LBB4_4414:                             ;   in Loop: Header=BB4_3574 Depth=3
	s_or_b32 exec_lo, exec_lo, s31
.LBB4_4415:                             ;   in Loop: Header=BB4_3574 Depth=3
	s_delay_alu instid0(SALU_CYCLE_1) | instskip(SKIP_3) | instid1(VALU_DEP_2)
	s_or_b32 exec_lo, exec_lo, s17
	v_lshrrev_b16 v182, 8, v15
	v_lshrrev_b16 v181, 8, v11
	s_and_not1_b32 vcc_lo, exec_lo, s16
	v_cmp_lt_i16_e64 s13, 0x7f, v182
	s_cbranch_vccnz .LBB4_4425
; %bb.4416:                             ;   in Loop: Header=BB4_3574 Depth=3
	s_mov_b32 s17, 0
                                        ; implicit-def: $sgpr31
	s_delay_alu instid0(VALU_DEP_1) | instskip(NEXT) | instid1(SALU_CYCLE_1)
	s_and_saveexec_b32 vcc_lo, s13
	s_xor_b32 s13, exec_lo, vcc_lo
	s_cbranch_execnz .LBB4_4964
; %bb.4417:                             ;   in Loop: Header=BB4_3574 Depth=3
	s_or_saveexec_b32 s13, s13
	v_mov_b32_e32 v183, s31
	s_xor_b32 exec_lo, exec_lo, s13
	s_cbranch_execnz .LBB4_4967
.LBB4_4418:                             ;   in Loop: Header=BB4_3574 Depth=3
	s_or_b32 exec_lo, exec_lo, s13
	s_and_saveexec_b32 s13, s17
	s_cbranch_execz .LBB4_4420
.LBB4_4419:                             ;   in Loop: Header=BB4_3574 Depth=3
	v_and_b32_e32 v183, 0xffff, v182
	s_delay_alu instid0(VALU_DEP_1) | instskip(NEXT) | instid1(VALU_DEP_1)
	v_and_b32_e32 v40, 7, v183
	v_clz_i32_u32_e32 v41, v40
	s_delay_alu instid0(VALU_DEP_1) | instskip(NEXT) | instid1(VALU_DEP_1)
	v_min_u32_e32 v41, 32, v41
	v_subrev_nc_u32_e32 v42, 28, v41
	v_sub_nc_u32_e32 v41, 29, v41
	s_delay_alu instid0(VALU_DEP_2) | instskip(SKIP_1) | instid1(VALU_DEP_2)
	v_lshlrev_b32_e32 v42, v42, v183
	v_bfe_u32 v183, v183, 3, 4
	v_and_b32_e32 v42, 7, v42
	s_delay_alu instid0(VALU_DEP_2) | instskip(SKIP_1) | instid1(VALU_DEP_3)
	v_cmp_eq_u32_e32 vcc_lo, 0, v183
	v_cndmask_b32_e32 v183, v183, v41, vcc_lo
	v_dual_cndmask_b32 v40, v40, v42 :: v_dual_lshlrev_b32 v43, 16, v15
	s_delay_alu instid0(VALU_DEP_2) | instskip(NEXT) | instid1(VALU_DEP_2)
	v_lshl_add_u32 v183, v183, 23, 0x3b800000
	v_and_b32_e32 v41, 0x80000000, v43
	s_delay_alu instid0(VALU_DEP_3) | instskip(NEXT) | instid1(VALU_DEP_1)
	v_lshlrev_b32_e32 v40, 20, v40
	v_or3_b32 v183, v41, v183, v40
.LBB4_4420:                             ;   in Loop: Header=BB4_3574 Depth=3
	s_or_b32 exec_lo, exec_lo, s13
	s_mov_b32 s13, 0
	s_mov_b32 s31, exec_lo
                                        ; implicit-def: $sgpr17
	v_cmpx_lt_i16_e64 0x7f, v181
	s_xor_b32 s31, exec_lo, s31
	s_cbranch_execnz .LBB4_4968
; %bb.4421:                             ;   in Loop: Header=BB4_3574 Depth=3
	s_or_saveexec_b32 s31, s31
	v_mov_b32_e32 v40, s17
	s_xor_b32 exec_lo, exec_lo, s31
	s_cbranch_execnz .LBB4_4971
.LBB4_4422:                             ;   in Loop: Header=BB4_3574 Depth=3
	s_or_b32 exec_lo, exec_lo, s31
	s_and_saveexec_b32 s17, s13
	s_cbranch_execz .LBB4_4424
.LBB4_4423:                             ;   in Loop: Header=BB4_3574 Depth=3
	v_and_b32_e32 v40, 0xffff, v181
	v_lshlrev_b32_e32 v44, 16, v11
	s_delay_alu instid0(VALU_DEP_2) | instskip(NEXT) | instid1(VALU_DEP_1)
	v_and_b32_e32 v41, 7, v40
	v_clz_i32_u32_e32 v42, v41
	s_delay_alu instid0(VALU_DEP_1) | instskip(NEXT) | instid1(VALU_DEP_1)
	v_min_u32_e32 v42, 32, v42
	v_subrev_nc_u32_e32 v43, 28, v42
	v_sub_nc_u32_e32 v42, 29, v42
	s_delay_alu instid0(VALU_DEP_2) | instskip(SKIP_1) | instid1(VALU_DEP_2)
	v_lshlrev_b32_e32 v43, v43, v40
	v_bfe_u32 v40, v40, 3, 4
	v_and_b32_e32 v43, 7, v43
	s_delay_alu instid0(VALU_DEP_2) | instskip(NEXT) | instid1(VALU_DEP_2)
	v_cmp_eq_u32_e32 vcc_lo, 0, v40
	v_dual_cndmask_b32 v40, v40, v42 :: v_dual_cndmask_b32 v41, v41, v43
	v_and_b32_e32 v42, 0x80000000, v44
	s_delay_alu instid0(VALU_DEP_2) | instskip(NEXT) | instid1(VALU_DEP_3)
	v_lshl_add_u32 v40, v40, 23, 0x3b800000
	v_lshlrev_b32_e32 v41, 20, v41
	s_delay_alu instid0(VALU_DEP_1)
	v_or3_b32 v40, v42, v40, v41
.LBB4_4424:                             ;   in Loop: Header=BB4_3574 Depth=3
	s_or_b32 exec_lo, exec_lo, s17
	s_delay_alu instid0(VALU_DEP_1) | instskip(SKIP_1) | instid1(VALU_DEP_1)
	v_dual_max_f32 v40, v40, v40 :: v_dual_max_f32 v183, v183, v183
	s_mov_b32 s13, 0
	v_max_f32_e32 v183, v183, v40
	s_branch .LBB4_4426
.LBB4_4425:                             ;   in Loop: Header=BB4_3574 Depth=3
	s_mov_b32 s13, -1
                                        ; implicit-def: $vgpr183
.LBB4_4426:                             ;   in Loop: Header=BB4_3574 Depth=3
	s_delay_alu instid0(SALU_CYCLE_1)
	s_and_b32 vcc_lo, exec_lo, s13
	s_cbranch_vccz .LBB4_4436
; %bb.4427:                             ;   in Loop: Header=BB4_3574 Depth=3
	s_mov_b32 s13, 0
	s_mov_b32 s31, exec_lo
                                        ; implicit-def: $sgpr17
	v_cmpx_lt_i16_e64 0x7f, v182
	s_xor_b32 s31, exec_lo, s31
	s_cbranch_execnz .LBB4_4972
; %bb.4428:                             ;   in Loop: Header=BB4_3574 Depth=3
	s_or_saveexec_b32 s31, s31
	v_mov_b32_e32 v183, s17
	s_xor_b32 exec_lo, exec_lo, s31
	s_cbranch_execnz .LBB4_4975
.LBB4_4429:                             ;   in Loop: Header=BB4_3574 Depth=3
	s_or_b32 exec_lo, exec_lo, s31
	s_and_saveexec_b32 s17, s13
	s_cbranch_execz .LBB4_4431
.LBB4_4430:                             ;   in Loop: Header=BB4_3574 Depth=3
	v_and_b32_e32 v182, 0xffff, v182
	v_lshlrev_b32_e32 v42, 16, v15
	s_delay_alu instid0(VALU_DEP_2) | instskip(NEXT) | instid1(VALU_DEP_1)
	v_and_b32_e32 v183, 7, v182
	v_clz_i32_u32_e32 v40, v183
	s_delay_alu instid0(VALU_DEP_1) | instskip(NEXT) | instid1(VALU_DEP_1)
	v_min_u32_e32 v40, 32, v40
	v_subrev_nc_u32_e32 v41, 28, v40
	v_sub_nc_u32_e32 v40, 29, v40
	s_delay_alu instid0(VALU_DEP_2) | instskip(SKIP_1) | instid1(VALU_DEP_2)
	v_lshlrev_b32_e32 v41, v41, v182
	v_bfe_u32 v182, v182, 3, 4
	v_and_b32_e32 v41, 7, v41
	s_delay_alu instid0(VALU_DEP_2) | instskip(NEXT) | instid1(VALU_DEP_2)
	v_cmp_eq_u32_e32 vcc_lo, 0, v182
	v_dual_cndmask_b32 v182, v182, v40 :: v_dual_cndmask_b32 v183, v183, v41
	v_and_b32_e32 v40, 0x80000000, v42
	s_delay_alu instid0(VALU_DEP_2) | instskip(NEXT) | instid1(VALU_DEP_3)
	v_lshl_add_u32 v182, v182, 23, 0x3b800000
	v_lshlrev_b32_e32 v183, 20, v183
	s_delay_alu instid0(VALU_DEP_1)
	v_or3_b32 v183, v40, v182, v183
.LBB4_4431:                             ;   in Loop: Header=BB4_3574 Depth=3
	s_or_b32 exec_lo, exec_lo, s17
	s_mov_b32 s13, 0
	s_mov_b32 s31, exec_lo
                                        ; implicit-def: $sgpr17
	v_cmpx_lt_i16_e64 0x7f, v181
	s_xor_b32 s31, exec_lo, s31
	s_cbranch_execnz .LBB4_4976
; %bb.4432:                             ;   in Loop: Header=BB4_3574 Depth=3
	s_or_saveexec_b32 s31, s31
	v_mov_b32_e32 v182, s17
	s_xor_b32 exec_lo, exec_lo, s31
	s_cbranch_execnz .LBB4_4979
.LBB4_4433:                             ;   in Loop: Header=BB4_3574 Depth=3
	s_or_b32 exec_lo, exec_lo, s31
	s_and_saveexec_b32 s17, s13
	s_cbranch_execz .LBB4_4435
.LBB4_4434:                             ;   in Loop: Header=BB4_3574 Depth=3
	v_and_b32_e32 v181, 0xffff, v181
	v_lshlrev_b32_e32 v42, 16, v11
	s_delay_alu instid0(VALU_DEP_2) | instskip(NEXT) | instid1(VALU_DEP_1)
	v_and_b32_e32 v182, 7, v181
	v_clz_i32_u32_e32 v40, v182
	s_delay_alu instid0(VALU_DEP_1) | instskip(NEXT) | instid1(VALU_DEP_1)
	v_min_u32_e32 v40, 32, v40
	v_subrev_nc_u32_e32 v41, 28, v40
	v_sub_nc_u32_e32 v40, 29, v40
	s_delay_alu instid0(VALU_DEP_2) | instskip(SKIP_1) | instid1(VALU_DEP_2)
	v_lshlrev_b32_e32 v41, v41, v181
	v_bfe_u32 v181, v181, 3, 4
	v_and_b32_e32 v41, 7, v41
	s_delay_alu instid0(VALU_DEP_2) | instskip(NEXT) | instid1(VALU_DEP_2)
	v_cmp_eq_u32_e32 vcc_lo, 0, v181
	v_dual_cndmask_b32 v181, v181, v40 :: v_dual_cndmask_b32 v182, v182, v41
	v_and_b32_e32 v40, 0x80000000, v42
	s_delay_alu instid0(VALU_DEP_2) | instskip(NEXT) | instid1(VALU_DEP_3)
	v_lshl_add_u32 v181, v181, 23, 0x3b800000
	v_lshlrev_b32_e32 v182, 20, v182
	s_delay_alu instid0(VALU_DEP_1)
	v_or3_b32 v182, v40, v181, v182
.LBB4_4435:                             ;   in Loop: Header=BB4_3574 Depth=3
	s_or_b32 exec_lo, exec_lo, s17
	s_delay_alu instid0(VALU_DEP_1) | instskip(NEXT) | instid1(VALU_DEP_1)
	v_dual_max_f32 v181, v182, v182 :: v_dual_max_f32 v182, v183, v183
	v_min_f32_e32 v183, v182, v181
.LBB4_4436:                             ;   in Loop: Header=BB4_3574 Depth=3
	s_delay_alu instid0(VALU_DEP_1) | instskip(NEXT) | instid1(VALU_DEP_1)
	v_and_b32_e32 v181, 0x7f800000, v183
	v_cmp_ne_u32_e32 vcc_lo, 0x7f800000, v181
	v_mov_b32_e32 v181, 0x80
	s_and_saveexec_b32 s17, vcc_lo
	s_cbranch_execz .LBB4_4444
; %bb.4437:                             ;   in Loop: Header=BB4_3574 Depth=3
	v_mov_b32_e32 v181, 0
	s_mov_b32 s31, exec_lo
	v_cmpx_ne_u32_e32 0, v183
	s_cbranch_execz .LBB4_4443
; %bb.4438:                             ;   in Loop: Header=BB4_3574 Depth=3
	v_bfe_u32 v181, v183, 23, 8
	v_and_b32_e32 v182, 0x7fffff, v183
	s_delay_alu instid0(VALU_DEP_2) | instskip(SKIP_1) | instid1(VALU_DEP_3)
	v_sub_nc_u32_e32 v40, 0x78, v181
	v_cmp_gt_u32_e32 vcc_lo, 0x79, v181
	v_or_b32_e32 v41, 0x800000, v182
	s_delay_alu instid0(VALU_DEP_3) | instskip(SKIP_2) | instid1(VALU_DEP_3)
	v_cndmask_b32_e32 v40, 0, v40, vcc_lo
	v_cmp_eq_u32_e32 vcc_lo, 0, v181
	v_add_nc_u32_e32 v181, 0xffffff89, v181
	v_cndmask_b32_e64 v40, v40, 0x77, vcc_lo
	v_cndmask_b32_e32 v182, v41, v182, vcc_lo
	s_delay_alu instid0(VALU_DEP_3) | instskip(NEXT) | instid1(VALU_DEP_3)
	v_cndmask_b32_e64 v181, v181, 0xffffff8a, vcc_lo
	v_lshl_add_u32 v41, 0x100000, v40, -1
	s_delay_alu instid0(VALU_DEP_3) | instskip(SKIP_1) | instid1(VALU_DEP_4)
	v_lshrrev_b32_e32 v42, v40, v182
	v_lshlrev_b32_e64 v44, v40, 0x80000
	v_add_nc_u32_e32 v40, v40, v181
	s_delay_alu instid0(VALU_DEP_4) | instskip(NEXT) | instid1(VALU_DEP_4)
	v_and_b32_e32 v182, v41, v182
	v_bfe_u32 v43, v42, 20, 1
	s_delay_alu instid0(VALU_DEP_2) | instskip(NEXT) | instid1(VALU_DEP_2)
	v_cmp_eq_u32_e64 s13, v182, v44
	v_add_nc_u32_e32 v41, -1, v43
	s_delay_alu instid0(VALU_DEP_1) | instskip(SKIP_2) | instid1(VALU_DEP_2)
	v_cndmask_b32_e64 v182, 0, v41, s13
	v_lshrrev_b32_e32 v41, 23, v42
	s_mov_b32 s13, exec_lo
	v_add_nc_u32_e32 v182, v182, v42
	s_delay_alu instid0(VALU_DEP_2) | instskip(NEXT) | instid1(VALU_DEP_2)
	v_xor_b32_e32 v41, 1, v41
	v_and_b32_e32 v181, 0xfffff, v182
	s_delay_alu instid0(VALU_DEP_1) | instskip(NEXT) | instid1(VALU_DEP_3)
	v_add_nc_u32_e32 v182, v181, v42
                                        ; implicit-def: $vgpr181
	v_cmpx_ne_u32_e64 v40, v41
	s_xor_b32 s13, exec_lo, s13
; %bb.4439:                             ;   in Loop: Header=BB4_3574 Depth=3
	s_delay_alu instid0(VALU_DEP_2) | instskip(SKIP_2) | instid1(VALU_DEP_2)
	v_cmp_lt_u32_e32 vcc_lo, 0xffffff, v182
	v_sub_nc_u32_e32 v181, v40, v41
	v_cndmask_b32_e64 v40, 0, 1, vcc_lo
	v_add_co_ci_u32_e32 v181, vcc_lo, 0, v181, vcc_lo
	s_delay_alu instid0(VALU_DEP_2)
	v_lshrrev_b32_e32 v182, v40, v182
; %bb.4440:                             ;   in Loop: Header=BB4_3574 Depth=3
	s_and_not1_saveexec_b32 s13, s13
; %bb.4441:                             ;   in Loop: Header=BB4_3574 Depth=3
	s_delay_alu instid0(VALU_DEP_1)
	v_bfe_u32 v181, v182, 23, 1
; %bb.4442:                             ;   in Loop: Header=BB4_3574 Depth=3
	s_or_b32 exec_lo, exec_lo, s13
	v_lshrrev_b32_e32 v182, 20, v182
	s_delay_alu instid0(VALU_DEP_2) | instskip(SKIP_2) | instid1(VALU_DEP_2)
	v_cmp_gt_i32_e32 vcc_lo, 16, v181
	v_lshrrev_b32_e32 v183, 24, v183
	v_min_i32_e32 v40, 15, v181
	v_dual_cndmask_b32 v182, 7, v182 :: v_dual_and_b32 v183, 0x80, v183
	s_delay_alu instid0(VALU_DEP_1) | instskip(SKIP_1) | instid1(VALU_DEP_2)
	v_or_b32_e32 v181, v181, v182
	v_and_b32_e32 v41, 7, v182
	v_cmp_ne_u32_e32 vcc_lo, 0, v181
	v_lshlrev_b32_e32 v40, 3, v40
	s_delay_alu instid0(VALU_DEP_1) | instskip(NEXT) | instid1(VALU_DEP_1)
	v_or3_b32 v182, v40, v183, v41
	v_cndmask_b32_e32 v181, 0, v182, vcc_lo
.LBB4_4443:                             ;   in Loop: Header=BB4_3574 Depth=3
	s_or_b32 exec_lo, exec_lo, s31
.LBB4_4444:                             ;   in Loop: Header=BB4_3574 Depth=3
	s_delay_alu instid0(SALU_CYCLE_1) | instskip(SKIP_3) | instid1(VALU_DEP_2)
	s_or_b32 exec_lo, exec_lo, s17
	v_lshrrev_b32_e32 v183, 16, v15
	v_lshrrev_b32_e32 v182, 16, v11
	s_and_not1_b32 vcc_lo, exec_lo, s16
	v_and_b32_e32 v40, 0xff, v183
	s_delay_alu instid0(VALU_DEP_1)
	v_cmp_lt_i16_e64 s13, 0x7f, v40
	s_cbranch_vccnz .LBB4_4454
; %bb.4445:                             ;   in Loop: Header=BB4_3574 Depth=3
	s_mov_b32 s17, 0
                                        ; implicit-def: $sgpr31
	s_delay_alu instid0(VALU_DEP_1) | instskip(NEXT) | instid1(SALU_CYCLE_1)
	s_and_saveexec_b32 vcc_lo, s13
	s_xor_b32 s13, exec_lo, vcc_lo
	s_cbranch_execnz .LBB4_4980
; %bb.4446:                             ;   in Loop: Header=BB4_3574 Depth=3
	s_or_saveexec_b32 s13, s13
	v_mov_b32_e32 v41, s31
	s_xor_b32 exec_lo, exec_lo, s13
	s_cbranch_execnz .LBB4_4983
.LBB4_4447:                             ;   in Loop: Header=BB4_3574 Depth=3
	s_or_b32 exec_lo, exec_lo, s13
	s_and_saveexec_b32 s13, s17
	s_cbranch_execz .LBB4_4449
.LBB4_4448:                             ;   in Loop: Header=BB4_3574 Depth=3
	v_bfe_u32 v41, v15, 16, 3
	v_bfe_u32 v44, v15, 19, 4
	v_lshlrev_b32_e32 v45, 24, v183
	s_delay_alu instid0(VALU_DEP_3) | instskip(NEXT) | instid1(VALU_DEP_3)
	v_clz_i32_u32_e32 v42, v41
	v_cmp_eq_u32_e32 vcc_lo, 0, v44
	s_delay_alu instid0(VALU_DEP_2) | instskip(NEXT) | instid1(VALU_DEP_1)
	v_min_u32_e32 v42, 32, v42
	v_subrev_nc_u32_e32 v43, 28, v42
	v_sub_nc_u32_e32 v42, 29, v42
	s_delay_alu instid0(VALU_DEP_1) | instskip(NEXT) | instid1(VALU_DEP_1)
	v_dual_cndmask_b32 v42, v44, v42 :: v_dual_lshlrev_b32 v43, v43, v183
	v_and_b32_e32 v43, 7, v43
	s_delay_alu instid0(VALU_DEP_2) | instskip(NEXT) | instid1(VALU_DEP_2)
	v_lshl_add_u32 v42, v42, 23, 0x3b800000
	v_cndmask_b32_e32 v41, v41, v43, vcc_lo
	v_and_b32_e32 v43, 0x80000000, v45
	s_delay_alu instid0(VALU_DEP_2) | instskip(NEXT) | instid1(VALU_DEP_1)
	v_lshlrev_b32_e32 v41, 20, v41
	v_or3_b32 v41, v43, v42, v41
.LBB4_4449:                             ;   in Loop: Header=BB4_3574 Depth=3
	s_or_b32 exec_lo, exec_lo, s13
	v_and_b32_e32 v43, 0xff, v182
	s_mov_b32 s13, 0
	s_mov_b32 s31, exec_lo
                                        ; implicit-def: $sgpr17
	s_delay_alu instid0(VALU_DEP_1)
	v_cmpx_lt_i16_e32 0x7f, v43
	s_xor_b32 s31, exec_lo, s31
	s_cbranch_execnz .LBB4_4984
; %bb.4450:                             ;   in Loop: Header=BB4_3574 Depth=3
	s_or_saveexec_b32 s31, s31
	v_mov_b32_e32 v42, s17
	s_xor_b32 exec_lo, exec_lo, s31
	s_cbranch_execnz .LBB4_4987
.LBB4_4451:                             ;   in Loop: Header=BB4_3574 Depth=3
	s_or_b32 exec_lo, exec_lo, s31
	s_and_saveexec_b32 s17, s13
	s_cbranch_execz .LBB4_4453
.LBB4_4452:                             ;   in Loop: Header=BB4_3574 Depth=3
	v_bfe_u32 v42, v11, 16, 3
	v_bfe_u32 v45, v11, 19, 4
	v_lshlrev_b32_e32 v46, 24, v182
	s_delay_alu instid0(VALU_DEP_3) | instskip(NEXT) | instid1(VALU_DEP_3)
	v_clz_i32_u32_e32 v43, v42
	v_cmp_eq_u32_e32 vcc_lo, 0, v45
	s_delay_alu instid0(VALU_DEP_2) | instskip(NEXT) | instid1(VALU_DEP_1)
	v_min_u32_e32 v43, 32, v43
	v_subrev_nc_u32_e32 v44, 28, v43
	v_sub_nc_u32_e32 v43, 29, v43
	s_delay_alu instid0(VALU_DEP_1) | instskip(NEXT) | instid1(VALU_DEP_1)
	v_dual_cndmask_b32 v43, v45, v43 :: v_dual_lshlrev_b32 v44, v44, v182
	v_and_b32_e32 v44, 7, v44
	s_delay_alu instid0(VALU_DEP_2) | instskip(NEXT) | instid1(VALU_DEP_2)
	v_lshl_add_u32 v43, v43, 23, 0x3b800000
	v_cndmask_b32_e32 v42, v42, v44, vcc_lo
	v_and_b32_e32 v44, 0x80000000, v46
	s_delay_alu instid0(VALU_DEP_2) | instskip(NEXT) | instid1(VALU_DEP_1)
	v_lshlrev_b32_e32 v42, 20, v42
	v_or3_b32 v42, v44, v43, v42
.LBB4_4453:                             ;   in Loop: Header=BB4_3574 Depth=3
	s_or_b32 exec_lo, exec_lo, s17
	s_delay_alu instid0(VALU_DEP_1) | instskip(SKIP_1) | instid1(VALU_DEP_1)
	v_dual_max_f32 v42, v42, v42 :: v_dual_max_f32 v41, v41, v41
	s_mov_b32 s13, 0
	v_max_f32_e32 v41, v41, v42
	s_branch .LBB4_4455
.LBB4_4454:                             ;   in Loop: Header=BB4_3574 Depth=3
	s_mov_b32 s13, -1
                                        ; implicit-def: $vgpr41
.LBB4_4455:                             ;   in Loop: Header=BB4_3574 Depth=3
	s_delay_alu instid0(SALU_CYCLE_1)
	s_and_b32 vcc_lo, exec_lo, s13
	s_cbranch_vccz .LBB4_4465
; %bb.4456:                             ;   in Loop: Header=BB4_3574 Depth=3
	s_mov_b32 s13, 0
	s_mov_b32 s31, exec_lo
                                        ; implicit-def: $sgpr17
	v_cmpx_lt_i16_e32 0x7f, v40
	s_xor_b32 s31, exec_lo, s31
	s_cbranch_execnz .LBB4_4988
; %bb.4457:                             ;   in Loop: Header=BB4_3574 Depth=3
	s_or_saveexec_b32 s31, s31
	v_mov_b32_e32 v41, s17
	s_xor_b32 exec_lo, exec_lo, s31
	s_cbranch_execnz .LBB4_4991
.LBB4_4458:                             ;   in Loop: Header=BB4_3574 Depth=3
	s_or_b32 exec_lo, exec_lo, s31
	s_and_saveexec_b32 s17, s13
	s_cbranch_execz .LBB4_4460
.LBB4_4459:                             ;   in Loop: Header=BB4_3574 Depth=3
	v_bfe_u32 v40, v15, 16, 3
	v_bfe_u32 v43, v15, 19, 4
	s_delay_alu instid0(VALU_DEP_2) | instskip(NEXT) | instid1(VALU_DEP_2)
	v_clz_i32_u32_e32 v41, v40
	v_cmp_eq_u32_e32 vcc_lo, 0, v43
	s_delay_alu instid0(VALU_DEP_2) | instskip(NEXT) | instid1(VALU_DEP_1)
	v_min_u32_e32 v41, 32, v41
	v_subrev_nc_u32_e32 v42, 28, v41
	v_sub_nc_u32_e32 v41, 29, v41
	s_delay_alu instid0(VALU_DEP_1) | instskip(NEXT) | instid1(VALU_DEP_1)
	v_dual_cndmask_b32 v41, v43, v41 :: v_dual_lshlrev_b32 v42, v42, v183
	v_and_b32_e32 v42, 7, v42
	v_lshlrev_b32_e32 v183, 24, v183
	s_delay_alu instid0(VALU_DEP_3) | instskip(NEXT) | instid1(VALU_DEP_2)
	v_lshl_add_u32 v41, v41, 23, 0x3b800000
	v_dual_cndmask_b32 v40, v40, v42 :: v_dual_and_b32 v183, 0x80000000, v183
	s_delay_alu instid0(VALU_DEP_1) | instskip(NEXT) | instid1(VALU_DEP_1)
	v_lshlrev_b32_e32 v40, 20, v40
	v_or3_b32 v41, v183, v41, v40
.LBB4_4460:                             ;   in Loop: Header=BB4_3574 Depth=3
	s_or_b32 exec_lo, exec_lo, s17
	v_and_b32_e32 v40, 0xff, v182
	s_mov_b32 s13, 0
	s_mov_b32 s31, exec_lo
                                        ; implicit-def: $sgpr17
	s_delay_alu instid0(VALU_DEP_1)
	v_cmpx_lt_i16_e32 0x7f, v40
	s_xor_b32 s31, exec_lo, s31
	s_cbranch_execnz .LBB4_4992
; %bb.4461:                             ;   in Loop: Header=BB4_3574 Depth=3
	s_or_saveexec_b32 s31, s31
	v_mov_b32_e32 v183, s17
	s_xor_b32 exec_lo, exec_lo, s31
	s_cbranch_execnz .LBB4_4995
.LBB4_4462:                             ;   in Loop: Header=BB4_3574 Depth=3
	s_or_b32 exec_lo, exec_lo, s31
	s_and_saveexec_b32 s17, s13
	s_cbranch_execz .LBB4_4464
.LBB4_4463:                             ;   in Loop: Header=BB4_3574 Depth=3
	v_bfe_u32 v183, v11, 16, 3
	v_bfe_u32 v43, v11, 19, 4
	s_delay_alu instid0(VALU_DEP_2) | instskip(NEXT) | instid1(VALU_DEP_2)
	v_clz_i32_u32_e32 v40, v183
	v_cmp_eq_u32_e32 vcc_lo, 0, v43
	s_delay_alu instid0(VALU_DEP_2) | instskip(NEXT) | instid1(VALU_DEP_1)
	v_min_u32_e32 v40, 32, v40
	v_subrev_nc_u32_e32 v42, 28, v40
	v_sub_nc_u32_e32 v40, 29, v40
	s_delay_alu instid0(VALU_DEP_2) | instskip(SKIP_1) | instid1(VALU_DEP_2)
	v_lshlrev_b32_e32 v42, v42, v182
	v_lshlrev_b32_e32 v182, 24, v182
	v_and_b32_e32 v42, 7, v42
	s_delay_alu instid0(VALU_DEP_2) | instskip(NEXT) | instid1(VALU_DEP_2)
	v_and_b32_e32 v182, 0x80000000, v182
	v_cndmask_b32_e32 v183, v183, v42, vcc_lo
	s_delay_alu instid0(VALU_DEP_1) | instskip(NEXT) | instid1(VALU_DEP_1)
	v_dual_cndmask_b32 v40, v43, v40 :: v_dual_lshlrev_b32 v183, 20, v183
	v_lshl_add_u32 v40, v40, 23, 0x3b800000
	s_delay_alu instid0(VALU_DEP_1)
	v_or3_b32 v183, v182, v40, v183
.LBB4_4464:                             ;   in Loop: Header=BB4_3574 Depth=3
	s_or_b32 exec_lo, exec_lo, s17
	s_delay_alu instid0(VALU_DEP_1) | instskip(NEXT) | instid1(VALU_DEP_1)
	v_dual_max_f32 v182, v183, v183 :: v_dual_max_f32 v183, v41, v41
	v_min_f32_e32 v41, v183, v182
.LBB4_4465:                             ;   in Loop: Header=BB4_3574 Depth=3
	s_delay_alu instid0(VALU_DEP_1) | instskip(NEXT) | instid1(VALU_DEP_1)
	v_and_b32_e32 v182, 0x7f800000, v41
	v_cmp_ne_u32_e32 vcc_lo, 0x7f800000, v182
	v_mov_b32_e32 v182, 0x80
	s_and_saveexec_b32 s17, vcc_lo
	s_cbranch_execz .LBB4_4473
; %bb.4466:                             ;   in Loop: Header=BB4_3574 Depth=3
	v_mov_b32_e32 v182, 0
	s_mov_b32 s31, exec_lo
	v_cmpx_ne_u32_e32 0, v41
	s_cbranch_execz .LBB4_4472
; %bb.4467:                             ;   in Loop: Header=BB4_3574 Depth=3
	v_bfe_u32 v182, v41, 23, 8
	s_delay_alu instid0(VALU_DEP_1) | instskip(SKIP_1) | instid1(VALU_DEP_2)
	v_sub_nc_u32_e32 v40, 0x78, v182
	v_cmp_gt_u32_e32 vcc_lo, 0x79, v182
	v_dual_cndmask_b32 v40, 0, v40 :: v_dual_and_b32 v183, 0x7fffff, v41
	s_delay_alu instid0(VALU_DEP_1) | instskip(SKIP_2) | instid1(VALU_DEP_4)
	v_or_b32_e32 v42, 0x800000, v183
	v_cmp_eq_u32_e32 vcc_lo, 0, v182
	v_add_nc_u32_e32 v182, 0xffffff89, v182
	v_cndmask_b32_e64 v40, v40, 0x77, vcc_lo
	s_delay_alu instid0(VALU_DEP_4) | instskip(NEXT) | instid1(VALU_DEP_3)
	v_cndmask_b32_e32 v183, v42, v183, vcc_lo
	v_cndmask_b32_e64 v182, v182, 0xffffff8a, vcc_lo
	s_delay_alu instid0(VALU_DEP_3) | instskip(NEXT) | instid1(VALU_DEP_3)
	v_lshl_add_u32 v42, 0x100000, v40, -1
	v_lshrrev_b32_e32 v43, v40, v183
	v_lshlrev_b32_e64 v45, v40, 0x80000
	s_delay_alu instid0(VALU_DEP_4) | instskip(NEXT) | instid1(VALU_DEP_4)
	v_add_nc_u32_e32 v40, v40, v182
	v_and_b32_e32 v183, v42, v183
	s_delay_alu instid0(VALU_DEP_4) | instskip(NEXT) | instid1(VALU_DEP_2)
	v_bfe_u32 v44, v43, 20, 1
	v_cmp_eq_u32_e64 s13, v183, v45
	s_delay_alu instid0(VALU_DEP_2) | instskip(NEXT) | instid1(VALU_DEP_1)
	v_add_nc_u32_e32 v42, -1, v44
	v_cndmask_b32_e64 v183, 0, v42, s13
	v_lshrrev_b32_e32 v42, 23, v43
	s_mov_b32 s13, exec_lo
	s_delay_alu instid0(VALU_DEP_2) | instskip(NEXT) | instid1(VALU_DEP_2)
	v_add_nc_u32_e32 v183, v183, v43
	v_xor_b32_e32 v42, 1, v42
	s_delay_alu instid0(VALU_DEP_2) | instskip(NEXT) | instid1(VALU_DEP_1)
	v_and_b32_e32 v182, 0xfffff, v183
	v_add_nc_u32_e32 v183, v182, v43
                                        ; implicit-def: $vgpr182
	s_delay_alu instid0(VALU_DEP_3)
	v_cmpx_ne_u32_e64 v40, v42
	s_xor_b32 s13, exec_lo, s13
; %bb.4468:                             ;   in Loop: Header=BB4_3574 Depth=3
	s_delay_alu instid0(VALU_DEP_2) | instskip(SKIP_2) | instid1(VALU_DEP_2)
	v_cmp_lt_u32_e32 vcc_lo, 0xffffff, v183
	v_sub_nc_u32_e32 v182, v40, v42
	v_cndmask_b32_e64 v40, 0, 1, vcc_lo
	v_add_co_ci_u32_e32 v182, vcc_lo, 0, v182, vcc_lo
	s_delay_alu instid0(VALU_DEP_2)
	v_lshrrev_b32_e32 v183, v40, v183
; %bb.4469:                             ;   in Loop: Header=BB4_3574 Depth=3
	s_and_not1_saveexec_b32 s13, s13
; %bb.4470:                             ;   in Loop: Header=BB4_3574 Depth=3
	s_delay_alu instid0(VALU_DEP_1)
	v_bfe_u32 v182, v183, 23, 1
; %bb.4471:                             ;   in Loop: Header=BB4_3574 Depth=3
	s_or_b32 exec_lo, exec_lo, s13
	v_lshrrev_b32_e32 v183, 20, v183
	s_delay_alu instid0(VALU_DEP_2) | instskip(SKIP_2) | instid1(VALU_DEP_2)
	v_cmp_gt_i32_e32 vcc_lo, 16, v182
	v_min_i32_e32 v40, 15, v182
	v_lshrrev_b32_e32 v41, 24, v41
	v_dual_cndmask_b32 v183, 7, v183 :: v_dual_lshlrev_b32 v40, 3, v40
	s_delay_alu instid0(VALU_DEP_1) | instskip(SKIP_1) | instid1(VALU_DEP_3)
	v_or_b32_e32 v182, v182, v183
	v_and_b32_e32 v42, 7, v183
	v_and_b32_e32 v40, 0xf8, v40
	s_delay_alu instid0(VALU_DEP_3) | instskip(SKIP_1) | instid1(VALU_DEP_1)
	v_cmp_ne_u32_e32 vcc_lo, 0, v182
	v_and_b32_e32 v41, 0x80, v41
	v_or3_b32 v183, v40, v41, v42
	s_delay_alu instid0(VALU_DEP_1)
	v_cndmask_b32_e32 v182, 0, v183, vcc_lo
.LBB4_4472:                             ;   in Loop: Header=BB4_3574 Depth=3
	s_or_b32 exec_lo, exec_lo, s31
.LBB4_4473:                             ;   in Loop: Header=BB4_3574 Depth=3
	s_delay_alu instid0(SALU_CYCLE_1) | instskip(SKIP_3) | instid1(VALU_DEP_2)
	s_or_b32 exec_lo, exec_lo, s17
	v_lshrrev_b32_e32 v40, 24, v15
	v_lshrrev_b32_e32 v183, 24, v11
	s_and_not1_b32 vcc_lo, exec_lo, s16
	v_cmp_lt_i16_e64 s13, 0x7f, v40
	s_cbranch_vccnz .LBB4_4483
; %bb.4474:                             ;   in Loop: Header=BB4_3574 Depth=3
	s_mov_b32 s17, 0
                                        ; implicit-def: $sgpr31
	s_delay_alu instid0(VALU_DEP_1) | instskip(NEXT) | instid1(SALU_CYCLE_1)
	s_and_saveexec_b32 vcc_lo, s13
	s_xor_b32 s13, exec_lo, vcc_lo
	s_cbranch_execnz .LBB4_4996
; %bb.4475:                             ;   in Loop: Header=BB4_3574 Depth=3
	s_or_saveexec_b32 s13, s13
	v_mov_b32_e32 v41, s31
	s_xor_b32 exec_lo, exec_lo, s13
	s_cbranch_execnz .LBB4_4999
.LBB4_4476:                             ;   in Loop: Header=BB4_3574 Depth=3
	s_or_b32 exec_lo, exec_lo, s13
	s_and_saveexec_b32 s13, s17
	s_cbranch_execz .LBB4_4478
.LBB4_4477:                             ;   in Loop: Header=BB4_3574 Depth=3
	v_bfe_u32 v41, v15, 24, 3
	v_bfe_u32 v44, v15, 27, 4
	s_delay_alu instid0(VALU_DEP_2) | instskip(NEXT) | instid1(VALU_DEP_2)
	v_clz_i32_u32_e32 v42, v41
	v_cmp_eq_u32_e32 vcc_lo, 0, v44
	s_delay_alu instid0(VALU_DEP_2) | instskip(NEXT) | instid1(VALU_DEP_1)
	v_min_u32_e32 v42, 32, v42
	v_subrev_nc_u32_e32 v43, 28, v42
	v_sub_nc_u32_e32 v42, 29, v42
	s_delay_alu instid0(VALU_DEP_1) | instskip(NEXT) | instid1(VALU_DEP_1)
	v_dual_cndmask_b32 v42, v44, v42 :: v_dual_lshlrev_b32 v43, v43, v40
	v_and_b32_e32 v43, 7, v43
	s_delay_alu instid0(VALU_DEP_2) | instskip(NEXT) | instid1(VALU_DEP_2)
	v_lshl_add_u32 v42, v42, 23, 0x3b800000
	v_cndmask_b32_e32 v41, v41, v43, vcc_lo
	v_and_b32_e32 v43, 0x80000000, v15
	s_delay_alu instid0(VALU_DEP_2) | instskip(NEXT) | instid1(VALU_DEP_1)
	v_lshlrev_b32_e32 v41, 20, v41
	v_or3_b32 v41, v43, v42, v41
.LBB4_4478:                             ;   in Loop: Header=BB4_3574 Depth=3
	s_or_b32 exec_lo, exec_lo, s13
	s_mov_b32 s13, 0
	s_mov_b32 s31, exec_lo
                                        ; implicit-def: $sgpr17
	v_cmpx_lt_i16_e64 0x7f, v183
	s_xor_b32 s31, exec_lo, s31
	s_cbranch_execnz .LBB4_5000
; %bb.4479:                             ;   in Loop: Header=BB4_3574 Depth=3
	s_or_saveexec_b32 s31, s31
	v_mov_b32_e32 v42, s17
	s_xor_b32 exec_lo, exec_lo, s31
	s_cbranch_execnz .LBB4_5003
.LBB4_4480:                             ;   in Loop: Header=BB4_3574 Depth=3
	s_or_b32 exec_lo, exec_lo, s31
	s_and_saveexec_b32 s17, s13
	s_cbranch_execz .LBB4_4482
.LBB4_4481:                             ;   in Loop: Header=BB4_3574 Depth=3
	v_bfe_u32 v42, v11, 24, 3
	v_bfe_u32 v45, v11, 27, 4
	s_delay_alu instid0(VALU_DEP_2) | instskip(NEXT) | instid1(VALU_DEP_2)
	v_clz_i32_u32_e32 v43, v42
	v_cmp_eq_u32_e32 vcc_lo, 0, v45
	s_delay_alu instid0(VALU_DEP_2) | instskip(NEXT) | instid1(VALU_DEP_1)
	v_min_u32_e32 v43, 32, v43
	v_subrev_nc_u32_e32 v44, 28, v43
	v_sub_nc_u32_e32 v43, 29, v43
	s_delay_alu instid0(VALU_DEP_2) | instskip(NEXT) | instid1(VALU_DEP_1)
	v_lshlrev_b32_e32 v44, v44, v183
	v_dual_cndmask_b32 v43, v45, v43 :: v_dual_and_b32 v44, 7, v44
	s_delay_alu instid0(VALU_DEP_1) | instskip(NEXT) | instid1(VALU_DEP_2)
	v_lshl_add_u32 v43, v43, 23, 0x3b800000
	v_cndmask_b32_e32 v42, v42, v44, vcc_lo
	v_and_b32_e32 v44, 0x80000000, v11
	s_delay_alu instid0(VALU_DEP_2) | instskip(NEXT) | instid1(VALU_DEP_1)
	v_lshlrev_b32_e32 v42, 20, v42
	v_or3_b32 v42, v44, v43, v42
.LBB4_4482:                             ;   in Loop: Header=BB4_3574 Depth=3
	s_or_b32 exec_lo, exec_lo, s17
	s_delay_alu instid0(VALU_DEP_1) | instskip(SKIP_1) | instid1(VALU_DEP_1)
	v_dual_max_f32 v42, v42, v42 :: v_dual_max_f32 v41, v41, v41
	s_mov_b32 s13, 0
	v_max_f32_e32 v41, v41, v42
	s_branch .LBB4_4484
.LBB4_4483:                             ;   in Loop: Header=BB4_3574 Depth=3
	s_mov_b32 s13, -1
                                        ; implicit-def: $vgpr41
.LBB4_4484:                             ;   in Loop: Header=BB4_3574 Depth=3
	s_delay_alu instid0(SALU_CYCLE_1)
	s_and_b32 vcc_lo, exec_lo, s13
	s_cbranch_vccz .LBB4_4494
; %bb.4485:                             ;   in Loop: Header=BB4_3574 Depth=3
	s_mov_b32 s13, 0
	s_mov_b32 s31, exec_lo
                                        ; implicit-def: $sgpr17
	v_cmpx_lt_i16_e32 0x7f, v40
	s_xor_b32 s31, exec_lo, s31
	s_cbranch_execnz .LBB4_5004
; %bb.4486:                             ;   in Loop: Header=BB4_3574 Depth=3
	s_or_saveexec_b32 s31, s31
	v_mov_b32_e32 v41, s17
	s_xor_b32 exec_lo, exec_lo, s31
	s_cbranch_execnz .LBB4_5007
.LBB4_4487:                             ;   in Loop: Header=BB4_3574 Depth=3
	s_or_b32 exec_lo, exec_lo, s31
	s_and_saveexec_b32 s17, s13
	s_cbranch_execz .LBB4_4489
.LBB4_4488:                             ;   in Loop: Header=BB4_3574 Depth=3
	v_bfe_u32 v41, v15, 24, 3
	s_delay_alu instid0(VALU_DEP_1) | instskip(NEXT) | instid1(VALU_DEP_1)
	v_clz_i32_u32_e32 v42, v41
	v_min_u32_e32 v42, 32, v42
	s_delay_alu instid0(VALU_DEP_1) | instskip(SKIP_1) | instid1(VALU_DEP_2)
	v_subrev_nc_u32_e32 v43, 28, v42
	v_sub_nc_u32_e32 v42, 29, v42
	v_lshlrev_b32_e32 v40, v43, v40
	v_bfe_u32 v43, v15, 27, 4
	v_and_b32_e32 v15, 0x80000000, v15
	s_delay_alu instid0(VALU_DEP_3) | instskip(NEXT) | instid1(VALU_DEP_3)
	v_and_b32_e32 v40, 7, v40
	v_cmp_eq_u32_e32 vcc_lo, 0, v43
	v_cndmask_b32_e32 v42, v43, v42, vcc_lo
	s_delay_alu instid0(VALU_DEP_3) | instskip(NEXT) | instid1(VALU_DEP_2)
	v_cndmask_b32_e32 v40, v41, v40, vcc_lo
	v_lshl_add_u32 v41, v42, 23, 0x3b800000
	s_delay_alu instid0(VALU_DEP_2) | instskip(NEXT) | instid1(VALU_DEP_1)
	v_lshlrev_b32_e32 v40, 20, v40
	v_or3_b32 v41, v15, v41, v40
.LBB4_4489:                             ;   in Loop: Header=BB4_3574 Depth=3
	s_or_b32 exec_lo, exec_lo, s17
	s_mov_b32 s13, 0
	s_mov_b32 s31, exec_lo
                                        ; implicit-def: $sgpr17
	v_cmpx_lt_i16_e64 0x7f, v183
	s_xor_b32 s31, exec_lo, s31
	s_cbranch_execnz .LBB4_5008
; %bb.4490:                             ;   in Loop: Header=BB4_3574 Depth=3
	s_or_saveexec_b32 s31, s31
	v_mov_b32_e32 v15, s17
	s_xor_b32 exec_lo, exec_lo, s31
	s_cbranch_execnz .LBB4_5011
.LBB4_4491:                             ;   in Loop: Header=BB4_3574 Depth=3
	s_or_b32 exec_lo, exec_lo, s31
	s_and_saveexec_b32 s17, s13
	s_cbranch_execz .LBB4_4493
.LBB4_4492:                             ;   in Loop: Header=BB4_3574 Depth=3
	v_bfe_u32 v15, v11, 24, 3
	s_delay_alu instid0(VALU_DEP_1) | instskip(NEXT) | instid1(VALU_DEP_1)
	v_clz_i32_u32_e32 v40, v15
	v_min_u32_e32 v40, 32, v40
	s_delay_alu instid0(VALU_DEP_1) | instskip(SKIP_1) | instid1(VALU_DEP_2)
	v_subrev_nc_u32_e32 v42, 28, v40
	v_sub_nc_u32_e32 v40, 29, v40
	v_lshlrev_b32_e32 v183, v42, v183
	v_bfe_u32 v42, v11, 27, 4
	v_and_b32_e32 v11, 0x80000000, v11
	s_delay_alu instid0(VALU_DEP_2) | instskip(NEXT) | instid1(VALU_DEP_4)
	v_cmp_eq_u32_e32 vcc_lo, 0, v42
	v_dual_cndmask_b32 v40, v42, v40 :: v_dual_and_b32 v183, 7, v183
	s_delay_alu instid0(VALU_DEP_1) | instskip(NEXT) | instid1(VALU_DEP_2)
	v_cndmask_b32_e32 v15, v15, v183, vcc_lo
	v_lshl_add_u32 v183, v40, 23, 0x3b800000
	s_delay_alu instid0(VALU_DEP_2) | instskip(NEXT) | instid1(VALU_DEP_1)
	v_lshlrev_b32_e32 v15, 20, v15
	v_or3_b32 v15, v11, v183, v15
.LBB4_4493:                             ;   in Loop: Header=BB4_3574 Depth=3
	s_or_b32 exec_lo, exec_lo, s17
	s_delay_alu instid0(VALU_DEP_1) | instskip(SKIP_1) | instid1(VALU_DEP_1)
	v_max_f32_e32 v11, v15, v15
	v_max_f32_e32 v15, v41, v41
	v_min_f32_e32 v41, v15, v11
.LBB4_4494:                             ;   in Loop: Header=BB4_3574 Depth=3
	s_delay_alu instid0(VALU_DEP_1) | instskip(NEXT) | instid1(VALU_DEP_1)
	v_and_b32_e32 v11, 0x7f800000, v41
	v_cmp_ne_u32_e32 vcc_lo, 0x7f800000, v11
	v_mov_b32_e32 v11, 0x8000
	s_and_saveexec_b32 s17, vcc_lo
	s_cbranch_execz .LBB4_3573
; %bb.4495:                             ;   in Loop: Header=BB4_3574 Depth=3
	v_mov_b32_e32 v11, 0
	s_mov_b32 s31, exec_lo
	v_cmpx_ne_u32_e32 0, v41
	s_cbranch_execz .LBB4_3572
; %bb.4496:                             ;   in Loop: Header=BB4_3574 Depth=3
	v_bfe_u32 v11, v41, 23, 8
	v_and_b32_e32 v15, 0x7fffff, v41
	s_delay_alu instid0(VALU_DEP_2) | instskip(SKIP_1) | instid1(VALU_DEP_3)
	v_sub_nc_u32_e32 v183, 0x78, v11
	v_cmp_gt_u32_e32 vcc_lo, 0x79, v11
	v_or_b32_e32 v40, 0x800000, v15
	s_delay_alu instid0(VALU_DEP_3) | instskip(SKIP_2) | instid1(VALU_DEP_3)
	v_cndmask_b32_e32 v183, 0, v183, vcc_lo
	v_cmp_eq_u32_e32 vcc_lo, 0, v11
	v_add_nc_u32_e32 v11, 0xffffff89, v11
	v_cndmask_b32_e64 v183, v183, 0x77, vcc_lo
	v_cndmask_b32_e32 v15, v40, v15, vcc_lo
	s_delay_alu instid0(VALU_DEP_3) | instskip(NEXT) | instid1(VALU_DEP_3)
	v_cndmask_b32_e64 v11, v11, 0xffffff8a, vcc_lo
	v_lshl_add_u32 v40, 0x100000, v183, -1
	s_delay_alu instid0(VALU_DEP_3) | instskip(SKIP_1) | instid1(VALU_DEP_4)
	v_lshrrev_b32_e32 v42, v183, v15
	v_lshlrev_b32_e64 v44, v183, 0x80000
	v_add_nc_u32_e32 v183, v183, v11
	s_delay_alu instid0(VALU_DEP_4) | instskip(NEXT) | instid1(VALU_DEP_4)
	v_and_b32_e32 v15, v40, v15
	v_bfe_u32 v43, v42, 20, 1
	s_delay_alu instid0(VALU_DEP_2) | instskip(NEXT) | instid1(VALU_DEP_2)
	v_cmp_eq_u32_e64 s13, v15, v44
	v_add_nc_u32_e32 v40, -1, v43
	s_delay_alu instid0(VALU_DEP_1) | instskip(SKIP_2) | instid1(VALU_DEP_2)
	v_cndmask_b32_e64 v15, 0, v40, s13
	v_lshrrev_b32_e32 v40, 23, v42
	s_mov_b32 s13, exec_lo
	v_add_nc_u32_e32 v15, v15, v42
	s_delay_alu instid0(VALU_DEP_2) | instskip(NEXT) | instid1(VALU_DEP_2)
	v_xor_b32_e32 v40, 1, v40
	v_and_b32_e32 v11, 0xfffff, v15
	s_delay_alu instid0(VALU_DEP_1) | instskip(NEXT) | instid1(VALU_DEP_3)
	v_add_nc_u32_e32 v15, v11, v42
                                        ; implicit-def: $vgpr11
	v_cmpx_ne_u32_e64 v183, v40
	s_xor_b32 s13, exec_lo, s13
; %bb.4497:                             ;   in Loop: Header=BB4_3574 Depth=3
	s_delay_alu instid0(VALU_DEP_2) | instskip(SKIP_2) | instid1(VALU_DEP_2)
	v_cmp_lt_u32_e32 vcc_lo, 0xffffff, v15
	v_sub_nc_u32_e32 v11, v183, v40
	v_cndmask_b32_e64 v183, 0, 1, vcc_lo
	v_add_co_ci_u32_e32 v11, vcc_lo, 0, v11, vcc_lo
	s_delay_alu instid0(VALU_DEP_2)
	v_lshrrev_b32_e32 v15, v183, v15
; %bb.4498:                             ;   in Loop: Header=BB4_3574 Depth=3
	s_and_not1_saveexec_b32 s13, s13
	s_cbranch_execz .LBB4_3571
; %bb.4499:                             ;   in Loop: Header=BB4_3574 Depth=3
	s_delay_alu instid0(VALU_DEP_1)
	v_bfe_u32 v11, v15, 23, 1
	s_branch .LBB4_3571
.LBB4_4500:                             ;   in Loop: Header=BB4_3574 Depth=3
	s_mov_b32 s17, -1
	s_mov_b32 s34, exec_lo
                                        ; implicit-def: $sgpr31
	v_cmpx_eq_u16_e64 0x80, v150
; %bb.4501:                             ;   in Loop: Header=BB4_3574 Depth=3
	s_mov_b32 s31, 0x7f800001
	s_xor_b32 s17, exec_lo, -1
; %bb.4502:                             ;   in Loop: Header=BB4_3574 Depth=3
	s_or_b32 exec_lo, exec_lo, s34
	s_delay_alu instid0(SALU_CYCLE_1)
	s_and_b32 s17, s17, exec_lo
	s_or_saveexec_b32 s13, s13
	v_mov_b32_e32 v151, s31
	s_xor_b32 exec_lo, exec_lo, s13
	s_cbranch_execz .LBB4_3577
.LBB4_4503:                             ;   in Loop: Header=BB4_3574 Depth=3
	v_cmp_ne_u16_e64 vcc_lo, 0, v150
	v_mov_b32_e32 v151, 0
	s_and_not1_b32 s17, s17, exec_lo
	s_delay_alu instid0(VALU_DEP_2) | instskip(NEXT) | instid1(SALU_CYCLE_1)
	s_and_b32 vcc_lo, vcc_lo, exec_lo
	s_or_b32 s17, s17, vcc_lo
	s_or_b32 exec_lo, exec_lo, s13
	s_and_saveexec_b32 s13, s17
	s_cbranch_execnz .LBB4_3578
	s_branch .LBB4_3579
.LBB4_4504:                             ;   in Loop: Header=BB4_3574 Depth=3
	s_mov_b32 s13, -1
	s_mov_b32 s34, exec_lo
                                        ; implicit-def: $sgpr17
	v_cmpx_eq_u16_e64 0x80, v161
; %bb.4505:                             ;   in Loop: Header=BB4_3574 Depth=3
	s_mov_b32 s17, 0x7f800001
	s_xor_b32 s13, exec_lo, -1
; %bb.4506:                             ;   in Loop: Header=BB4_3574 Depth=3
	s_or_b32 exec_lo, exec_lo, s34
	s_delay_alu instid0(SALU_CYCLE_1)
	s_and_b32 s13, s13, exec_lo
                                        ; implicit-def: $vgpr161
	s_or_saveexec_b32 s31, s31
	v_mov_b32_e32 v160, s17
	s_xor_b32 exec_lo, exec_lo, s31
	s_cbranch_execz .LBB4_3581
.LBB4_4507:                             ;   in Loop: Header=BB4_3574 Depth=3
	v_cmp_ne_u16_e64 vcc_lo, 0, v161
	v_mov_b32_e32 v160, 0
	s_and_not1_b32 s13, s13, exec_lo
	s_delay_alu instid0(VALU_DEP_2) | instskip(NEXT) | instid1(SALU_CYCLE_1)
	s_and_b32 s17, vcc_lo, exec_lo
	s_or_b32 s13, s13, s17
	s_or_b32 exec_lo, exec_lo, s31
	s_and_saveexec_b32 s17, s13
	s_cbranch_execnz .LBB4_3582
	s_branch .LBB4_3583
.LBB4_4508:                             ;   in Loop: Header=BB4_3574 Depth=3
	s_mov_b32 s13, -1
	s_mov_b32 s34, exec_lo
                                        ; implicit-def: $sgpr17
	v_cmpx_eq_u16_e64 0x80, v150
; %bb.4509:                             ;   in Loop: Header=BB4_3574 Depth=3
	s_mov_b32 s17, 0x7f800001
	s_xor_b32 s13, exec_lo, -1
; %bb.4510:                             ;   in Loop: Header=BB4_3574 Depth=3
	s_or_b32 exec_lo, exec_lo, s34
	s_delay_alu instid0(SALU_CYCLE_1)
	s_and_b32 s13, s13, exec_lo
                                        ; implicit-def: $vgpr150
	s_or_saveexec_b32 s31, s31
	v_mov_b32_e32 v151, s17
	s_xor_b32 exec_lo, exec_lo, s31
	s_cbranch_execz .LBB4_3588
.LBB4_4511:                             ;   in Loop: Header=BB4_3574 Depth=3
	v_cmp_ne_u16_e64 vcc_lo, 0, v150
	v_mov_b32_e32 v151, 0
	s_and_not1_b32 s13, s13, exec_lo
	s_delay_alu instid0(VALU_DEP_2) | instskip(NEXT) | instid1(SALU_CYCLE_1)
	s_and_b32 s17, vcc_lo, exec_lo
	s_or_b32 s13, s13, s17
	s_or_b32 exec_lo, exec_lo, s31
	s_and_saveexec_b32 s17, s13
	s_cbranch_execnz .LBB4_3589
	s_branch .LBB4_3590
.LBB4_4512:                             ;   in Loop: Header=BB4_3574 Depth=3
	s_mov_b32 s13, -1
	s_mov_b32 s34, exec_lo
                                        ; implicit-def: $sgpr17
	v_cmpx_eq_u16_e64 0x80, v160
; %bb.4513:                             ;   in Loop: Header=BB4_3574 Depth=3
	s_mov_b32 s17, 0x7f800001
	s_xor_b32 s13, exec_lo, -1
; %bb.4514:                             ;   in Loop: Header=BB4_3574 Depth=3
	s_or_b32 exec_lo, exec_lo, s34
	s_delay_alu instid0(SALU_CYCLE_1)
	s_and_b32 s13, s13, exec_lo
                                        ; implicit-def: $vgpr160
	s_or_saveexec_b32 s31, s31
	v_mov_b32_e32 v150, s17
	s_xor_b32 exec_lo, exec_lo, s31
	s_cbranch_execz .LBB4_3592
.LBB4_4515:                             ;   in Loop: Header=BB4_3574 Depth=3
	v_cmp_ne_u16_e64 vcc_lo, 0, v160
	v_mov_b32_e32 v150, 0
	s_and_not1_b32 s13, s13, exec_lo
	s_delay_alu instid0(VALU_DEP_2) | instskip(NEXT) | instid1(SALU_CYCLE_1)
	s_and_b32 s17, vcc_lo, exec_lo
	s_or_b32 s13, s13, s17
	s_or_b32 exec_lo, exec_lo, s31
	s_and_saveexec_b32 s17, s13
	s_cbranch_execnz .LBB4_3593
	s_branch .LBB4_3594
.LBB4_4516:                             ;   in Loop: Header=BB4_3574 Depth=3
	s_mov_b32 s17, -1
	s_mov_b32 s34, exec_lo
                                        ; implicit-def: $sgpr31
	v_cmpx_eq_u16_e64 0x80, v160
; %bb.4517:                             ;   in Loop: Header=BB4_3574 Depth=3
	s_mov_b32 s31, 0x7f800001
	s_xor_b32 s17, exec_lo, -1
; %bb.4518:                             ;   in Loop: Header=BB4_3574 Depth=3
	s_or_b32 exec_lo, exec_lo, s34
	s_delay_alu instid0(SALU_CYCLE_1)
	s_and_b32 s17, s17, exec_lo
	s_or_saveexec_b32 s13, s13
	v_mov_b32_e32 v161, s31
	s_xor_b32 exec_lo, exec_lo, s13
	s_cbranch_execz .LBB4_3606
.LBB4_4519:                             ;   in Loop: Header=BB4_3574 Depth=3
	v_cmp_ne_u16_e64 vcc_lo, 0, v160
	v_mov_b32_e32 v161, 0
	s_and_not1_b32 s17, s17, exec_lo
	s_delay_alu instid0(VALU_DEP_2) | instskip(NEXT) | instid1(SALU_CYCLE_1)
	s_and_b32 vcc_lo, vcc_lo, exec_lo
	s_or_b32 s17, s17, vcc_lo
	s_or_b32 exec_lo, exec_lo, s13
	s_and_saveexec_b32 s13, s17
	s_cbranch_execnz .LBB4_3607
	s_branch .LBB4_3608
.LBB4_4520:                             ;   in Loop: Header=BB4_3574 Depth=3
	s_mov_b32 s13, -1
	s_mov_b32 s34, exec_lo
                                        ; implicit-def: $sgpr17
	v_cmpx_eq_u16_e64 0x80, v151
; %bb.4521:                             ;   in Loop: Header=BB4_3574 Depth=3
	s_mov_b32 s17, 0x7f800001
	s_xor_b32 s13, exec_lo, -1
; %bb.4522:                             ;   in Loop: Header=BB4_3574 Depth=3
	s_or_b32 exec_lo, exec_lo, s34
	s_delay_alu instid0(SALU_CYCLE_1)
	s_and_b32 s13, s13, exec_lo
	s_or_saveexec_b32 s31, s31
	v_mov_b32_e32 v162, s17
	s_xor_b32 exec_lo, exec_lo, s31
	s_cbranch_execz .LBB4_3610
.LBB4_4523:                             ;   in Loop: Header=BB4_3574 Depth=3
	v_cmp_ne_u16_e64 vcc_lo, 0, v151
	v_mov_b32_e32 v162, 0
	s_and_not1_b32 s13, s13, exec_lo
	s_delay_alu instid0(VALU_DEP_2) | instskip(NEXT) | instid1(SALU_CYCLE_1)
	s_and_b32 s17, vcc_lo, exec_lo
	s_or_b32 s13, s13, s17
	s_or_b32 exec_lo, exec_lo, s31
	s_and_saveexec_b32 s17, s13
	s_cbranch_execnz .LBB4_3611
	s_branch .LBB4_3612
.LBB4_4524:                             ;   in Loop: Header=BB4_3574 Depth=3
	s_mov_b32 s13, -1
	s_mov_b32 s34, exec_lo
                                        ; implicit-def: $sgpr17
	v_cmpx_eq_u16_e64 0x80, v160
; %bb.4525:                             ;   in Loop: Header=BB4_3574 Depth=3
	s_mov_b32 s17, 0x7f800001
	s_xor_b32 s13, exec_lo, -1
; %bb.4526:                             ;   in Loop: Header=BB4_3574 Depth=3
	s_or_b32 exec_lo, exec_lo, s34
	s_delay_alu instid0(SALU_CYCLE_1)
	s_and_b32 s13, s13, exec_lo
	s_or_saveexec_b32 s31, s31
	v_mov_b32_e32 v161, s17
	s_xor_b32 exec_lo, exec_lo, s31
	s_cbranch_execz .LBB4_3617
.LBB4_4527:                             ;   in Loop: Header=BB4_3574 Depth=3
	v_cmp_ne_u16_e64 vcc_lo, 0, v160
	v_mov_b32_e32 v161, 0
	s_and_not1_b32 s13, s13, exec_lo
	s_delay_alu instid0(VALU_DEP_2) | instskip(NEXT) | instid1(SALU_CYCLE_1)
	s_and_b32 s17, vcc_lo, exec_lo
	s_or_b32 s13, s13, s17
	s_or_b32 exec_lo, exec_lo, s31
	s_and_saveexec_b32 s17, s13
	s_cbranch_execnz .LBB4_3618
	s_branch .LBB4_3619
.LBB4_4528:                             ;   in Loop: Header=BB4_3574 Depth=3
	s_mov_b32 s13, -1
	s_mov_b32 s34, exec_lo
                                        ; implicit-def: $sgpr17
	v_cmpx_eq_u16_e64 0x80, v151
; %bb.4529:                             ;   in Loop: Header=BB4_3574 Depth=3
	s_mov_b32 s17, 0x7f800001
	s_xor_b32 s13, exec_lo, -1
; %bb.4530:                             ;   in Loop: Header=BB4_3574 Depth=3
	s_or_b32 exec_lo, exec_lo, s34
	s_delay_alu instid0(SALU_CYCLE_1)
	s_and_b32 s13, s13, exec_lo
	s_or_saveexec_b32 s31, s31
	v_mov_b32_e32 v160, s17
	s_xor_b32 exec_lo, exec_lo, s31
	s_cbranch_execz .LBB4_3621
.LBB4_4531:                             ;   in Loop: Header=BB4_3574 Depth=3
	v_cmp_ne_u16_e64 vcc_lo, 0, v151
	v_mov_b32_e32 v160, 0
	s_and_not1_b32 s13, s13, exec_lo
	s_delay_alu instid0(VALU_DEP_2) | instskip(NEXT) | instid1(SALU_CYCLE_1)
	s_and_b32 s17, vcc_lo, exec_lo
	s_or_b32 s13, s13, s17
	s_or_b32 exec_lo, exec_lo, s31
	s_and_saveexec_b32 s17, s13
	s_cbranch_execnz .LBB4_3622
	s_branch .LBB4_3623
.LBB4_4532:                             ;   in Loop: Header=BB4_3574 Depth=3
	s_mov_b32 s17, -1
	s_mov_b32 s34, exec_lo
                                        ; implicit-def: $sgpr31
	v_cmpx_eq_u16_e64 0x80, v162
; %bb.4533:                             ;   in Loop: Header=BB4_3574 Depth=3
	s_mov_b32 s31, 0x7f800001
	s_xor_b32 s17, exec_lo, -1
; %bb.4534:                             ;   in Loop: Header=BB4_3574 Depth=3
	s_or_b32 exec_lo, exec_lo, s34
	s_delay_alu instid0(SALU_CYCLE_1)
	s_and_b32 s17, s17, exec_lo
	s_or_saveexec_b32 s13, s13
	v_mov_b32_e32 v163, s31
	s_xor_b32 exec_lo, exec_lo, s13
	s_cbranch_execz .LBB4_3635
.LBB4_4535:                             ;   in Loop: Header=BB4_3574 Depth=3
	v_cmp_ne_u16_e64 vcc_lo, 0, v162
	v_mov_b32_e32 v163, 0
	s_and_not1_b32 s17, s17, exec_lo
	s_delay_alu instid0(VALU_DEP_2) | instskip(NEXT) | instid1(SALU_CYCLE_1)
	s_and_b32 vcc_lo, vcc_lo, exec_lo
	s_or_b32 s17, s17, vcc_lo
	s_or_b32 exec_lo, exec_lo, s13
	s_and_saveexec_b32 s13, s17
	s_cbranch_execnz .LBB4_3636
	s_branch .LBB4_3637
.LBB4_4536:                             ;   in Loop: Header=BB4_3574 Depth=3
	s_mov_b32 s13, -1
	s_mov_b32 s34, exec_lo
                                        ; implicit-def: $sgpr17
	v_cmpx_eq_u16_e64 0x80, v165
; %bb.4537:                             ;   in Loop: Header=BB4_3574 Depth=3
	s_mov_b32 s17, 0x7f800001
	s_xor_b32 s13, exec_lo, -1
; %bb.4538:                             ;   in Loop: Header=BB4_3574 Depth=3
	s_or_b32 exec_lo, exec_lo, s34
	s_delay_alu instid0(SALU_CYCLE_1)
	s_and_b32 s13, s13, exec_lo
                                        ; implicit-def: $vgpr165
	s_or_saveexec_b32 s31, s31
	v_mov_b32_e32 v164, s17
	s_xor_b32 exec_lo, exec_lo, s31
	s_cbranch_execz .LBB4_3639
.LBB4_4539:                             ;   in Loop: Header=BB4_3574 Depth=3
	v_cmp_ne_u16_e64 vcc_lo, 0, v165
	v_mov_b32_e32 v164, 0
	s_and_not1_b32 s13, s13, exec_lo
	s_delay_alu instid0(VALU_DEP_2) | instskip(NEXT) | instid1(SALU_CYCLE_1)
	s_and_b32 s17, vcc_lo, exec_lo
	s_or_b32 s13, s13, s17
	s_or_b32 exec_lo, exec_lo, s31
	s_and_saveexec_b32 s17, s13
	s_cbranch_execnz .LBB4_3640
	s_branch .LBB4_3641
.LBB4_4540:                             ;   in Loop: Header=BB4_3574 Depth=3
	s_mov_b32 s13, -1
	s_mov_b32 s34, exec_lo
                                        ; implicit-def: $sgpr17
	v_cmpx_eq_u16_e64 0x80, v162
; %bb.4541:                             ;   in Loop: Header=BB4_3574 Depth=3
	s_mov_b32 s17, 0x7f800001
	s_xor_b32 s13, exec_lo, -1
; %bb.4542:                             ;   in Loop: Header=BB4_3574 Depth=3
	s_or_b32 exec_lo, exec_lo, s34
	s_delay_alu instid0(SALU_CYCLE_1)
	s_and_b32 s13, s13, exec_lo
                                        ; implicit-def: $vgpr162
	s_or_saveexec_b32 s31, s31
	v_mov_b32_e32 v163, s17
	s_xor_b32 exec_lo, exec_lo, s31
	s_cbranch_execz .LBB4_3646
.LBB4_4543:                             ;   in Loop: Header=BB4_3574 Depth=3
	v_cmp_ne_u16_e64 vcc_lo, 0, v162
	v_mov_b32_e32 v163, 0
	s_and_not1_b32 s13, s13, exec_lo
	s_delay_alu instid0(VALU_DEP_2) | instskip(NEXT) | instid1(SALU_CYCLE_1)
	s_and_b32 s17, vcc_lo, exec_lo
	s_or_b32 s13, s13, s17
	s_or_b32 exec_lo, exec_lo, s31
	s_and_saveexec_b32 s17, s13
	s_cbranch_execnz .LBB4_3647
	s_branch .LBB4_3648
.LBB4_4544:                             ;   in Loop: Header=BB4_3574 Depth=3
	s_mov_b32 s13, -1
	s_mov_b32 s34, exec_lo
                                        ; implicit-def: $sgpr17
	v_cmpx_eq_u16_e64 0x80, v162
; %bb.4545:                             ;   in Loop: Header=BB4_3574 Depth=3
	s_mov_b32 s17, 0x7f800001
	s_xor_b32 s13, exec_lo, -1
; %bb.4546:                             ;   in Loop: Header=BB4_3574 Depth=3
	s_or_b32 exec_lo, exec_lo, s34
	s_delay_alu instid0(SALU_CYCLE_1)
	s_and_b32 s13, s13, exec_lo
                                        ; implicit-def: $vgpr162
	s_or_saveexec_b32 s31, s31
	v_mov_b32_e32 v161, s17
	s_xor_b32 exec_lo, exec_lo, s31
	s_cbranch_execz .LBB4_3650
.LBB4_4547:                             ;   in Loop: Header=BB4_3574 Depth=3
	v_cmp_ne_u16_e64 vcc_lo, 0, v162
	v_mov_b32_e32 v161, 0
	s_and_not1_b32 s13, s13, exec_lo
	s_delay_alu instid0(VALU_DEP_2) | instskip(NEXT) | instid1(SALU_CYCLE_1)
	s_and_b32 s17, vcc_lo, exec_lo
	s_or_b32 s13, s13, s17
	s_or_b32 exec_lo, exec_lo, s31
	s_and_saveexec_b32 s17, s13
	s_cbranch_execnz .LBB4_3651
	s_branch .LBB4_3652
.LBB4_4548:                             ;   in Loop: Header=BB4_3574 Depth=3
	s_mov_b32 s17, -1
	s_mov_b32 s34, exec_lo
                                        ; implicit-def: $sgpr31
	v_cmpx_eq_u16_e64 0x80, v162
; %bb.4549:                             ;   in Loop: Header=BB4_3574 Depth=3
	s_mov_b32 s31, 0x7f800001
	s_xor_b32 s17, exec_lo, -1
; %bb.4550:                             ;   in Loop: Header=BB4_3574 Depth=3
	s_or_b32 exec_lo, exec_lo, s34
	s_delay_alu instid0(SALU_CYCLE_1)
	s_and_b32 s17, s17, exec_lo
	s_or_saveexec_b32 s13, s13
	v_mov_b32_e32 v163, s31
	s_xor_b32 exec_lo, exec_lo, s13
	s_cbranch_execz .LBB4_3664
.LBB4_4551:                             ;   in Loop: Header=BB4_3574 Depth=3
	v_cmp_ne_u16_e64 vcc_lo, 0, v162
	v_mov_b32_e32 v163, 0
	s_and_not1_b32 s17, s17, exec_lo
	s_delay_alu instid0(VALU_DEP_2) | instskip(NEXT) | instid1(SALU_CYCLE_1)
	s_and_b32 vcc_lo, vcc_lo, exec_lo
	s_or_b32 s17, s17, vcc_lo
	s_or_b32 exec_lo, exec_lo, s13
	s_and_saveexec_b32 s13, s17
	s_cbranch_execnz .LBB4_3665
	s_branch .LBB4_3666
.LBB4_4552:                             ;   in Loop: Header=BB4_3574 Depth=3
	s_mov_b32 s13, -1
	s_mov_b32 s34, exec_lo
                                        ; implicit-def: $sgpr17
	v_cmpx_eq_u16_e64 0x80, v161
; %bb.4553:                             ;   in Loop: Header=BB4_3574 Depth=3
	s_mov_b32 s17, 0x7f800001
	s_xor_b32 s13, exec_lo, -1
; %bb.4554:                             ;   in Loop: Header=BB4_3574 Depth=3
	s_or_b32 exec_lo, exec_lo, s34
	s_delay_alu instid0(SALU_CYCLE_1)
	s_and_b32 s13, s13, exec_lo
	s_or_saveexec_b32 s31, s31
	v_mov_b32_e32 v164, s17
	s_xor_b32 exec_lo, exec_lo, s31
	s_cbranch_execz .LBB4_3668
.LBB4_4555:                             ;   in Loop: Header=BB4_3574 Depth=3
	v_cmp_ne_u16_e64 vcc_lo, 0, v161
	v_mov_b32_e32 v164, 0
	s_and_not1_b32 s13, s13, exec_lo
	s_delay_alu instid0(VALU_DEP_2) | instskip(NEXT) | instid1(SALU_CYCLE_1)
	s_and_b32 s17, vcc_lo, exec_lo
	s_or_b32 s13, s13, s17
	s_or_b32 exec_lo, exec_lo, s31
	s_and_saveexec_b32 s17, s13
	s_cbranch_execnz .LBB4_3669
	s_branch .LBB4_3670
.LBB4_4556:                             ;   in Loop: Header=BB4_3574 Depth=3
	s_mov_b32 s13, -1
	s_mov_b32 s34, exec_lo
                                        ; implicit-def: $sgpr17
	v_cmpx_eq_u16_e64 0x80, v162
; %bb.4557:                             ;   in Loop: Header=BB4_3574 Depth=3
	s_mov_b32 s17, 0x7f800001
	s_xor_b32 s13, exec_lo, -1
; %bb.4558:                             ;   in Loop: Header=BB4_3574 Depth=3
	s_or_b32 exec_lo, exec_lo, s34
	s_delay_alu instid0(SALU_CYCLE_1)
	s_and_b32 s13, s13, exec_lo
	s_or_saveexec_b32 s31, s31
	v_mov_b32_e32 v163, s17
	s_xor_b32 exec_lo, exec_lo, s31
	s_cbranch_execz .LBB4_3675
.LBB4_4559:                             ;   in Loop: Header=BB4_3574 Depth=3
	v_cmp_ne_u16_e64 vcc_lo, 0, v162
	v_mov_b32_e32 v163, 0
	s_and_not1_b32 s13, s13, exec_lo
	s_delay_alu instid0(VALU_DEP_2) | instskip(NEXT) | instid1(SALU_CYCLE_1)
	s_and_b32 s17, vcc_lo, exec_lo
	s_or_b32 s13, s13, s17
	s_or_b32 exec_lo, exec_lo, s31
	s_and_saveexec_b32 s17, s13
	s_cbranch_execnz .LBB4_3676
	s_branch .LBB4_3677
.LBB4_4560:                             ;   in Loop: Header=BB4_3574 Depth=3
	s_mov_b32 s13, -1
	s_mov_b32 s34, exec_lo
                                        ; implicit-def: $sgpr17
	v_cmpx_eq_u16_e64 0x80, v161
; %bb.4561:                             ;   in Loop: Header=BB4_3574 Depth=3
	s_mov_b32 s17, 0x7f800001
	s_xor_b32 s13, exec_lo, -1
; %bb.4562:                             ;   in Loop: Header=BB4_3574 Depth=3
	s_or_b32 exec_lo, exec_lo, s34
	s_delay_alu instid0(SALU_CYCLE_1)
	s_and_b32 s13, s13, exec_lo
	s_or_saveexec_b32 s31, s31
	v_mov_b32_e32 v20, s17
	s_xor_b32 exec_lo, exec_lo, s31
	s_cbranch_execz .LBB4_3679
.LBB4_4563:                             ;   in Loop: Header=BB4_3574 Depth=3
	v_cmp_ne_u16_e64 vcc_lo, 0, v161
	v_mov_b32_e32 v20, 0
	s_and_not1_b32 s13, s13, exec_lo
	s_delay_alu instid0(VALU_DEP_2) | instskip(NEXT) | instid1(SALU_CYCLE_1)
	s_and_b32 s17, vcc_lo, exec_lo
	s_or_b32 s13, s13, s17
	s_or_b32 exec_lo, exec_lo, s31
	s_and_saveexec_b32 s17, s13
	s_cbranch_execnz .LBB4_3680
	s_branch .LBB4_3681
.LBB4_4564:                             ;   in Loop: Header=BB4_3574 Depth=3
	s_mov_b32 s17, -1
	s_mov_b32 s34, exec_lo
                                        ; implicit-def: $sgpr31
	v_cmpx_eq_u16_e32 0x80, v20
; %bb.4565:                             ;   in Loop: Header=BB4_3574 Depth=3
	s_mov_b32 s31, 0x7f800001
	s_xor_b32 s17, exec_lo, -1
; %bb.4566:                             ;   in Loop: Header=BB4_3574 Depth=3
	s_or_b32 exec_lo, exec_lo, s34
	s_delay_alu instid0(SALU_CYCLE_1)
	s_and_b32 s17, s17, exec_lo
	s_or_saveexec_b32 s13, s13
	v_mov_b32_e32 v161, s31
	s_xor_b32 exec_lo, exec_lo, s13
	s_cbranch_execz .LBB4_3693
.LBB4_4567:                             ;   in Loop: Header=BB4_3574 Depth=3
	v_cmp_ne_u16_e32 vcc_lo, 0, v20
	v_mov_b32_e32 v161, 0
	s_and_not1_b32 s17, s17, exec_lo
	s_and_b32 vcc_lo, vcc_lo, exec_lo
	s_delay_alu instid0(SALU_CYCLE_1)
	s_or_b32 s17, s17, vcc_lo
	s_or_b32 exec_lo, exec_lo, s13
	s_and_saveexec_b32 s13, s17
	s_cbranch_execnz .LBB4_3694
	s_branch .LBB4_3695
.LBB4_4568:                             ;   in Loop: Header=BB4_3574 Depth=3
	s_mov_b32 s13, -1
	s_mov_b32 s34, exec_lo
                                        ; implicit-def: $sgpr17
	v_cmpx_eq_u16_e64 0x80, v163
; %bb.4569:                             ;   in Loop: Header=BB4_3574 Depth=3
	s_mov_b32 s17, 0x7f800001
	s_xor_b32 s13, exec_lo, -1
; %bb.4570:                             ;   in Loop: Header=BB4_3574 Depth=3
	s_or_b32 exec_lo, exec_lo, s34
	s_delay_alu instid0(SALU_CYCLE_1)
	s_and_b32 s13, s13, exec_lo
                                        ; implicit-def: $vgpr163
	s_or_saveexec_b32 s31, s31
	v_mov_b32_e32 v162, s17
	s_xor_b32 exec_lo, exec_lo, s31
	s_cbranch_execz .LBB4_3697
.LBB4_4571:                             ;   in Loop: Header=BB4_3574 Depth=3
	v_cmp_ne_u16_e64 vcc_lo, 0, v163
	v_mov_b32_e32 v162, 0
	s_and_not1_b32 s13, s13, exec_lo
	s_delay_alu instid0(VALU_DEP_2) | instskip(NEXT) | instid1(SALU_CYCLE_1)
	s_and_b32 s17, vcc_lo, exec_lo
	s_or_b32 s13, s13, s17
	s_or_b32 exec_lo, exec_lo, s31
	s_and_saveexec_b32 s17, s13
	s_cbranch_execnz .LBB4_3698
	s_branch .LBB4_3699
.LBB4_4572:                             ;   in Loop: Header=BB4_3574 Depth=3
	s_mov_b32 s13, -1
	s_mov_b32 s34, exec_lo
                                        ; implicit-def: $sgpr17
	v_cmpx_eq_u16_e32 0x80, v20
; %bb.4573:                             ;   in Loop: Header=BB4_3574 Depth=3
	s_mov_b32 s17, 0x7f800001
	s_xor_b32 s13, exec_lo, -1
; %bb.4574:                             ;   in Loop: Header=BB4_3574 Depth=3
	s_or_b32 exec_lo, exec_lo, s34
	s_delay_alu instid0(SALU_CYCLE_1)
	s_and_b32 s13, s13, exec_lo
                                        ; implicit-def: $vgpr20
	s_or_saveexec_b32 s31, s31
	v_mov_b32_e32 v161, s17
	s_xor_b32 exec_lo, exec_lo, s31
	s_cbranch_execz .LBB4_3704
.LBB4_4575:                             ;   in Loop: Header=BB4_3574 Depth=3
	v_cmp_ne_u16_e32 vcc_lo, 0, v20
	v_mov_b32_e32 v161, 0
	s_and_not1_b32 s13, s13, exec_lo
	s_and_b32 s17, vcc_lo, exec_lo
	s_delay_alu instid0(SALU_CYCLE_1)
	s_or_b32 s13, s13, s17
	s_or_b32 exec_lo, exec_lo, s31
	s_and_saveexec_b32 s17, s13
	s_cbranch_execnz .LBB4_3705
	s_branch .LBB4_3706
.LBB4_4576:                             ;   in Loop: Header=BB4_3574 Depth=3
	s_mov_b32 s13, -1
	s_mov_b32 s34, exec_lo
                                        ; implicit-def: $sgpr17
	v_cmpx_eq_u16_e64 0x80, v162
; %bb.4577:                             ;   in Loop: Header=BB4_3574 Depth=3
	s_mov_b32 s17, 0x7f800001
	s_xor_b32 s13, exec_lo, -1
; %bb.4578:                             ;   in Loop: Header=BB4_3574 Depth=3
	s_or_b32 exec_lo, exec_lo, s34
	s_delay_alu instid0(SALU_CYCLE_1)
	s_and_b32 s13, s13, exec_lo
                                        ; implicit-def: $vgpr162
	s_or_saveexec_b32 s31, s31
	v_mov_b32_e32 v20, s17
	s_xor_b32 exec_lo, exec_lo, s31
	s_cbranch_execz .LBB4_3708
.LBB4_4579:                             ;   in Loop: Header=BB4_3574 Depth=3
	v_cmp_ne_u16_e64 vcc_lo, 0, v162
	v_mov_b32_e32 v20, 0
	s_and_not1_b32 s13, s13, exec_lo
	s_delay_alu instid0(VALU_DEP_2) | instskip(NEXT) | instid1(SALU_CYCLE_1)
	s_and_b32 s17, vcc_lo, exec_lo
	s_or_b32 s13, s13, s17
	s_or_b32 exec_lo, exec_lo, s31
	s_and_saveexec_b32 s17, s13
	s_cbranch_execnz .LBB4_3709
	s_branch .LBB4_3710
.LBB4_4580:                             ;   in Loop: Header=BB4_3574 Depth=3
	s_mov_b32 s17, -1
	s_mov_b32 s34, exec_lo
                                        ; implicit-def: $sgpr31
	v_cmpx_eq_u16_e64 0x80, v162
; %bb.4581:                             ;   in Loop: Header=BB4_3574 Depth=3
	s_mov_b32 s31, 0x7f800001
	s_xor_b32 s17, exec_lo, -1
; %bb.4582:                             ;   in Loop: Header=BB4_3574 Depth=3
	s_or_b32 exec_lo, exec_lo, s34
	s_delay_alu instid0(SALU_CYCLE_1)
	s_and_b32 s17, s17, exec_lo
	s_or_saveexec_b32 s13, s13
	v_mov_b32_e32 v163, s31
	s_xor_b32 exec_lo, exec_lo, s13
	s_cbranch_execz .LBB4_3722
.LBB4_4583:                             ;   in Loop: Header=BB4_3574 Depth=3
	v_cmp_ne_u16_e64 vcc_lo, 0, v162
	v_mov_b32_e32 v163, 0
	s_and_not1_b32 s17, s17, exec_lo
	s_delay_alu instid0(VALU_DEP_2) | instskip(NEXT) | instid1(SALU_CYCLE_1)
	s_and_b32 vcc_lo, vcc_lo, exec_lo
	s_or_b32 s17, s17, vcc_lo
	s_or_b32 exec_lo, exec_lo, s13
	s_and_saveexec_b32 s13, s17
	s_cbranch_execnz .LBB4_3723
	s_branch .LBB4_3724
.LBB4_4584:                             ;   in Loop: Header=BB4_3574 Depth=3
	s_mov_b32 s13, -1
	s_mov_b32 s34, exec_lo
                                        ; implicit-def: $sgpr17
	v_cmpx_eq_u16_e64 0x80, v161
; %bb.4585:                             ;   in Loop: Header=BB4_3574 Depth=3
	s_mov_b32 s17, 0x7f800001
	s_xor_b32 s13, exec_lo, -1
; %bb.4586:                             ;   in Loop: Header=BB4_3574 Depth=3
	s_or_b32 exec_lo, exec_lo, s34
	s_delay_alu instid0(SALU_CYCLE_1)
	s_and_b32 s13, s13, exec_lo
	s_or_saveexec_b32 s31, s31
	v_mov_b32_e32 v164, s17
	s_xor_b32 exec_lo, exec_lo, s31
	s_cbranch_execz .LBB4_3726
.LBB4_4587:                             ;   in Loop: Header=BB4_3574 Depth=3
	v_cmp_ne_u16_e64 vcc_lo, 0, v161
	v_mov_b32_e32 v164, 0
	s_and_not1_b32 s13, s13, exec_lo
	s_delay_alu instid0(VALU_DEP_2) | instskip(NEXT) | instid1(SALU_CYCLE_1)
	s_and_b32 s17, vcc_lo, exec_lo
	s_or_b32 s13, s13, s17
	s_or_b32 exec_lo, exec_lo, s31
	s_and_saveexec_b32 s17, s13
	s_cbranch_execnz .LBB4_3727
	s_branch .LBB4_3728
.LBB4_4588:                             ;   in Loop: Header=BB4_3574 Depth=3
	s_mov_b32 s13, -1
	s_mov_b32 s34, exec_lo
                                        ; implicit-def: $sgpr17
	v_cmpx_eq_u16_e64 0x80, v162
; %bb.4589:                             ;   in Loop: Header=BB4_3574 Depth=3
	s_mov_b32 s17, 0x7f800001
	s_xor_b32 s13, exec_lo, -1
; %bb.4590:                             ;   in Loop: Header=BB4_3574 Depth=3
	s_or_b32 exec_lo, exec_lo, s34
	s_delay_alu instid0(SALU_CYCLE_1)
	s_and_b32 s13, s13, exec_lo
	s_or_saveexec_b32 s31, s31
	v_mov_b32_e32 v163, s17
	s_xor_b32 exec_lo, exec_lo, s31
	s_cbranch_execz .LBB4_3733
.LBB4_4591:                             ;   in Loop: Header=BB4_3574 Depth=3
	v_cmp_ne_u16_e64 vcc_lo, 0, v162
	v_mov_b32_e32 v163, 0
	s_and_not1_b32 s13, s13, exec_lo
	s_delay_alu instid0(VALU_DEP_2) | instskip(NEXT) | instid1(SALU_CYCLE_1)
	s_and_b32 s17, vcc_lo, exec_lo
	s_or_b32 s13, s13, s17
	s_or_b32 exec_lo, exec_lo, s31
	s_and_saveexec_b32 s17, s13
	s_cbranch_execnz .LBB4_3734
	s_branch .LBB4_3735
.LBB4_4592:                             ;   in Loop: Header=BB4_3574 Depth=3
	s_mov_b32 s13, -1
	s_mov_b32 s34, exec_lo
                                        ; implicit-def: $sgpr17
	v_cmpx_eq_u16_e64 0x80, v161
; %bb.4593:                             ;   in Loop: Header=BB4_3574 Depth=3
	s_mov_b32 s17, 0x7f800001
	s_xor_b32 s13, exec_lo, -1
; %bb.4594:                             ;   in Loop: Header=BB4_3574 Depth=3
	s_or_b32 exec_lo, exec_lo, s34
	s_delay_alu instid0(SALU_CYCLE_1)
	s_and_b32 s13, s13, exec_lo
	s_or_saveexec_b32 s31, s31
	v_mov_b32_e32 v162, s17
	s_xor_b32 exec_lo, exec_lo, s31
	s_cbranch_execz .LBB4_3737
.LBB4_4595:                             ;   in Loop: Header=BB4_3574 Depth=3
	v_cmp_ne_u16_e64 vcc_lo, 0, v161
	v_mov_b32_e32 v162, 0
	s_and_not1_b32 s13, s13, exec_lo
	s_delay_alu instid0(VALU_DEP_2) | instskip(NEXT) | instid1(SALU_CYCLE_1)
	s_and_b32 s17, vcc_lo, exec_lo
	s_or_b32 s13, s13, s17
	s_or_b32 exec_lo, exec_lo, s31
	s_and_saveexec_b32 s17, s13
	s_cbranch_execnz .LBB4_3738
	s_branch .LBB4_3739
.LBB4_4596:                             ;   in Loop: Header=BB4_3574 Depth=3
	s_mov_b32 s17, -1
	s_mov_b32 s34, exec_lo
                                        ; implicit-def: $sgpr31
	v_cmpx_eq_u16_e64 0x80, v164
; %bb.4597:                             ;   in Loop: Header=BB4_3574 Depth=3
	s_mov_b32 s31, 0x7f800001
	s_xor_b32 s17, exec_lo, -1
; %bb.4598:                             ;   in Loop: Header=BB4_3574 Depth=3
	s_or_b32 exec_lo, exec_lo, s34
	s_delay_alu instid0(SALU_CYCLE_1)
	s_and_b32 s17, s17, exec_lo
	s_or_saveexec_b32 s13, s13
	v_mov_b32_e32 v165, s31
	s_xor_b32 exec_lo, exec_lo, s13
	s_cbranch_execz .LBB4_3751
.LBB4_4599:                             ;   in Loop: Header=BB4_3574 Depth=3
	v_cmp_ne_u16_e64 vcc_lo, 0, v164
	v_mov_b32_e32 v165, 0
	s_and_not1_b32 s17, s17, exec_lo
	s_delay_alu instid0(VALU_DEP_2) | instskip(NEXT) | instid1(SALU_CYCLE_1)
	s_and_b32 vcc_lo, vcc_lo, exec_lo
	s_or_b32 s17, s17, vcc_lo
	s_or_b32 exec_lo, exec_lo, s13
	s_and_saveexec_b32 s13, s17
	s_cbranch_execnz .LBB4_3752
	s_branch .LBB4_3753
.LBB4_4600:                             ;   in Loop: Header=BB4_3574 Depth=3
	s_mov_b32 s13, -1
	s_mov_b32 s34, exec_lo
                                        ; implicit-def: $sgpr17
	v_cmpx_eq_u16_e64 0x80, v167
; %bb.4601:                             ;   in Loop: Header=BB4_3574 Depth=3
	s_mov_b32 s17, 0x7f800001
	s_xor_b32 s13, exec_lo, -1
; %bb.4602:                             ;   in Loop: Header=BB4_3574 Depth=3
	s_or_b32 exec_lo, exec_lo, s34
	s_delay_alu instid0(SALU_CYCLE_1)
	s_and_b32 s13, s13, exec_lo
                                        ; implicit-def: $vgpr167
	s_or_saveexec_b32 s31, s31
	v_mov_b32_e32 v166, s17
	s_xor_b32 exec_lo, exec_lo, s31
	s_cbranch_execz .LBB4_3755
.LBB4_4603:                             ;   in Loop: Header=BB4_3574 Depth=3
	v_cmp_ne_u16_e64 vcc_lo, 0, v167
	v_mov_b32_e32 v166, 0
	s_and_not1_b32 s13, s13, exec_lo
	s_delay_alu instid0(VALU_DEP_2) | instskip(NEXT) | instid1(SALU_CYCLE_1)
	s_and_b32 s17, vcc_lo, exec_lo
	s_or_b32 s13, s13, s17
	s_or_b32 exec_lo, exec_lo, s31
	s_and_saveexec_b32 s17, s13
	s_cbranch_execnz .LBB4_3756
	s_branch .LBB4_3757
.LBB4_4604:                             ;   in Loop: Header=BB4_3574 Depth=3
	s_mov_b32 s13, -1
	s_mov_b32 s34, exec_lo
                                        ; implicit-def: $sgpr17
	v_cmpx_eq_u16_e64 0x80, v164
; %bb.4605:                             ;   in Loop: Header=BB4_3574 Depth=3
	s_mov_b32 s17, 0x7f800001
	s_xor_b32 s13, exec_lo, -1
; %bb.4606:                             ;   in Loop: Header=BB4_3574 Depth=3
	s_or_b32 exec_lo, exec_lo, s34
	s_delay_alu instid0(SALU_CYCLE_1)
	s_and_b32 s13, s13, exec_lo
                                        ; implicit-def: $vgpr164
	s_or_saveexec_b32 s31, s31
	v_mov_b32_e32 v165, s17
	s_xor_b32 exec_lo, exec_lo, s31
	s_cbranch_execz .LBB4_3762
.LBB4_4607:                             ;   in Loop: Header=BB4_3574 Depth=3
	v_cmp_ne_u16_e64 vcc_lo, 0, v164
	v_mov_b32_e32 v165, 0
	s_and_not1_b32 s13, s13, exec_lo
	s_delay_alu instid0(VALU_DEP_2) | instskip(NEXT) | instid1(SALU_CYCLE_1)
	s_and_b32 s17, vcc_lo, exec_lo
	s_or_b32 s13, s13, s17
	s_or_b32 exec_lo, exec_lo, s31
	s_and_saveexec_b32 s17, s13
	s_cbranch_execnz .LBB4_3763
	s_branch .LBB4_3764
.LBB4_4608:                             ;   in Loop: Header=BB4_3574 Depth=3
	s_mov_b32 s13, -1
	s_mov_b32 s34, exec_lo
                                        ; implicit-def: $sgpr17
	v_cmpx_eq_u16_e64 0x80, v164
; %bb.4609:                             ;   in Loop: Header=BB4_3574 Depth=3
	s_mov_b32 s17, 0x7f800001
	s_xor_b32 s13, exec_lo, -1
; %bb.4610:                             ;   in Loop: Header=BB4_3574 Depth=3
	s_or_b32 exec_lo, exec_lo, s34
	s_delay_alu instid0(SALU_CYCLE_1)
	s_and_b32 s13, s13, exec_lo
                                        ; implicit-def: $vgpr164
	s_or_saveexec_b32 s31, s31
	v_mov_b32_e32 v163, s17
	s_xor_b32 exec_lo, exec_lo, s31
	s_cbranch_execz .LBB4_3766
.LBB4_4611:                             ;   in Loop: Header=BB4_3574 Depth=3
	v_cmp_ne_u16_e64 vcc_lo, 0, v164
	v_mov_b32_e32 v163, 0
	s_and_not1_b32 s13, s13, exec_lo
	s_delay_alu instid0(VALU_DEP_2) | instskip(NEXT) | instid1(SALU_CYCLE_1)
	s_and_b32 s17, vcc_lo, exec_lo
	s_or_b32 s13, s13, s17
	s_or_b32 exec_lo, exec_lo, s31
	s_and_saveexec_b32 s17, s13
	s_cbranch_execnz .LBB4_3767
	s_branch .LBB4_3768
.LBB4_4612:                             ;   in Loop: Header=BB4_3574 Depth=3
	s_mov_b32 s17, -1
	s_mov_b32 s34, exec_lo
                                        ; implicit-def: $sgpr31
	v_cmpx_eq_u16_e64 0x80, v164
; %bb.4613:                             ;   in Loop: Header=BB4_3574 Depth=3
	s_mov_b32 s31, 0x7f800001
	s_xor_b32 s17, exec_lo, -1
; %bb.4614:                             ;   in Loop: Header=BB4_3574 Depth=3
	s_or_b32 exec_lo, exec_lo, s34
	s_delay_alu instid0(SALU_CYCLE_1)
	s_and_b32 s17, s17, exec_lo
	s_or_saveexec_b32 s13, s13
	v_mov_b32_e32 v165, s31
	s_xor_b32 exec_lo, exec_lo, s13
	s_cbranch_execz .LBB4_3780
.LBB4_4615:                             ;   in Loop: Header=BB4_3574 Depth=3
	v_cmp_ne_u16_e64 vcc_lo, 0, v164
	v_mov_b32_e32 v165, 0
	s_and_not1_b32 s17, s17, exec_lo
	s_delay_alu instid0(VALU_DEP_2) | instskip(NEXT) | instid1(SALU_CYCLE_1)
	s_and_b32 vcc_lo, vcc_lo, exec_lo
	s_or_b32 s17, s17, vcc_lo
	s_or_b32 exec_lo, exec_lo, s13
	s_and_saveexec_b32 s13, s17
	s_cbranch_execnz .LBB4_3781
	s_branch .LBB4_3782
.LBB4_4616:                             ;   in Loop: Header=BB4_3574 Depth=3
	s_mov_b32 s13, -1
	s_mov_b32 s34, exec_lo
                                        ; implicit-def: $sgpr17
	v_cmpx_eq_u16_e64 0x80, v163
; %bb.4617:                             ;   in Loop: Header=BB4_3574 Depth=3
	s_mov_b32 s17, 0x7f800001
	s_xor_b32 s13, exec_lo, -1
; %bb.4618:                             ;   in Loop: Header=BB4_3574 Depth=3
	s_or_b32 exec_lo, exec_lo, s34
	s_delay_alu instid0(SALU_CYCLE_1)
	s_and_b32 s13, s13, exec_lo
	s_or_saveexec_b32 s31, s31
	v_mov_b32_e32 v166, s17
	s_xor_b32 exec_lo, exec_lo, s31
	s_cbranch_execz .LBB4_3784
.LBB4_4619:                             ;   in Loop: Header=BB4_3574 Depth=3
	v_cmp_ne_u16_e64 vcc_lo, 0, v163
	v_mov_b32_e32 v166, 0
	s_and_not1_b32 s13, s13, exec_lo
	s_delay_alu instid0(VALU_DEP_2) | instskip(NEXT) | instid1(SALU_CYCLE_1)
	s_and_b32 s17, vcc_lo, exec_lo
	s_or_b32 s13, s13, s17
	s_or_b32 exec_lo, exec_lo, s31
	s_and_saveexec_b32 s17, s13
	s_cbranch_execnz .LBB4_3785
	s_branch .LBB4_3786
.LBB4_4620:                             ;   in Loop: Header=BB4_3574 Depth=3
	s_mov_b32 s13, -1
	s_mov_b32 s34, exec_lo
                                        ; implicit-def: $sgpr17
	v_cmpx_eq_u16_e64 0x80, v164
; %bb.4621:                             ;   in Loop: Header=BB4_3574 Depth=3
	s_mov_b32 s17, 0x7f800001
	s_xor_b32 s13, exec_lo, -1
; %bb.4622:                             ;   in Loop: Header=BB4_3574 Depth=3
	s_or_b32 exec_lo, exec_lo, s34
	s_delay_alu instid0(SALU_CYCLE_1)
	s_and_b32 s13, s13, exec_lo
	s_or_saveexec_b32 s31, s31
	v_mov_b32_e32 v165, s17
	s_xor_b32 exec_lo, exec_lo, s31
	s_cbranch_execz .LBB4_3791
.LBB4_4623:                             ;   in Loop: Header=BB4_3574 Depth=3
	v_cmp_ne_u16_e64 vcc_lo, 0, v164
	v_mov_b32_e32 v165, 0
	s_and_not1_b32 s13, s13, exec_lo
	s_delay_alu instid0(VALU_DEP_2) | instskip(NEXT) | instid1(SALU_CYCLE_1)
	s_and_b32 s17, vcc_lo, exec_lo
	s_or_b32 s13, s13, s17
	s_or_b32 exec_lo, exec_lo, s31
	s_and_saveexec_b32 s17, s13
	s_cbranch_execnz .LBB4_3792
	s_branch .LBB4_3793
.LBB4_4624:                             ;   in Loop: Header=BB4_3574 Depth=3
	s_mov_b32 s13, -1
	s_mov_b32 s34, exec_lo
                                        ; implicit-def: $sgpr17
	v_cmpx_eq_u16_e64 0x80, v163
; %bb.4625:                             ;   in Loop: Header=BB4_3574 Depth=3
	s_mov_b32 s17, 0x7f800001
	s_xor_b32 s13, exec_lo, -1
; %bb.4626:                             ;   in Loop: Header=BB4_3574 Depth=3
	s_or_b32 exec_lo, exec_lo, s34
	s_delay_alu instid0(SALU_CYCLE_1)
	s_and_b32 s13, s13, exec_lo
	s_or_saveexec_b32 s31, s31
	v_mov_b32_e32 v21, s17
	s_xor_b32 exec_lo, exec_lo, s31
	s_cbranch_execz .LBB4_3795
.LBB4_4627:                             ;   in Loop: Header=BB4_3574 Depth=3
	v_cmp_ne_u16_e64 vcc_lo, 0, v163
	v_mov_b32_e32 v21, 0
	s_and_not1_b32 s13, s13, exec_lo
	s_delay_alu instid0(VALU_DEP_2) | instskip(NEXT) | instid1(SALU_CYCLE_1)
	s_and_b32 s17, vcc_lo, exec_lo
	s_or_b32 s13, s13, s17
	s_or_b32 exec_lo, exec_lo, s31
	s_and_saveexec_b32 s17, s13
	s_cbranch_execnz .LBB4_3796
	s_branch .LBB4_3797
.LBB4_4628:                             ;   in Loop: Header=BB4_3574 Depth=3
	s_mov_b32 s17, -1
	s_mov_b32 s34, exec_lo
                                        ; implicit-def: $sgpr31
	v_cmpx_eq_u16_e32 0x80, v21
; %bb.4629:                             ;   in Loop: Header=BB4_3574 Depth=3
	s_mov_b32 s31, 0x7f800001
	s_xor_b32 s17, exec_lo, -1
; %bb.4630:                             ;   in Loop: Header=BB4_3574 Depth=3
	s_or_b32 exec_lo, exec_lo, s34
	s_delay_alu instid0(SALU_CYCLE_1)
	s_and_b32 s17, s17, exec_lo
	s_or_saveexec_b32 s13, s13
	v_mov_b32_e32 v163, s31
	s_xor_b32 exec_lo, exec_lo, s13
	s_cbranch_execz .LBB4_3809
.LBB4_4631:                             ;   in Loop: Header=BB4_3574 Depth=3
	v_cmp_ne_u16_e32 vcc_lo, 0, v21
	v_mov_b32_e32 v163, 0
	s_and_not1_b32 s17, s17, exec_lo
	s_and_b32 vcc_lo, vcc_lo, exec_lo
	s_delay_alu instid0(SALU_CYCLE_1)
	s_or_b32 s17, s17, vcc_lo
	s_or_b32 exec_lo, exec_lo, s13
	s_and_saveexec_b32 s13, s17
	s_cbranch_execnz .LBB4_3810
	s_branch .LBB4_3811
.LBB4_4632:                             ;   in Loop: Header=BB4_3574 Depth=3
	s_mov_b32 s13, -1
	s_mov_b32 s34, exec_lo
                                        ; implicit-def: $sgpr17
	v_cmpx_eq_u16_e64 0x80, v165
; %bb.4633:                             ;   in Loop: Header=BB4_3574 Depth=3
	s_mov_b32 s17, 0x7f800001
	s_xor_b32 s13, exec_lo, -1
; %bb.4634:                             ;   in Loop: Header=BB4_3574 Depth=3
	s_or_b32 exec_lo, exec_lo, s34
	s_delay_alu instid0(SALU_CYCLE_1)
	s_and_b32 s13, s13, exec_lo
                                        ; implicit-def: $vgpr165
	s_or_saveexec_b32 s31, s31
	v_mov_b32_e32 v164, s17
	s_xor_b32 exec_lo, exec_lo, s31
	s_cbranch_execz .LBB4_3813
.LBB4_4635:                             ;   in Loop: Header=BB4_3574 Depth=3
	v_cmp_ne_u16_e64 vcc_lo, 0, v165
	v_mov_b32_e32 v164, 0
	s_and_not1_b32 s13, s13, exec_lo
	s_delay_alu instid0(VALU_DEP_2) | instskip(NEXT) | instid1(SALU_CYCLE_1)
	s_and_b32 s17, vcc_lo, exec_lo
	s_or_b32 s13, s13, s17
	s_or_b32 exec_lo, exec_lo, s31
	s_and_saveexec_b32 s17, s13
	s_cbranch_execnz .LBB4_3814
	s_branch .LBB4_3815
.LBB4_4636:                             ;   in Loop: Header=BB4_3574 Depth=3
	s_mov_b32 s13, -1
	s_mov_b32 s34, exec_lo
                                        ; implicit-def: $sgpr17
	v_cmpx_eq_u16_e32 0x80, v21
; %bb.4637:                             ;   in Loop: Header=BB4_3574 Depth=3
	s_mov_b32 s17, 0x7f800001
	s_xor_b32 s13, exec_lo, -1
; %bb.4638:                             ;   in Loop: Header=BB4_3574 Depth=3
	s_or_b32 exec_lo, exec_lo, s34
	s_delay_alu instid0(SALU_CYCLE_1)
	s_and_b32 s13, s13, exec_lo
                                        ; implicit-def: $vgpr21
	s_or_saveexec_b32 s31, s31
	v_mov_b32_e32 v163, s17
	s_xor_b32 exec_lo, exec_lo, s31
	s_cbranch_execz .LBB4_3820
.LBB4_4639:                             ;   in Loop: Header=BB4_3574 Depth=3
	v_cmp_ne_u16_e32 vcc_lo, 0, v21
	v_mov_b32_e32 v163, 0
	s_and_not1_b32 s13, s13, exec_lo
	s_and_b32 s17, vcc_lo, exec_lo
	s_delay_alu instid0(SALU_CYCLE_1)
	s_or_b32 s13, s13, s17
	s_or_b32 exec_lo, exec_lo, s31
	s_and_saveexec_b32 s17, s13
	s_cbranch_execnz .LBB4_3821
	s_branch .LBB4_3822
.LBB4_4640:                             ;   in Loop: Header=BB4_3574 Depth=3
	s_mov_b32 s13, -1
	s_mov_b32 s34, exec_lo
                                        ; implicit-def: $sgpr17
	v_cmpx_eq_u16_e64 0x80, v164
; %bb.4641:                             ;   in Loop: Header=BB4_3574 Depth=3
	s_mov_b32 s17, 0x7f800001
	s_xor_b32 s13, exec_lo, -1
; %bb.4642:                             ;   in Loop: Header=BB4_3574 Depth=3
	s_or_b32 exec_lo, exec_lo, s34
	s_delay_alu instid0(SALU_CYCLE_1)
	s_and_b32 s13, s13, exec_lo
                                        ; implicit-def: $vgpr164
	s_or_saveexec_b32 s31, s31
	v_mov_b32_e32 v21, s17
	s_xor_b32 exec_lo, exec_lo, s31
	s_cbranch_execz .LBB4_3824
.LBB4_4643:                             ;   in Loop: Header=BB4_3574 Depth=3
	v_cmp_ne_u16_e64 vcc_lo, 0, v164
	v_mov_b32_e32 v21, 0
	s_and_not1_b32 s13, s13, exec_lo
	s_delay_alu instid0(VALU_DEP_2) | instskip(NEXT) | instid1(SALU_CYCLE_1)
	s_and_b32 s17, vcc_lo, exec_lo
	s_or_b32 s13, s13, s17
	s_or_b32 exec_lo, exec_lo, s31
	s_and_saveexec_b32 s17, s13
	s_cbranch_execnz .LBB4_3825
	s_branch .LBB4_3826
.LBB4_4644:                             ;   in Loop: Header=BB4_3574 Depth=3
	s_mov_b32 s17, -1
	s_mov_b32 s34, exec_lo
                                        ; implicit-def: $sgpr31
	v_cmpx_eq_u16_e64 0x80, v164
; %bb.4645:                             ;   in Loop: Header=BB4_3574 Depth=3
	s_mov_b32 s31, 0x7f800001
	s_xor_b32 s17, exec_lo, -1
; %bb.4646:                             ;   in Loop: Header=BB4_3574 Depth=3
	s_or_b32 exec_lo, exec_lo, s34
	s_delay_alu instid0(SALU_CYCLE_1)
	s_and_b32 s17, s17, exec_lo
	s_or_saveexec_b32 s13, s13
	v_mov_b32_e32 v165, s31
	s_xor_b32 exec_lo, exec_lo, s13
	s_cbranch_execz .LBB4_3838
.LBB4_4647:                             ;   in Loop: Header=BB4_3574 Depth=3
	v_cmp_ne_u16_e64 vcc_lo, 0, v164
	v_mov_b32_e32 v165, 0
	s_and_not1_b32 s17, s17, exec_lo
	s_delay_alu instid0(VALU_DEP_2) | instskip(NEXT) | instid1(SALU_CYCLE_1)
	s_and_b32 vcc_lo, vcc_lo, exec_lo
	s_or_b32 s17, s17, vcc_lo
	s_or_b32 exec_lo, exec_lo, s13
	s_and_saveexec_b32 s13, s17
	s_cbranch_execnz .LBB4_3839
	s_branch .LBB4_3840
.LBB4_4648:                             ;   in Loop: Header=BB4_3574 Depth=3
	s_mov_b32 s13, -1
	s_mov_b32 s34, exec_lo
                                        ; implicit-def: $sgpr17
	v_cmpx_eq_u16_e64 0x80, v163
; %bb.4649:                             ;   in Loop: Header=BB4_3574 Depth=3
	s_mov_b32 s17, 0x7f800001
	s_xor_b32 s13, exec_lo, -1
; %bb.4650:                             ;   in Loop: Header=BB4_3574 Depth=3
	s_or_b32 exec_lo, exec_lo, s34
	s_delay_alu instid0(SALU_CYCLE_1)
	s_and_b32 s13, s13, exec_lo
	s_or_saveexec_b32 s31, s31
	v_mov_b32_e32 v166, s17
	s_xor_b32 exec_lo, exec_lo, s31
	s_cbranch_execz .LBB4_3842
.LBB4_4651:                             ;   in Loop: Header=BB4_3574 Depth=3
	v_cmp_ne_u16_e64 vcc_lo, 0, v163
	v_mov_b32_e32 v166, 0
	s_and_not1_b32 s13, s13, exec_lo
	s_delay_alu instid0(VALU_DEP_2) | instskip(NEXT) | instid1(SALU_CYCLE_1)
	s_and_b32 s17, vcc_lo, exec_lo
	s_or_b32 s13, s13, s17
	s_or_b32 exec_lo, exec_lo, s31
	s_and_saveexec_b32 s17, s13
	s_cbranch_execnz .LBB4_3843
	s_branch .LBB4_3844
.LBB4_4652:                             ;   in Loop: Header=BB4_3574 Depth=3
	s_mov_b32 s13, -1
	s_mov_b32 s34, exec_lo
                                        ; implicit-def: $sgpr17
	v_cmpx_eq_u16_e64 0x80, v164
; %bb.4653:                             ;   in Loop: Header=BB4_3574 Depth=3
	s_mov_b32 s17, 0x7f800001
	s_xor_b32 s13, exec_lo, -1
; %bb.4654:                             ;   in Loop: Header=BB4_3574 Depth=3
	s_or_b32 exec_lo, exec_lo, s34
	s_delay_alu instid0(SALU_CYCLE_1)
	s_and_b32 s13, s13, exec_lo
	s_or_saveexec_b32 s31, s31
	v_mov_b32_e32 v165, s17
	s_xor_b32 exec_lo, exec_lo, s31
	s_cbranch_execz .LBB4_3849
.LBB4_4655:                             ;   in Loop: Header=BB4_3574 Depth=3
	v_cmp_ne_u16_e64 vcc_lo, 0, v164
	v_mov_b32_e32 v165, 0
	s_and_not1_b32 s13, s13, exec_lo
	s_delay_alu instid0(VALU_DEP_2) | instskip(NEXT) | instid1(SALU_CYCLE_1)
	s_and_b32 s17, vcc_lo, exec_lo
	s_or_b32 s13, s13, s17
	s_or_b32 exec_lo, exec_lo, s31
	s_and_saveexec_b32 s17, s13
	s_cbranch_execnz .LBB4_3850
	s_branch .LBB4_3851
.LBB4_4656:                             ;   in Loop: Header=BB4_3574 Depth=3
	s_mov_b32 s13, -1
	s_mov_b32 s34, exec_lo
                                        ; implicit-def: $sgpr17
	v_cmpx_eq_u16_e64 0x80, v163
; %bb.4657:                             ;   in Loop: Header=BB4_3574 Depth=3
	s_mov_b32 s17, 0x7f800001
	s_xor_b32 s13, exec_lo, -1
; %bb.4658:                             ;   in Loop: Header=BB4_3574 Depth=3
	s_or_b32 exec_lo, exec_lo, s34
	s_delay_alu instid0(SALU_CYCLE_1)
	s_and_b32 s13, s13, exec_lo
	s_or_saveexec_b32 s31, s31
	v_mov_b32_e32 v164, s17
	s_xor_b32 exec_lo, exec_lo, s31
	s_cbranch_execz .LBB4_3853
.LBB4_4659:                             ;   in Loop: Header=BB4_3574 Depth=3
	v_cmp_ne_u16_e64 vcc_lo, 0, v163
	v_mov_b32_e32 v164, 0
	s_and_not1_b32 s13, s13, exec_lo
	s_delay_alu instid0(VALU_DEP_2) | instskip(NEXT) | instid1(SALU_CYCLE_1)
	s_and_b32 s17, vcc_lo, exec_lo
	s_or_b32 s13, s13, s17
	s_or_b32 exec_lo, exec_lo, s31
	s_and_saveexec_b32 s17, s13
	s_cbranch_execnz .LBB4_3854
	s_branch .LBB4_3855
.LBB4_4660:                             ;   in Loop: Header=BB4_3574 Depth=3
	s_mov_b32 s17, -1
	s_mov_b32 s34, exec_lo
                                        ; implicit-def: $sgpr31
	v_cmpx_eq_u16_e64 0x80, v166
; %bb.4661:                             ;   in Loop: Header=BB4_3574 Depth=3
	s_mov_b32 s31, 0x7f800001
	s_xor_b32 s17, exec_lo, -1
; %bb.4662:                             ;   in Loop: Header=BB4_3574 Depth=3
	s_or_b32 exec_lo, exec_lo, s34
	s_delay_alu instid0(SALU_CYCLE_1)
	s_and_b32 s17, s17, exec_lo
	s_or_saveexec_b32 s13, s13
	v_mov_b32_e32 v167, s31
	s_xor_b32 exec_lo, exec_lo, s13
	s_cbranch_execz .LBB4_3867
.LBB4_4663:                             ;   in Loop: Header=BB4_3574 Depth=3
	v_cmp_ne_u16_e64 vcc_lo, 0, v166
	v_mov_b32_e32 v167, 0
	s_and_not1_b32 s17, s17, exec_lo
	s_delay_alu instid0(VALU_DEP_2) | instskip(NEXT) | instid1(SALU_CYCLE_1)
	s_and_b32 vcc_lo, vcc_lo, exec_lo
	s_or_b32 s17, s17, vcc_lo
	s_or_b32 exec_lo, exec_lo, s13
	s_and_saveexec_b32 s13, s17
	s_cbranch_execnz .LBB4_3868
	s_branch .LBB4_3869
.LBB4_4664:                             ;   in Loop: Header=BB4_3574 Depth=3
	s_mov_b32 s13, -1
	s_mov_b32 s34, exec_lo
                                        ; implicit-def: $sgpr17
	v_cmpx_eq_u16_e64 0x80, v177
; %bb.4665:                             ;   in Loop: Header=BB4_3574 Depth=3
	s_mov_b32 s17, 0x7f800001
	s_xor_b32 s13, exec_lo, -1
; %bb.4666:                             ;   in Loop: Header=BB4_3574 Depth=3
	s_or_b32 exec_lo, exec_lo, s34
	s_delay_alu instid0(SALU_CYCLE_1)
	s_and_b32 s13, s13, exec_lo
                                        ; implicit-def: $vgpr177
	s_or_saveexec_b32 s31, s31
	v_mov_b32_e32 v176, s17
	s_xor_b32 exec_lo, exec_lo, s31
	s_cbranch_execz .LBB4_3871
.LBB4_4667:                             ;   in Loop: Header=BB4_3574 Depth=3
	v_cmp_ne_u16_e64 vcc_lo, 0, v177
	v_mov_b32_e32 v176, 0
	s_and_not1_b32 s13, s13, exec_lo
	s_delay_alu instid0(VALU_DEP_2) | instskip(NEXT) | instid1(SALU_CYCLE_1)
	s_and_b32 s17, vcc_lo, exec_lo
	s_or_b32 s13, s13, s17
	s_or_b32 exec_lo, exec_lo, s31
	s_and_saveexec_b32 s17, s13
	s_cbranch_execnz .LBB4_3872
	s_branch .LBB4_3873
.LBB4_4668:                             ;   in Loop: Header=BB4_3574 Depth=3
	s_mov_b32 s13, -1
	s_mov_b32 s34, exec_lo
                                        ; implicit-def: $sgpr17
	v_cmpx_eq_u16_e64 0x80, v166
; %bb.4669:                             ;   in Loop: Header=BB4_3574 Depth=3
	s_mov_b32 s17, 0x7f800001
	s_xor_b32 s13, exec_lo, -1
; %bb.4670:                             ;   in Loop: Header=BB4_3574 Depth=3
	s_or_b32 exec_lo, exec_lo, s34
	s_delay_alu instid0(SALU_CYCLE_1)
	s_and_b32 s13, s13, exec_lo
                                        ; implicit-def: $vgpr166
	s_or_saveexec_b32 s31, s31
	v_mov_b32_e32 v167, s17
	s_xor_b32 exec_lo, exec_lo, s31
	s_cbranch_execz .LBB4_3878
.LBB4_4671:                             ;   in Loop: Header=BB4_3574 Depth=3
	v_cmp_ne_u16_e64 vcc_lo, 0, v166
	v_mov_b32_e32 v167, 0
	s_and_not1_b32 s13, s13, exec_lo
	s_delay_alu instid0(VALU_DEP_2) | instskip(NEXT) | instid1(SALU_CYCLE_1)
	s_and_b32 s17, vcc_lo, exec_lo
	s_or_b32 s13, s13, s17
	s_or_b32 exec_lo, exec_lo, s31
	s_and_saveexec_b32 s17, s13
	s_cbranch_execnz .LBB4_3879
	s_branch .LBB4_3880
.LBB4_4672:                             ;   in Loop: Header=BB4_3574 Depth=3
	s_mov_b32 s13, -1
	s_mov_b32 s34, exec_lo
                                        ; implicit-def: $sgpr17
	v_cmpx_eq_u16_e64 0x80, v166
; %bb.4673:                             ;   in Loop: Header=BB4_3574 Depth=3
	s_mov_b32 s17, 0x7f800001
	s_xor_b32 s13, exec_lo, -1
; %bb.4674:                             ;   in Loop: Header=BB4_3574 Depth=3
	s_or_b32 exec_lo, exec_lo, s34
	s_delay_alu instid0(SALU_CYCLE_1)
	s_and_b32 s13, s13, exec_lo
                                        ; implicit-def: $vgpr166
	s_or_saveexec_b32 s31, s31
	v_mov_b32_e32 v165, s17
	s_xor_b32 exec_lo, exec_lo, s31
	s_cbranch_execz .LBB4_3882
.LBB4_4675:                             ;   in Loop: Header=BB4_3574 Depth=3
	v_cmp_ne_u16_e64 vcc_lo, 0, v166
	v_mov_b32_e32 v165, 0
	s_and_not1_b32 s13, s13, exec_lo
	s_delay_alu instid0(VALU_DEP_2) | instskip(NEXT) | instid1(SALU_CYCLE_1)
	s_and_b32 s17, vcc_lo, exec_lo
	s_or_b32 s13, s13, s17
	s_or_b32 exec_lo, exec_lo, s31
	s_and_saveexec_b32 s17, s13
	s_cbranch_execnz .LBB4_3883
	s_branch .LBB4_3884
.LBB4_4676:                             ;   in Loop: Header=BB4_3574 Depth=3
	s_mov_b32 s17, -1
	s_mov_b32 s34, exec_lo
                                        ; implicit-def: $sgpr31
	v_cmpx_eq_u16_e64 0x80, v166
; %bb.4677:                             ;   in Loop: Header=BB4_3574 Depth=3
	s_mov_b32 s31, 0x7f800001
	s_xor_b32 s17, exec_lo, -1
; %bb.4678:                             ;   in Loop: Header=BB4_3574 Depth=3
	s_or_b32 exec_lo, exec_lo, s34
	s_delay_alu instid0(SALU_CYCLE_1)
	s_and_b32 s17, s17, exec_lo
	s_or_saveexec_b32 s13, s13
	v_mov_b32_e32 v167, s31
	s_xor_b32 exec_lo, exec_lo, s13
	s_cbranch_execz .LBB4_3896
.LBB4_4679:                             ;   in Loop: Header=BB4_3574 Depth=3
	v_cmp_ne_u16_e64 vcc_lo, 0, v166
	v_mov_b32_e32 v167, 0
	s_and_not1_b32 s17, s17, exec_lo
	s_delay_alu instid0(VALU_DEP_2) | instskip(NEXT) | instid1(SALU_CYCLE_1)
	s_and_b32 vcc_lo, vcc_lo, exec_lo
	s_or_b32 s17, s17, vcc_lo
	s_or_b32 exec_lo, exec_lo, s13
	s_and_saveexec_b32 s13, s17
	s_cbranch_execnz .LBB4_3897
	s_branch .LBB4_3898
.LBB4_4680:                             ;   in Loop: Header=BB4_3574 Depth=3
	s_mov_b32 s13, -1
	s_mov_b32 s34, exec_lo
                                        ; implicit-def: $sgpr17
	v_cmpx_eq_u16_e64 0x80, v165
; %bb.4681:                             ;   in Loop: Header=BB4_3574 Depth=3
	s_mov_b32 s17, 0x7f800001
	s_xor_b32 s13, exec_lo, -1
; %bb.4682:                             ;   in Loop: Header=BB4_3574 Depth=3
	s_or_b32 exec_lo, exec_lo, s34
	s_delay_alu instid0(SALU_CYCLE_1)
	s_and_b32 s13, s13, exec_lo
	s_or_saveexec_b32 s31, s31
	v_mov_b32_e32 v176, s17
	s_xor_b32 exec_lo, exec_lo, s31
	s_cbranch_execz .LBB4_3900
.LBB4_4683:                             ;   in Loop: Header=BB4_3574 Depth=3
	v_cmp_ne_u16_e64 vcc_lo, 0, v165
	v_mov_b32_e32 v176, 0
	s_and_not1_b32 s13, s13, exec_lo
	s_delay_alu instid0(VALU_DEP_2) | instskip(NEXT) | instid1(SALU_CYCLE_1)
	s_and_b32 s17, vcc_lo, exec_lo
	s_or_b32 s13, s13, s17
	s_or_b32 exec_lo, exec_lo, s31
	s_and_saveexec_b32 s17, s13
	s_cbranch_execnz .LBB4_3901
	s_branch .LBB4_3902
.LBB4_4684:                             ;   in Loop: Header=BB4_3574 Depth=3
	s_mov_b32 s13, -1
	s_mov_b32 s34, exec_lo
                                        ; implicit-def: $sgpr17
	v_cmpx_eq_u16_e64 0x80, v166
; %bb.4685:                             ;   in Loop: Header=BB4_3574 Depth=3
	s_mov_b32 s17, 0x7f800001
	s_xor_b32 s13, exec_lo, -1
; %bb.4686:                             ;   in Loop: Header=BB4_3574 Depth=3
	s_or_b32 exec_lo, exec_lo, s34
	s_delay_alu instid0(SALU_CYCLE_1)
	s_and_b32 s13, s13, exec_lo
	s_or_saveexec_b32 s31, s31
	v_mov_b32_e32 v167, s17
	s_xor_b32 exec_lo, exec_lo, s31
	s_cbranch_execz .LBB4_3907
.LBB4_4687:                             ;   in Loop: Header=BB4_3574 Depth=3
	v_cmp_ne_u16_e64 vcc_lo, 0, v166
	v_mov_b32_e32 v167, 0
	s_and_not1_b32 s13, s13, exec_lo
	s_delay_alu instid0(VALU_DEP_2) | instskip(NEXT) | instid1(SALU_CYCLE_1)
	s_and_b32 s17, vcc_lo, exec_lo
	s_or_b32 s13, s13, s17
	s_or_b32 exec_lo, exec_lo, s31
	s_and_saveexec_b32 s17, s13
	s_cbranch_execnz .LBB4_3908
	s_branch .LBB4_3909
.LBB4_4688:                             ;   in Loop: Header=BB4_3574 Depth=3
	s_mov_b32 s13, -1
	s_mov_b32 s34, exec_lo
                                        ; implicit-def: $sgpr17
	v_cmpx_eq_u16_e64 0x80, v165
; %bb.4689:                             ;   in Loop: Header=BB4_3574 Depth=3
	s_mov_b32 s17, 0x7f800001
	s_xor_b32 s13, exec_lo, -1
; %bb.4690:                             ;   in Loop: Header=BB4_3574 Depth=3
	s_or_b32 exec_lo, exec_lo, s34
	s_delay_alu instid0(SALU_CYCLE_1)
	s_and_b32 s13, s13, exec_lo
	s_or_saveexec_b32 s31, s31
	v_mov_b32_e32 v22, s17
	s_xor_b32 exec_lo, exec_lo, s31
	s_cbranch_execz .LBB4_3911
.LBB4_4691:                             ;   in Loop: Header=BB4_3574 Depth=3
	v_cmp_ne_u16_e64 vcc_lo, 0, v165
	v_mov_b32_e32 v22, 0
	s_and_not1_b32 s13, s13, exec_lo
	s_delay_alu instid0(VALU_DEP_2) | instskip(NEXT) | instid1(SALU_CYCLE_1)
	s_and_b32 s17, vcc_lo, exec_lo
	s_or_b32 s13, s13, s17
	s_or_b32 exec_lo, exec_lo, s31
	s_and_saveexec_b32 s17, s13
	s_cbranch_execnz .LBB4_3912
	s_branch .LBB4_3913
.LBB4_4692:                             ;   in Loop: Header=BB4_3574 Depth=3
	s_mov_b32 s17, -1
	s_mov_b32 s34, exec_lo
                                        ; implicit-def: $sgpr31
	v_cmpx_eq_u16_e32 0x80, v22
; %bb.4693:                             ;   in Loop: Header=BB4_3574 Depth=3
	s_mov_b32 s31, 0x7f800001
	s_xor_b32 s17, exec_lo, -1
; %bb.4694:                             ;   in Loop: Header=BB4_3574 Depth=3
	s_or_b32 exec_lo, exec_lo, s34
	s_delay_alu instid0(SALU_CYCLE_1)
	s_and_b32 s17, s17, exec_lo
	s_or_saveexec_b32 s13, s13
	v_mov_b32_e32 v165, s31
	s_xor_b32 exec_lo, exec_lo, s13
	s_cbranch_execz .LBB4_3925
.LBB4_4695:                             ;   in Loop: Header=BB4_3574 Depth=3
	v_cmp_ne_u16_e32 vcc_lo, 0, v22
	v_mov_b32_e32 v165, 0
	s_and_not1_b32 s17, s17, exec_lo
	s_and_b32 vcc_lo, vcc_lo, exec_lo
	s_delay_alu instid0(SALU_CYCLE_1)
	s_or_b32 s17, s17, vcc_lo
	s_or_b32 exec_lo, exec_lo, s13
	s_and_saveexec_b32 s13, s17
	s_cbranch_execnz .LBB4_3926
	s_branch .LBB4_3927
.LBB4_4696:                             ;   in Loop: Header=BB4_3574 Depth=3
	s_mov_b32 s13, -1
	s_mov_b32 s34, exec_lo
                                        ; implicit-def: $sgpr17
	v_cmpx_eq_u16_e64 0x80, v167
; %bb.4697:                             ;   in Loop: Header=BB4_3574 Depth=3
	s_mov_b32 s17, 0x7f800001
	s_xor_b32 s13, exec_lo, -1
; %bb.4698:                             ;   in Loop: Header=BB4_3574 Depth=3
	s_or_b32 exec_lo, exec_lo, s34
	s_delay_alu instid0(SALU_CYCLE_1)
	s_and_b32 s13, s13, exec_lo
                                        ; implicit-def: $vgpr167
	s_or_saveexec_b32 s31, s31
	v_mov_b32_e32 v166, s17
	s_xor_b32 exec_lo, exec_lo, s31
	s_cbranch_execz .LBB4_3929
.LBB4_4699:                             ;   in Loop: Header=BB4_3574 Depth=3
	v_cmp_ne_u16_e64 vcc_lo, 0, v167
	v_mov_b32_e32 v166, 0
	s_and_not1_b32 s13, s13, exec_lo
	s_delay_alu instid0(VALU_DEP_2) | instskip(NEXT) | instid1(SALU_CYCLE_1)
	s_and_b32 s17, vcc_lo, exec_lo
	s_or_b32 s13, s13, s17
	s_or_b32 exec_lo, exec_lo, s31
	s_and_saveexec_b32 s17, s13
	s_cbranch_execnz .LBB4_3930
	s_branch .LBB4_3931
.LBB4_4700:                             ;   in Loop: Header=BB4_3574 Depth=3
	s_mov_b32 s13, -1
	s_mov_b32 s34, exec_lo
                                        ; implicit-def: $sgpr17
	v_cmpx_eq_u16_e32 0x80, v22
; %bb.4701:                             ;   in Loop: Header=BB4_3574 Depth=3
	s_mov_b32 s17, 0x7f800001
	s_xor_b32 s13, exec_lo, -1
; %bb.4702:                             ;   in Loop: Header=BB4_3574 Depth=3
	s_or_b32 exec_lo, exec_lo, s34
	s_delay_alu instid0(SALU_CYCLE_1)
	s_and_b32 s13, s13, exec_lo
                                        ; implicit-def: $vgpr22
	s_or_saveexec_b32 s31, s31
	v_mov_b32_e32 v165, s17
	s_xor_b32 exec_lo, exec_lo, s31
	s_cbranch_execz .LBB4_3936
.LBB4_4703:                             ;   in Loop: Header=BB4_3574 Depth=3
	v_cmp_ne_u16_e32 vcc_lo, 0, v22
	v_mov_b32_e32 v165, 0
	s_and_not1_b32 s13, s13, exec_lo
	s_and_b32 s17, vcc_lo, exec_lo
	s_delay_alu instid0(SALU_CYCLE_1)
	s_or_b32 s13, s13, s17
	s_or_b32 exec_lo, exec_lo, s31
	s_and_saveexec_b32 s17, s13
	s_cbranch_execnz .LBB4_3937
	s_branch .LBB4_3938
.LBB4_4704:                             ;   in Loop: Header=BB4_3574 Depth=3
	s_mov_b32 s13, -1
	s_mov_b32 s34, exec_lo
                                        ; implicit-def: $sgpr17
	v_cmpx_eq_u16_e64 0x80, v166
; %bb.4705:                             ;   in Loop: Header=BB4_3574 Depth=3
	s_mov_b32 s17, 0x7f800001
	s_xor_b32 s13, exec_lo, -1
; %bb.4706:                             ;   in Loop: Header=BB4_3574 Depth=3
	s_or_b32 exec_lo, exec_lo, s34
	s_delay_alu instid0(SALU_CYCLE_1)
	s_and_b32 s13, s13, exec_lo
                                        ; implicit-def: $vgpr166
	s_or_saveexec_b32 s31, s31
	v_mov_b32_e32 v22, s17
	s_xor_b32 exec_lo, exec_lo, s31
	s_cbranch_execz .LBB4_3940
.LBB4_4707:                             ;   in Loop: Header=BB4_3574 Depth=3
	v_cmp_ne_u16_e64 vcc_lo, 0, v166
	v_mov_b32_e32 v22, 0
	s_and_not1_b32 s13, s13, exec_lo
	s_delay_alu instid0(VALU_DEP_2) | instskip(NEXT) | instid1(SALU_CYCLE_1)
	s_and_b32 s17, vcc_lo, exec_lo
	s_or_b32 s13, s13, s17
	s_or_b32 exec_lo, exec_lo, s31
	s_and_saveexec_b32 s17, s13
	s_cbranch_execnz .LBB4_3941
	s_branch .LBB4_3942
.LBB4_4708:                             ;   in Loop: Header=BB4_3574 Depth=3
	s_mov_b32 s17, -1
	s_mov_b32 s34, exec_lo
                                        ; implicit-def: $sgpr31
	v_cmpx_eq_u16_e64 0x80, v166
; %bb.4709:                             ;   in Loop: Header=BB4_3574 Depth=3
	s_mov_b32 s31, 0x7f800001
	s_xor_b32 s17, exec_lo, -1
; %bb.4710:                             ;   in Loop: Header=BB4_3574 Depth=3
	s_or_b32 exec_lo, exec_lo, s34
	s_delay_alu instid0(SALU_CYCLE_1)
	s_and_b32 s17, s17, exec_lo
	s_or_saveexec_b32 s13, s13
	v_mov_b32_e32 v167, s31
	s_xor_b32 exec_lo, exec_lo, s13
	s_cbranch_execz .LBB4_3954
.LBB4_4711:                             ;   in Loop: Header=BB4_3574 Depth=3
	v_cmp_ne_u16_e64 vcc_lo, 0, v166
	v_mov_b32_e32 v167, 0
	s_and_not1_b32 s17, s17, exec_lo
	s_delay_alu instid0(VALU_DEP_2) | instskip(NEXT) | instid1(SALU_CYCLE_1)
	s_and_b32 vcc_lo, vcc_lo, exec_lo
	s_or_b32 s17, s17, vcc_lo
	s_or_b32 exec_lo, exec_lo, s13
	s_and_saveexec_b32 s13, s17
	s_cbranch_execnz .LBB4_3955
	s_branch .LBB4_3956
.LBB4_4712:                             ;   in Loop: Header=BB4_3574 Depth=3
	s_mov_b32 s13, -1
	s_mov_b32 s34, exec_lo
                                        ; implicit-def: $sgpr17
	v_cmpx_eq_u16_e64 0x80, v165
; %bb.4713:                             ;   in Loop: Header=BB4_3574 Depth=3
	s_mov_b32 s17, 0x7f800001
	s_xor_b32 s13, exec_lo, -1
; %bb.4714:                             ;   in Loop: Header=BB4_3574 Depth=3
	s_or_b32 exec_lo, exec_lo, s34
	s_delay_alu instid0(SALU_CYCLE_1)
	s_and_b32 s13, s13, exec_lo
	s_or_saveexec_b32 s31, s31
	v_mov_b32_e32 v176, s17
	s_xor_b32 exec_lo, exec_lo, s31
	s_cbranch_execz .LBB4_3958
.LBB4_4715:                             ;   in Loop: Header=BB4_3574 Depth=3
	v_cmp_ne_u16_e64 vcc_lo, 0, v165
	v_mov_b32_e32 v176, 0
	s_and_not1_b32 s13, s13, exec_lo
	s_delay_alu instid0(VALU_DEP_2) | instskip(NEXT) | instid1(SALU_CYCLE_1)
	s_and_b32 s17, vcc_lo, exec_lo
	s_or_b32 s13, s13, s17
	s_or_b32 exec_lo, exec_lo, s31
	s_and_saveexec_b32 s17, s13
	s_cbranch_execnz .LBB4_3959
	s_branch .LBB4_3960
.LBB4_4716:                             ;   in Loop: Header=BB4_3574 Depth=3
	s_mov_b32 s13, -1
	s_mov_b32 s34, exec_lo
                                        ; implicit-def: $sgpr17
	v_cmpx_eq_u16_e64 0x80, v166
; %bb.4717:                             ;   in Loop: Header=BB4_3574 Depth=3
	s_mov_b32 s17, 0x7f800001
	s_xor_b32 s13, exec_lo, -1
; %bb.4718:                             ;   in Loop: Header=BB4_3574 Depth=3
	s_or_b32 exec_lo, exec_lo, s34
	s_delay_alu instid0(SALU_CYCLE_1)
	s_and_b32 s13, s13, exec_lo
	s_or_saveexec_b32 s31, s31
	v_mov_b32_e32 v167, s17
	s_xor_b32 exec_lo, exec_lo, s31
	s_cbranch_execz .LBB4_3965
.LBB4_4719:                             ;   in Loop: Header=BB4_3574 Depth=3
	v_cmp_ne_u16_e64 vcc_lo, 0, v166
	v_mov_b32_e32 v167, 0
	s_and_not1_b32 s13, s13, exec_lo
	s_delay_alu instid0(VALU_DEP_2) | instskip(NEXT) | instid1(SALU_CYCLE_1)
	s_and_b32 s17, vcc_lo, exec_lo
	s_or_b32 s13, s13, s17
	s_or_b32 exec_lo, exec_lo, s31
	s_and_saveexec_b32 s17, s13
	s_cbranch_execnz .LBB4_3966
	s_branch .LBB4_3967
.LBB4_4720:                             ;   in Loop: Header=BB4_3574 Depth=3
	s_mov_b32 s13, -1
	s_mov_b32 s34, exec_lo
                                        ; implicit-def: $sgpr17
	v_cmpx_eq_u16_e64 0x80, v165
; %bb.4721:                             ;   in Loop: Header=BB4_3574 Depth=3
	s_mov_b32 s17, 0x7f800001
	s_xor_b32 s13, exec_lo, -1
; %bb.4722:                             ;   in Loop: Header=BB4_3574 Depth=3
	s_or_b32 exec_lo, exec_lo, s34
	s_delay_alu instid0(SALU_CYCLE_1)
	s_and_b32 s13, s13, exec_lo
	s_or_saveexec_b32 s31, s31
	v_mov_b32_e32 v166, s17
	s_xor_b32 exec_lo, exec_lo, s31
	s_cbranch_execz .LBB4_3969
.LBB4_4723:                             ;   in Loop: Header=BB4_3574 Depth=3
	v_cmp_ne_u16_e64 vcc_lo, 0, v165
	v_mov_b32_e32 v166, 0
	s_and_not1_b32 s13, s13, exec_lo
	s_delay_alu instid0(VALU_DEP_2) | instskip(NEXT) | instid1(SALU_CYCLE_1)
	s_and_b32 s17, vcc_lo, exec_lo
	s_or_b32 s13, s13, s17
	s_or_b32 exec_lo, exec_lo, s31
	s_and_saveexec_b32 s17, s13
	s_cbranch_execnz .LBB4_3970
	s_branch .LBB4_3971
.LBB4_4724:                             ;   in Loop: Header=BB4_3574 Depth=3
	s_mov_b32 s17, -1
	s_mov_b32 s34, exec_lo
                                        ; implicit-def: $sgpr31
	v_cmpx_eq_u16_e64 0x80, v176
; %bb.4725:                             ;   in Loop: Header=BB4_3574 Depth=3
	s_mov_b32 s31, 0x7f800001
	s_xor_b32 s17, exec_lo, -1
; %bb.4726:                             ;   in Loop: Header=BB4_3574 Depth=3
	s_or_b32 exec_lo, exec_lo, s34
	s_delay_alu instid0(SALU_CYCLE_1)
	s_and_b32 s17, s17, exec_lo
	s_or_saveexec_b32 s13, s13
	v_mov_b32_e32 v177, s31
	s_xor_b32 exec_lo, exec_lo, s13
	s_cbranch_execz .LBB4_3983
.LBB4_4727:                             ;   in Loop: Header=BB4_3574 Depth=3
	v_cmp_ne_u16_e64 vcc_lo, 0, v176
	v_mov_b32_e32 v177, 0
	s_and_not1_b32 s17, s17, exec_lo
	s_delay_alu instid0(VALU_DEP_2) | instskip(NEXT) | instid1(SALU_CYCLE_1)
	s_and_b32 vcc_lo, vcc_lo, exec_lo
	s_or_b32 s17, s17, vcc_lo
	s_or_b32 exec_lo, exec_lo, s13
	s_and_saveexec_b32 s13, s17
	s_cbranch_execnz .LBB4_3984
	s_branch .LBB4_3985
.LBB4_4728:                             ;   in Loop: Header=BB4_3574 Depth=3
	s_mov_b32 s13, -1
	s_mov_b32 s34, exec_lo
                                        ; implicit-def: $sgpr17
	v_cmpx_eq_u16_e64 0x80, v179
; %bb.4729:                             ;   in Loop: Header=BB4_3574 Depth=3
	s_mov_b32 s17, 0x7f800001
	s_xor_b32 s13, exec_lo, -1
; %bb.4730:                             ;   in Loop: Header=BB4_3574 Depth=3
	s_or_b32 exec_lo, exec_lo, s34
	s_delay_alu instid0(SALU_CYCLE_1)
	s_and_b32 s13, s13, exec_lo
                                        ; implicit-def: $vgpr179
	s_or_saveexec_b32 s31, s31
	v_mov_b32_e32 v178, s17
	s_xor_b32 exec_lo, exec_lo, s31
	s_cbranch_execz .LBB4_3987
.LBB4_4731:                             ;   in Loop: Header=BB4_3574 Depth=3
	v_cmp_ne_u16_e64 vcc_lo, 0, v179
	v_mov_b32_e32 v178, 0
	s_and_not1_b32 s13, s13, exec_lo
	s_delay_alu instid0(VALU_DEP_2) | instskip(NEXT) | instid1(SALU_CYCLE_1)
	s_and_b32 s17, vcc_lo, exec_lo
	s_or_b32 s13, s13, s17
	s_or_b32 exec_lo, exec_lo, s31
	s_and_saveexec_b32 s17, s13
	s_cbranch_execnz .LBB4_3988
	s_branch .LBB4_3989
.LBB4_4732:                             ;   in Loop: Header=BB4_3574 Depth=3
	s_mov_b32 s13, -1
	s_mov_b32 s34, exec_lo
                                        ; implicit-def: $sgpr17
	v_cmpx_eq_u16_e64 0x80, v176
; %bb.4733:                             ;   in Loop: Header=BB4_3574 Depth=3
	s_mov_b32 s17, 0x7f800001
	s_xor_b32 s13, exec_lo, -1
; %bb.4734:                             ;   in Loop: Header=BB4_3574 Depth=3
	s_or_b32 exec_lo, exec_lo, s34
	s_delay_alu instid0(SALU_CYCLE_1)
	s_and_b32 s13, s13, exec_lo
                                        ; implicit-def: $vgpr176
	s_or_saveexec_b32 s31, s31
	v_mov_b32_e32 v177, s17
	s_xor_b32 exec_lo, exec_lo, s31
	s_cbranch_execz .LBB4_3994
.LBB4_4735:                             ;   in Loop: Header=BB4_3574 Depth=3
	v_cmp_ne_u16_e64 vcc_lo, 0, v176
	v_mov_b32_e32 v177, 0
	s_and_not1_b32 s13, s13, exec_lo
	s_delay_alu instid0(VALU_DEP_2) | instskip(NEXT) | instid1(SALU_CYCLE_1)
	s_and_b32 s17, vcc_lo, exec_lo
	s_or_b32 s13, s13, s17
	s_or_b32 exec_lo, exec_lo, s31
	s_and_saveexec_b32 s17, s13
	s_cbranch_execnz .LBB4_3995
	s_branch .LBB4_3996
.LBB4_4736:                             ;   in Loop: Header=BB4_3574 Depth=3
	s_mov_b32 s13, -1
	s_mov_b32 s34, exec_lo
                                        ; implicit-def: $sgpr17
	v_cmpx_eq_u16_e64 0x80, v176
; %bb.4737:                             ;   in Loop: Header=BB4_3574 Depth=3
	s_mov_b32 s17, 0x7f800001
	s_xor_b32 s13, exec_lo, -1
; %bb.4738:                             ;   in Loop: Header=BB4_3574 Depth=3
	s_or_b32 exec_lo, exec_lo, s34
	s_delay_alu instid0(SALU_CYCLE_1)
	s_and_b32 s13, s13, exec_lo
                                        ; implicit-def: $vgpr176
	s_or_saveexec_b32 s31, s31
	v_mov_b32_e32 v167, s17
	s_xor_b32 exec_lo, exec_lo, s31
	s_cbranch_execz .LBB4_3998
.LBB4_4739:                             ;   in Loop: Header=BB4_3574 Depth=3
	v_cmp_ne_u16_e64 vcc_lo, 0, v176
	v_mov_b32_e32 v167, 0
	s_and_not1_b32 s13, s13, exec_lo
	s_delay_alu instid0(VALU_DEP_2) | instskip(NEXT) | instid1(SALU_CYCLE_1)
	s_and_b32 s17, vcc_lo, exec_lo
	s_or_b32 s13, s13, s17
	s_or_b32 exec_lo, exec_lo, s31
	s_and_saveexec_b32 s17, s13
	s_cbranch_execnz .LBB4_3999
	s_branch .LBB4_4000
.LBB4_4740:                             ;   in Loop: Header=BB4_3574 Depth=3
	s_mov_b32 s17, -1
	s_mov_b32 s34, exec_lo
                                        ; implicit-def: $sgpr31
	v_cmpx_eq_u16_e64 0x80, v176
; %bb.4741:                             ;   in Loop: Header=BB4_3574 Depth=3
	s_mov_b32 s31, 0x7f800001
	s_xor_b32 s17, exec_lo, -1
; %bb.4742:                             ;   in Loop: Header=BB4_3574 Depth=3
	s_or_b32 exec_lo, exec_lo, s34
	s_delay_alu instid0(SALU_CYCLE_1)
	s_and_b32 s17, s17, exec_lo
	s_or_saveexec_b32 s13, s13
	v_mov_b32_e32 v177, s31
	s_xor_b32 exec_lo, exec_lo, s13
	s_cbranch_execz .LBB4_4012
.LBB4_4743:                             ;   in Loop: Header=BB4_3574 Depth=3
	v_cmp_ne_u16_e64 vcc_lo, 0, v176
	v_mov_b32_e32 v177, 0
	s_and_not1_b32 s17, s17, exec_lo
	s_delay_alu instid0(VALU_DEP_2) | instskip(NEXT) | instid1(SALU_CYCLE_1)
	s_and_b32 vcc_lo, vcc_lo, exec_lo
	s_or_b32 s17, s17, vcc_lo
	s_or_b32 exec_lo, exec_lo, s13
	s_and_saveexec_b32 s13, s17
	s_cbranch_execnz .LBB4_4013
	s_branch .LBB4_4014
.LBB4_4744:                             ;   in Loop: Header=BB4_3574 Depth=3
	s_mov_b32 s13, -1
	s_mov_b32 s34, exec_lo
                                        ; implicit-def: $sgpr17
	v_cmpx_eq_u16_e64 0x80, v167
; %bb.4745:                             ;   in Loop: Header=BB4_3574 Depth=3
	s_mov_b32 s17, 0x7f800001
	s_xor_b32 s13, exec_lo, -1
; %bb.4746:                             ;   in Loop: Header=BB4_3574 Depth=3
	s_or_b32 exec_lo, exec_lo, s34
	s_delay_alu instid0(SALU_CYCLE_1)
	s_and_b32 s13, s13, exec_lo
	s_or_saveexec_b32 s31, s31
	v_mov_b32_e32 v178, s17
	s_xor_b32 exec_lo, exec_lo, s31
	s_cbranch_execz .LBB4_4016
.LBB4_4747:                             ;   in Loop: Header=BB4_3574 Depth=3
	v_cmp_ne_u16_e64 vcc_lo, 0, v167
	v_mov_b32_e32 v178, 0
	s_and_not1_b32 s13, s13, exec_lo
	s_delay_alu instid0(VALU_DEP_2) | instskip(NEXT) | instid1(SALU_CYCLE_1)
	s_and_b32 s17, vcc_lo, exec_lo
	s_or_b32 s13, s13, s17
	s_or_b32 exec_lo, exec_lo, s31
	s_and_saveexec_b32 s17, s13
	s_cbranch_execnz .LBB4_4017
	s_branch .LBB4_4018
.LBB4_4748:                             ;   in Loop: Header=BB4_3574 Depth=3
	s_mov_b32 s13, -1
	s_mov_b32 s34, exec_lo
                                        ; implicit-def: $sgpr17
	v_cmpx_eq_u16_e64 0x80, v176
; %bb.4749:                             ;   in Loop: Header=BB4_3574 Depth=3
	s_mov_b32 s17, 0x7f800001
	s_xor_b32 s13, exec_lo, -1
; %bb.4750:                             ;   in Loop: Header=BB4_3574 Depth=3
	s_or_b32 exec_lo, exec_lo, s34
	s_delay_alu instid0(SALU_CYCLE_1)
	s_and_b32 s13, s13, exec_lo
	s_or_saveexec_b32 s31, s31
	v_mov_b32_e32 v177, s17
	s_xor_b32 exec_lo, exec_lo, s31
	s_cbranch_execz .LBB4_4023
.LBB4_4751:                             ;   in Loop: Header=BB4_3574 Depth=3
	v_cmp_ne_u16_e64 vcc_lo, 0, v176
	v_mov_b32_e32 v177, 0
	s_and_not1_b32 s13, s13, exec_lo
	s_delay_alu instid0(VALU_DEP_2) | instskip(NEXT) | instid1(SALU_CYCLE_1)
	s_and_b32 s17, vcc_lo, exec_lo
	s_or_b32 s13, s13, s17
	s_or_b32 exec_lo, exec_lo, s31
	s_and_saveexec_b32 s17, s13
	s_cbranch_execnz .LBB4_4024
	s_branch .LBB4_4025
.LBB4_4752:                             ;   in Loop: Header=BB4_3574 Depth=3
	s_mov_b32 s13, -1
	s_mov_b32 s34, exec_lo
                                        ; implicit-def: $sgpr17
	v_cmpx_eq_u16_e64 0x80, v167
; %bb.4753:                             ;   in Loop: Header=BB4_3574 Depth=3
	s_mov_b32 s17, 0x7f800001
	s_xor_b32 s13, exec_lo, -1
; %bb.4754:                             ;   in Loop: Header=BB4_3574 Depth=3
	s_or_b32 exec_lo, exec_lo, s34
	s_delay_alu instid0(SALU_CYCLE_1)
	s_and_b32 s13, s13, exec_lo
	s_or_saveexec_b32 s31, s31
	v_mov_b32_e32 v23, s17
	s_xor_b32 exec_lo, exec_lo, s31
	s_cbranch_execz .LBB4_4027
.LBB4_4755:                             ;   in Loop: Header=BB4_3574 Depth=3
	v_cmp_ne_u16_e64 vcc_lo, 0, v167
	v_mov_b32_e32 v23, 0
	s_and_not1_b32 s13, s13, exec_lo
	s_delay_alu instid0(VALU_DEP_2) | instskip(NEXT) | instid1(SALU_CYCLE_1)
	s_and_b32 s17, vcc_lo, exec_lo
	s_or_b32 s13, s13, s17
	s_or_b32 exec_lo, exec_lo, s31
	s_and_saveexec_b32 s17, s13
	s_cbranch_execnz .LBB4_4028
	s_branch .LBB4_4029
.LBB4_4756:                             ;   in Loop: Header=BB4_3574 Depth=3
	s_mov_b32 s17, -1
	s_mov_b32 s34, exec_lo
                                        ; implicit-def: $sgpr31
	v_cmpx_eq_u16_e32 0x80, v23
; %bb.4757:                             ;   in Loop: Header=BB4_3574 Depth=3
	s_mov_b32 s31, 0x7f800001
	s_xor_b32 s17, exec_lo, -1
; %bb.4758:                             ;   in Loop: Header=BB4_3574 Depth=3
	s_or_b32 exec_lo, exec_lo, s34
	s_delay_alu instid0(SALU_CYCLE_1)
	s_and_b32 s17, s17, exec_lo
	s_or_saveexec_b32 s13, s13
	v_mov_b32_e32 v167, s31
	s_xor_b32 exec_lo, exec_lo, s13
	s_cbranch_execz .LBB4_4041
.LBB4_4759:                             ;   in Loop: Header=BB4_3574 Depth=3
	v_cmp_ne_u16_e32 vcc_lo, 0, v23
	v_mov_b32_e32 v167, 0
	s_and_not1_b32 s17, s17, exec_lo
	s_and_b32 vcc_lo, vcc_lo, exec_lo
	s_delay_alu instid0(SALU_CYCLE_1)
	s_or_b32 s17, s17, vcc_lo
	s_or_b32 exec_lo, exec_lo, s13
	s_and_saveexec_b32 s13, s17
	s_cbranch_execnz .LBB4_4042
	s_branch .LBB4_4043
.LBB4_4760:                             ;   in Loop: Header=BB4_3574 Depth=3
	s_mov_b32 s13, -1
	s_mov_b32 s34, exec_lo
                                        ; implicit-def: $sgpr17
	v_cmpx_eq_u16_e64 0x80, v177
; %bb.4761:                             ;   in Loop: Header=BB4_3574 Depth=3
	s_mov_b32 s17, 0x7f800001
	s_xor_b32 s13, exec_lo, -1
; %bb.4762:                             ;   in Loop: Header=BB4_3574 Depth=3
	s_or_b32 exec_lo, exec_lo, s34
	s_delay_alu instid0(SALU_CYCLE_1)
	s_and_b32 s13, s13, exec_lo
                                        ; implicit-def: $vgpr177
	s_or_saveexec_b32 s31, s31
	v_mov_b32_e32 v176, s17
	s_xor_b32 exec_lo, exec_lo, s31
	s_cbranch_execz .LBB4_4045
.LBB4_4763:                             ;   in Loop: Header=BB4_3574 Depth=3
	v_cmp_ne_u16_e64 vcc_lo, 0, v177
	v_mov_b32_e32 v176, 0
	s_and_not1_b32 s13, s13, exec_lo
	s_delay_alu instid0(VALU_DEP_2) | instskip(NEXT) | instid1(SALU_CYCLE_1)
	s_and_b32 s17, vcc_lo, exec_lo
	s_or_b32 s13, s13, s17
	s_or_b32 exec_lo, exec_lo, s31
	s_and_saveexec_b32 s17, s13
	s_cbranch_execnz .LBB4_4046
	s_branch .LBB4_4047
.LBB4_4764:                             ;   in Loop: Header=BB4_3574 Depth=3
	s_mov_b32 s13, -1
	s_mov_b32 s34, exec_lo
                                        ; implicit-def: $sgpr17
	v_cmpx_eq_u16_e32 0x80, v23
; %bb.4765:                             ;   in Loop: Header=BB4_3574 Depth=3
	s_mov_b32 s17, 0x7f800001
	s_xor_b32 s13, exec_lo, -1
; %bb.4766:                             ;   in Loop: Header=BB4_3574 Depth=3
	s_or_b32 exec_lo, exec_lo, s34
	s_delay_alu instid0(SALU_CYCLE_1)
	s_and_b32 s13, s13, exec_lo
                                        ; implicit-def: $vgpr23
	s_or_saveexec_b32 s31, s31
	v_mov_b32_e32 v167, s17
	s_xor_b32 exec_lo, exec_lo, s31
	s_cbranch_execz .LBB4_4052
.LBB4_4767:                             ;   in Loop: Header=BB4_3574 Depth=3
	v_cmp_ne_u16_e32 vcc_lo, 0, v23
	v_mov_b32_e32 v167, 0
	s_and_not1_b32 s13, s13, exec_lo
	s_and_b32 s17, vcc_lo, exec_lo
	s_delay_alu instid0(SALU_CYCLE_1)
	s_or_b32 s13, s13, s17
	s_or_b32 exec_lo, exec_lo, s31
	s_and_saveexec_b32 s17, s13
	s_cbranch_execnz .LBB4_4053
	s_branch .LBB4_4054
.LBB4_4768:                             ;   in Loop: Header=BB4_3574 Depth=3
	s_mov_b32 s13, -1
	s_mov_b32 s34, exec_lo
                                        ; implicit-def: $sgpr17
	v_cmpx_eq_u16_e64 0x80, v176
; %bb.4769:                             ;   in Loop: Header=BB4_3574 Depth=3
	s_mov_b32 s17, 0x7f800001
	s_xor_b32 s13, exec_lo, -1
; %bb.4770:                             ;   in Loop: Header=BB4_3574 Depth=3
	s_or_b32 exec_lo, exec_lo, s34
	s_delay_alu instid0(SALU_CYCLE_1)
	s_and_b32 s13, s13, exec_lo
                                        ; implicit-def: $vgpr176
	s_or_saveexec_b32 s31, s31
	v_mov_b32_e32 v23, s17
	s_xor_b32 exec_lo, exec_lo, s31
	s_cbranch_execz .LBB4_4056
.LBB4_4771:                             ;   in Loop: Header=BB4_3574 Depth=3
	v_cmp_ne_u16_e64 vcc_lo, 0, v176
	v_mov_b32_e32 v23, 0
	s_and_not1_b32 s13, s13, exec_lo
	s_delay_alu instid0(VALU_DEP_2) | instskip(NEXT) | instid1(SALU_CYCLE_1)
	s_and_b32 s17, vcc_lo, exec_lo
	s_or_b32 s13, s13, s17
	s_or_b32 exec_lo, exec_lo, s31
	s_and_saveexec_b32 s17, s13
	s_cbranch_execnz .LBB4_4057
	s_branch .LBB4_4058
.LBB4_4772:                             ;   in Loop: Header=BB4_3574 Depth=3
	s_mov_b32 s17, -1
	s_mov_b32 s34, exec_lo
                                        ; implicit-def: $sgpr31
	v_cmpx_eq_u16_e64 0x80, v176
; %bb.4773:                             ;   in Loop: Header=BB4_3574 Depth=3
	s_mov_b32 s31, 0x7f800001
	s_xor_b32 s17, exec_lo, -1
; %bb.4774:                             ;   in Loop: Header=BB4_3574 Depth=3
	s_or_b32 exec_lo, exec_lo, s34
	s_delay_alu instid0(SALU_CYCLE_1)
	s_and_b32 s17, s17, exec_lo
	s_or_saveexec_b32 s13, s13
	v_mov_b32_e32 v177, s31
	s_xor_b32 exec_lo, exec_lo, s13
	s_cbranch_execz .LBB4_4070
.LBB4_4775:                             ;   in Loop: Header=BB4_3574 Depth=3
	v_cmp_ne_u16_e64 vcc_lo, 0, v176
	v_mov_b32_e32 v177, 0
	s_and_not1_b32 s17, s17, exec_lo
	s_delay_alu instid0(VALU_DEP_2) | instskip(NEXT) | instid1(SALU_CYCLE_1)
	s_and_b32 vcc_lo, vcc_lo, exec_lo
	s_or_b32 s17, s17, vcc_lo
	s_or_b32 exec_lo, exec_lo, s13
	s_and_saveexec_b32 s13, s17
	s_cbranch_execnz .LBB4_4071
	s_branch .LBB4_4072
.LBB4_4776:                             ;   in Loop: Header=BB4_3574 Depth=3
	s_mov_b32 s13, -1
	s_mov_b32 s34, exec_lo
                                        ; implicit-def: $sgpr17
	v_cmpx_eq_u16_e64 0x80, v167
; %bb.4777:                             ;   in Loop: Header=BB4_3574 Depth=3
	s_mov_b32 s17, 0x7f800001
	s_xor_b32 s13, exec_lo, -1
; %bb.4778:                             ;   in Loop: Header=BB4_3574 Depth=3
	s_or_b32 exec_lo, exec_lo, s34
	s_delay_alu instid0(SALU_CYCLE_1)
	s_and_b32 s13, s13, exec_lo
	s_or_saveexec_b32 s31, s31
	v_mov_b32_e32 v178, s17
	s_xor_b32 exec_lo, exec_lo, s31
	s_cbranch_execz .LBB4_4074
.LBB4_4779:                             ;   in Loop: Header=BB4_3574 Depth=3
	v_cmp_ne_u16_e64 vcc_lo, 0, v167
	v_mov_b32_e32 v178, 0
	s_and_not1_b32 s13, s13, exec_lo
	s_delay_alu instid0(VALU_DEP_2) | instskip(NEXT) | instid1(SALU_CYCLE_1)
	s_and_b32 s17, vcc_lo, exec_lo
	s_or_b32 s13, s13, s17
	s_or_b32 exec_lo, exec_lo, s31
	s_and_saveexec_b32 s17, s13
	s_cbranch_execnz .LBB4_4075
	s_branch .LBB4_4076
.LBB4_4780:                             ;   in Loop: Header=BB4_3574 Depth=3
	s_mov_b32 s13, -1
	s_mov_b32 s34, exec_lo
                                        ; implicit-def: $sgpr17
	v_cmpx_eq_u16_e64 0x80, v176
; %bb.4781:                             ;   in Loop: Header=BB4_3574 Depth=3
	s_mov_b32 s17, 0x7f800001
	s_xor_b32 s13, exec_lo, -1
; %bb.4782:                             ;   in Loop: Header=BB4_3574 Depth=3
	s_or_b32 exec_lo, exec_lo, s34
	s_delay_alu instid0(SALU_CYCLE_1)
	s_and_b32 s13, s13, exec_lo
	s_or_saveexec_b32 s31, s31
	v_mov_b32_e32 v177, s17
	s_xor_b32 exec_lo, exec_lo, s31
	s_cbranch_execz .LBB4_4081
.LBB4_4783:                             ;   in Loop: Header=BB4_3574 Depth=3
	v_cmp_ne_u16_e64 vcc_lo, 0, v176
	v_mov_b32_e32 v177, 0
	s_and_not1_b32 s13, s13, exec_lo
	s_delay_alu instid0(VALU_DEP_2) | instskip(NEXT) | instid1(SALU_CYCLE_1)
	s_and_b32 s17, vcc_lo, exec_lo
	s_or_b32 s13, s13, s17
	s_or_b32 exec_lo, exec_lo, s31
	s_and_saveexec_b32 s17, s13
	s_cbranch_execnz .LBB4_4082
	s_branch .LBB4_4083
.LBB4_4784:                             ;   in Loop: Header=BB4_3574 Depth=3
	s_mov_b32 s13, -1
	s_mov_b32 s34, exec_lo
                                        ; implicit-def: $sgpr17
	v_cmpx_eq_u16_e64 0x80, v167
; %bb.4785:                             ;   in Loop: Header=BB4_3574 Depth=3
	s_mov_b32 s17, 0x7f800001
	s_xor_b32 s13, exec_lo, -1
; %bb.4786:                             ;   in Loop: Header=BB4_3574 Depth=3
	s_or_b32 exec_lo, exec_lo, s34
	s_delay_alu instid0(SALU_CYCLE_1)
	s_and_b32 s13, s13, exec_lo
	s_or_saveexec_b32 s31, s31
	v_mov_b32_e32 v176, s17
	s_xor_b32 exec_lo, exec_lo, s31
	s_cbranch_execz .LBB4_4085
.LBB4_4787:                             ;   in Loop: Header=BB4_3574 Depth=3
	v_cmp_ne_u16_e64 vcc_lo, 0, v167
	v_mov_b32_e32 v176, 0
	s_and_not1_b32 s13, s13, exec_lo
	s_delay_alu instid0(VALU_DEP_2) | instskip(NEXT) | instid1(SALU_CYCLE_1)
	s_and_b32 s17, vcc_lo, exec_lo
	s_or_b32 s13, s13, s17
	s_or_b32 exec_lo, exec_lo, s31
	s_and_saveexec_b32 s17, s13
	s_cbranch_execnz .LBB4_4086
	s_branch .LBB4_4087
.LBB4_4788:                             ;   in Loop: Header=BB4_3574 Depth=3
	s_mov_b32 s17, -1
	s_mov_b32 s34, exec_lo
                                        ; implicit-def: $sgpr31
	v_cmpx_eq_u16_e64 0x80, v178
; %bb.4789:                             ;   in Loop: Header=BB4_3574 Depth=3
	s_mov_b32 s31, 0x7f800001
	s_xor_b32 s17, exec_lo, -1
; %bb.4790:                             ;   in Loop: Header=BB4_3574 Depth=3
	s_or_b32 exec_lo, exec_lo, s34
	s_delay_alu instid0(SALU_CYCLE_1)
	s_and_b32 s17, s17, exec_lo
	s_or_saveexec_b32 s13, s13
	v_mov_b32_e32 v179, s31
	s_xor_b32 exec_lo, exec_lo, s13
	s_cbranch_execz .LBB4_4099
.LBB4_4791:                             ;   in Loop: Header=BB4_3574 Depth=3
	v_cmp_ne_u16_e64 vcc_lo, 0, v178
	v_mov_b32_e32 v179, 0
	s_and_not1_b32 s17, s17, exec_lo
	s_delay_alu instid0(VALU_DEP_2) | instskip(NEXT) | instid1(SALU_CYCLE_1)
	s_and_b32 vcc_lo, vcc_lo, exec_lo
	s_or_b32 s17, s17, vcc_lo
	s_or_b32 exec_lo, exec_lo, s13
	s_and_saveexec_b32 s13, s17
	s_cbranch_execnz .LBB4_4100
	s_branch .LBB4_4101
.LBB4_4792:                             ;   in Loop: Header=BB4_3574 Depth=3
	s_mov_b32 s13, -1
	s_mov_b32 s34, exec_lo
                                        ; implicit-def: $sgpr17
	v_cmpx_eq_u16_e64 0x80, v181
; %bb.4793:                             ;   in Loop: Header=BB4_3574 Depth=3
	s_mov_b32 s17, 0x7f800001
	s_xor_b32 s13, exec_lo, -1
; %bb.4794:                             ;   in Loop: Header=BB4_3574 Depth=3
	s_or_b32 exec_lo, exec_lo, s34
	s_delay_alu instid0(SALU_CYCLE_1)
	s_and_b32 s13, s13, exec_lo
                                        ; implicit-def: $vgpr181
	s_or_saveexec_b32 s31, s31
	v_mov_b32_e32 v180, s17
	s_xor_b32 exec_lo, exec_lo, s31
	s_cbranch_execz .LBB4_4103
.LBB4_4795:                             ;   in Loop: Header=BB4_3574 Depth=3
	v_cmp_ne_u16_e64 vcc_lo, 0, v181
	v_mov_b32_e32 v180, 0
	s_and_not1_b32 s13, s13, exec_lo
	s_delay_alu instid0(VALU_DEP_2) | instskip(NEXT) | instid1(SALU_CYCLE_1)
	s_and_b32 s17, vcc_lo, exec_lo
	s_or_b32 s13, s13, s17
	s_or_b32 exec_lo, exec_lo, s31
	s_and_saveexec_b32 s17, s13
	s_cbranch_execnz .LBB4_4104
	s_branch .LBB4_4105
.LBB4_4796:                             ;   in Loop: Header=BB4_3574 Depth=3
	s_mov_b32 s13, -1
	s_mov_b32 s34, exec_lo
                                        ; implicit-def: $sgpr17
	v_cmpx_eq_u16_e64 0x80, v178
; %bb.4797:                             ;   in Loop: Header=BB4_3574 Depth=3
	s_mov_b32 s17, 0x7f800001
	s_xor_b32 s13, exec_lo, -1
; %bb.4798:                             ;   in Loop: Header=BB4_3574 Depth=3
	s_or_b32 exec_lo, exec_lo, s34
	s_delay_alu instid0(SALU_CYCLE_1)
	s_and_b32 s13, s13, exec_lo
                                        ; implicit-def: $vgpr178
	s_or_saveexec_b32 s31, s31
	v_mov_b32_e32 v179, s17
	s_xor_b32 exec_lo, exec_lo, s31
	s_cbranch_execz .LBB4_4110
.LBB4_4799:                             ;   in Loop: Header=BB4_3574 Depth=3
	v_cmp_ne_u16_e64 vcc_lo, 0, v178
	v_mov_b32_e32 v179, 0
	s_and_not1_b32 s13, s13, exec_lo
	s_delay_alu instid0(VALU_DEP_2) | instskip(NEXT) | instid1(SALU_CYCLE_1)
	s_and_b32 s17, vcc_lo, exec_lo
	s_or_b32 s13, s13, s17
	s_or_b32 exec_lo, exec_lo, s31
	s_and_saveexec_b32 s17, s13
	s_cbranch_execnz .LBB4_4111
	s_branch .LBB4_4112
.LBB4_4800:                             ;   in Loop: Header=BB4_3574 Depth=3
	s_mov_b32 s13, -1
	s_mov_b32 s34, exec_lo
                                        ; implicit-def: $sgpr17
	v_cmpx_eq_u16_e64 0x80, v178
; %bb.4801:                             ;   in Loop: Header=BB4_3574 Depth=3
	s_mov_b32 s17, 0x7f800001
	s_xor_b32 s13, exec_lo, -1
; %bb.4802:                             ;   in Loop: Header=BB4_3574 Depth=3
	s_or_b32 exec_lo, exec_lo, s34
	s_delay_alu instid0(SALU_CYCLE_1)
	s_and_b32 s13, s13, exec_lo
                                        ; implicit-def: $vgpr178
	s_or_saveexec_b32 s31, s31
	v_mov_b32_e32 v177, s17
	s_xor_b32 exec_lo, exec_lo, s31
	s_cbranch_execz .LBB4_4114
.LBB4_4803:                             ;   in Loop: Header=BB4_3574 Depth=3
	v_cmp_ne_u16_e64 vcc_lo, 0, v178
	v_mov_b32_e32 v177, 0
	s_and_not1_b32 s13, s13, exec_lo
	s_delay_alu instid0(VALU_DEP_2) | instskip(NEXT) | instid1(SALU_CYCLE_1)
	s_and_b32 s17, vcc_lo, exec_lo
	s_or_b32 s13, s13, s17
	s_or_b32 exec_lo, exec_lo, s31
	s_and_saveexec_b32 s17, s13
	s_cbranch_execnz .LBB4_4115
	s_branch .LBB4_4116
.LBB4_4804:                             ;   in Loop: Header=BB4_3574 Depth=3
	s_mov_b32 s17, -1
	s_mov_b32 s34, exec_lo
                                        ; implicit-def: $sgpr31
	v_cmpx_eq_u16_e64 0x80, v178
; %bb.4805:                             ;   in Loop: Header=BB4_3574 Depth=3
	s_mov_b32 s31, 0x7f800001
	s_xor_b32 s17, exec_lo, -1
; %bb.4806:                             ;   in Loop: Header=BB4_3574 Depth=3
	s_or_b32 exec_lo, exec_lo, s34
	s_delay_alu instid0(SALU_CYCLE_1)
	s_and_b32 s17, s17, exec_lo
	s_or_saveexec_b32 s13, s13
	v_mov_b32_e32 v179, s31
	s_xor_b32 exec_lo, exec_lo, s13
	s_cbranch_execz .LBB4_4128
.LBB4_4807:                             ;   in Loop: Header=BB4_3574 Depth=3
	v_cmp_ne_u16_e64 vcc_lo, 0, v178
	v_mov_b32_e32 v179, 0
	s_and_not1_b32 s17, s17, exec_lo
	s_delay_alu instid0(VALU_DEP_2) | instskip(NEXT) | instid1(SALU_CYCLE_1)
	s_and_b32 vcc_lo, vcc_lo, exec_lo
	s_or_b32 s17, s17, vcc_lo
	s_or_b32 exec_lo, exec_lo, s13
	s_and_saveexec_b32 s13, s17
	s_cbranch_execnz .LBB4_4129
	s_branch .LBB4_4130
.LBB4_4808:                             ;   in Loop: Header=BB4_3574 Depth=3
	s_mov_b32 s13, -1
	s_mov_b32 s34, exec_lo
                                        ; implicit-def: $sgpr17
	v_cmpx_eq_u16_e64 0x80, v177
; %bb.4809:                             ;   in Loop: Header=BB4_3574 Depth=3
	s_mov_b32 s17, 0x7f800001
	s_xor_b32 s13, exec_lo, -1
; %bb.4810:                             ;   in Loop: Header=BB4_3574 Depth=3
	s_or_b32 exec_lo, exec_lo, s34
	s_delay_alu instid0(SALU_CYCLE_1)
	s_and_b32 s13, s13, exec_lo
	s_or_saveexec_b32 s31, s31
	v_mov_b32_e32 v180, s17
	s_xor_b32 exec_lo, exec_lo, s31
	s_cbranch_execz .LBB4_4132
.LBB4_4811:                             ;   in Loop: Header=BB4_3574 Depth=3
	v_cmp_ne_u16_e64 vcc_lo, 0, v177
	v_mov_b32_e32 v180, 0
	s_and_not1_b32 s13, s13, exec_lo
	s_delay_alu instid0(VALU_DEP_2) | instskip(NEXT) | instid1(SALU_CYCLE_1)
	s_and_b32 s17, vcc_lo, exec_lo
	s_or_b32 s13, s13, s17
	s_or_b32 exec_lo, exec_lo, s31
	s_and_saveexec_b32 s17, s13
	s_cbranch_execnz .LBB4_4133
	s_branch .LBB4_4134
.LBB4_4812:                             ;   in Loop: Header=BB4_3574 Depth=3
	s_mov_b32 s13, -1
	s_mov_b32 s34, exec_lo
                                        ; implicit-def: $sgpr17
	v_cmpx_eq_u16_e64 0x80, v178
; %bb.4813:                             ;   in Loop: Header=BB4_3574 Depth=3
	s_mov_b32 s17, 0x7f800001
	s_xor_b32 s13, exec_lo, -1
; %bb.4814:                             ;   in Loop: Header=BB4_3574 Depth=3
	s_or_b32 exec_lo, exec_lo, s34
	s_delay_alu instid0(SALU_CYCLE_1)
	s_and_b32 s13, s13, exec_lo
	s_or_saveexec_b32 s31, s31
	v_mov_b32_e32 v179, s17
	s_xor_b32 exec_lo, exec_lo, s31
	s_cbranch_execz .LBB4_4139
.LBB4_4815:                             ;   in Loop: Header=BB4_3574 Depth=3
	v_cmp_ne_u16_e64 vcc_lo, 0, v178
	v_mov_b32_e32 v179, 0
	s_and_not1_b32 s13, s13, exec_lo
	s_delay_alu instid0(VALU_DEP_2) | instskip(NEXT) | instid1(SALU_CYCLE_1)
	s_and_b32 s17, vcc_lo, exec_lo
	s_or_b32 s13, s13, s17
	s_or_b32 exec_lo, exec_lo, s31
	s_and_saveexec_b32 s17, s13
	s_cbranch_execnz .LBB4_4140
	s_branch .LBB4_4141
.LBB4_4816:                             ;   in Loop: Header=BB4_3574 Depth=3
	s_mov_b32 s13, -1
	s_mov_b32 s34, exec_lo
                                        ; implicit-def: $sgpr17
	v_cmpx_eq_u16_e64 0x80, v177
; %bb.4817:                             ;   in Loop: Header=BB4_3574 Depth=3
	s_mov_b32 s17, 0x7f800001
	s_xor_b32 s13, exec_lo, -1
; %bb.4818:                             ;   in Loop: Header=BB4_3574 Depth=3
	s_or_b32 exec_lo, exec_lo, s34
	s_delay_alu instid0(SALU_CYCLE_1)
	s_and_b32 s13, s13, exec_lo
	s_or_saveexec_b32 s31, s31
	v_mov_b32_e32 v12, s17
	s_xor_b32 exec_lo, exec_lo, s31
	s_cbranch_execz .LBB4_4143
.LBB4_4819:                             ;   in Loop: Header=BB4_3574 Depth=3
	v_cmp_ne_u16_e64 vcc_lo, 0, v177
	v_mov_b32_e32 v12, 0
	s_and_not1_b32 s13, s13, exec_lo
	s_delay_alu instid0(VALU_DEP_2) | instskip(NEXT) | instid1(SALU_CYCLE_1)
	s_and_b32 s17, vcc_lo, exec_lo
	s_or_b32 s13, s13, s17
	s_or_b32 exec_lo, exec_lo, s31
	s_and_saveexec_b32 s17, s13
	s_cbranch_execnz .LBB4_4144
	s_branch .LBB4_4145
.LBB4_4820:                             ;   in Loop: Header=BB4_3574 Depth=3
	s_mov_b32 s17, -1
	s_mov_b32 s34, exec_lo
                                        ; implicit-def: $sgpr31
	v_cmpx_eq_u16_e32 0x80, v12
; %bb.4821:                             ;   in Loop: Header=BB4_3574 Depth=3
	s_mov_b32 s31, 0x7f800001
	s_xor_b32 s17, exec_lo, -1
; %bb.4822:                             ;   in Loop: Header=BB4_3574 Depth=3
	s_or_b32 exec_lo, exec_lo, s34
	s_delay_alu instid0(SALU_CYCLE_1)
	s_and_b32 s17, s17, exec_lo
	s_or_saveexec_b32 s13, s13
	v_mov_b32_e32 v177, s31
	s_xor_b32 exec_lo, exec_lo, s13
	s_cbranch_execz .LBB4_4157
.LBB4_4823:                             ;   in Loop: Header=BB4_3574 Depth=3
	v_cmp_ne_u16_e32 vcc_lo, 0, v12
	v_mov_b32_e32 v177, 0
	s_and_not1_b32 s17, s17, exec_lo
	s_and_b32 vcc_lo, vcc_lo, exec_lo
	s_delay_alu instid0(SALU_CYCLE_1)
	s_or_b32 s17, s17, vcc_lo
	s_or_b32 exec_lo, exec_lo, s13
	s_and_saveexec_b32 s13, s17
	s_cbranch_execnz .LBB4_4158
	s_branch .LBB4_4159
.LBB4_4824:                             ;   in Loop: Header=BB4_3574 Depth=3
	s_mov_b32 s13, -1
	s_mov_b32 s34, exec_lo
                                        ; implicit-def: $sgpr17
	v_cmpx_eq_u16_e64 0x80, v179
; %bb.4825:                             ;   in Loop: Header=BB4_3574 Depth=3
	s_mov_b32 s17, 0x7f800001
	s_xor_b32 s13, exec_lo, -1
; %bb.4826:                             ;   in Loop: Header=BB4_3574 Depth=3
	s_or_b32 exec_lo, exec_lo, s34
	s_delay_alu instid0(SALU_CYCLE_1)
	s_and_b32 s13, s13, exec_lo
                                        ; implicit-def: $vgpr179
	s_or_saveexec_b32 s31, s31
	v_mov_b32_e32 v178, s17
	s_xor_b32 exec_lo, exec_lo, s31
	s_cbranch_execz .LBB4_4161
.LBB4_4827:                             ;   in Loop: Header=BB4_3574 Depth=3
	v_cmp_ne_u16_e64 vcc_lo, 0, v179
	v_mov_b32_e32 v178, 0
	s_and_not1_b32 s13, s13, exec_lo
	s_delay_alu instid0(VALU_DEP_2) | instskip(NEXT) | instid1(SALU_CYCLE_1)
	s_and_b32 s17, vcc_lo, exec_lo
	s_or_b32 s13, s13, s17
	s_or_b32 exec_lo, exec_lo, s31
	s_and_saveexec_b32 s17, s13
	s_cbranch_execnz .LBB4_4162
	s_branch .LBB4_4163
.LBB4_4828:                             ;   in Loop: Header=BB4_3574 Depth=3
	s_mov_b32 s13, -1
	s_mov_b32 s34, exec_lo
                                        ; implicit-def: $sgpr17
	v_cmpx_eq_u16_e32 0x80, v12
; %bb.4829:                             ;   in Loop: Header=BB4_3574 Depth=3
	s_mov_b32 s17, 0x7f800001
	s_xor_b32 s13, exec_lo, -1
; %bb.4830:                             ;   in Loop: Header=BB4_3574 Depth=3
	s_or_b32 exec_lo, exec_lo, s34
	s_delay_alu instid0(SALU_CYCLE_1)
	s_and_b32 s13, s13, exec_lo
                                        ; implicit-def: $vgpr12
	s_or_saveexec_b32 s31, s31
	v_mov_b32_e32 v177, s17
	s_xor_b32 exec_lo, exec_lo, s31
	s_cbranch_execz .LBB4_4168
.LBB4_4831:                             ;   in Loop: Header=BB4_3574 Depth=3
	v_cmp_ne_u16_e32 vcc_lo, 0, v12
	v_mov_b32_e32 v177, 0
	s_and_not1_b32 s13, s13, exec_lo
	s_and_b32 s17, vcc_lo, exec_lo
	s_delay_alu instid0(SALU_CYCLE_1)
	s_or_b32 s13, s13, s17
	s_or_b32 exec_lo, exec_lo, s31
	s_and_saveexec_b32 s17, s13
	s_cbranch_execnz .LBB4_4169
	s_branch .LBB4_4170
.LBB4_4832:                             ;   in Loop: Header=BB4_3574 Depth=3
	s_mov_b32 s13, -1
	s_mov_b32 s34, exec_lo
                                        ; implicit-def: $sgpr17
	v_cmpx_eq_u16_e64 0x80, v178
; %bb.4833:                             ;   in Loop: Header=BB4_3574 Depth=3
	s_mov_b32 s17, 0x7f800001
	s_xor_b32 s13, exec_lo, -1
; %bb.4834:                             ;   in Loop: Header=BB4_3574 Depth=3
	s_or_b32 exec_lo, exec_lo, s34
	s_delay_alu instid0(SALU_CYCLE_1)
	s_and_b32 s13, s13, exec_lo
                                        ; implicit-def: $vgpr178
	s_or_saveexec_b32 s31, s31
	v_mov_b32_e32 v12, s17
	s_xor_b32 exec_lo, exec_lo, s31
	s_cbranch_execz .LBB4_4172
.LBB4_4835:                             ;   in Loop: Header=BB4_3574 Depth=3
	v_cmp_ne_u16_e64 vcc_lo, 0, v178
	v_mov_b32_e32 v12, 0
	s_and_not1_b32 s13, s13, exec_lo
	s_delay_alu instid0(VALU_DEP_2) | instskip(NEXT) | instid1(SALU_CYCLE_1)
	s_and_b32 s17, vcc_lo, exec_lo
	s_or_b32 s13, s13, s17
	s_or_b32 exec_lo, exec_lo, s31
	s_and_saveexec_b32 s17, s13
	s_cbranch_execnz .LBB4_4173
	s_branch .LBB4_4174
.LBB4_4836:                             ;   in Loop: Header=BB4_3574 Depth=3
	s_mov_b32 s17, -1
	s_mov_b32 s34, exec_lo
                                        ; implicit-def: $sgpr31
	v_cmpx_eq_u16_e64 0x80, v178
; %bb.4837:                             ;   in Loop: Header=BB4_3574 Depth=3
	s_mov_b32 s31, 0x7f800001
	s_xor_b32 s17, exec_lo, -1
; %bb.4838:                             ;   in Loop: Header=BB4_3574 Depth=3
	s_or_b32 exec_lo, exec_lo, s34
	s_delay_alu instid0(SALU_CYCLE_1)
	s_and_b32 s17, s17, exec_lo
	s_or_saveexec_b32 s13, s13
	v_mov_b32_e32 v179, s31
	s_xor_b32 exec_lo, exec_lo, s13
	s_cbranch_execz .LBB4_4186
.LBB4_4839:                             ;   in Loop: Header=BB4_3574 Depth=3
	v_cmp_ne_u16_e64 vcc_lo, 0, v178
	v_mov_b32_e32 v179, 0
	s_and_not1_b32 s17, s17, exec_lo
	s_delay_alu instid0(VALU_DEP_2) | instskip(NEXT) | instid1(SALU_CYCLE_1)
	s_and_b32 vcc_lo, vcc_lo, exec_lo
	s_or_b32 s17, s17, vcc_lo
	s_or_b32 exec_lo, exec_lo, s13
	s_and_saveexec_b32 s13, s17
	s_cbranch_execnz .LBB4_4187
	s_branch .LBB4_4188
.LBB4_4840:                             ;   in Loop: Header=BB4_3574 Depth=3
	s_mov_b32 s13, -1
	s_mov_b32 s34, exec_lo
                                        ; implicit-def: $sgpr17
	v_cmpx_eq_u16_e64 0x80, v177
; %bb.4841:                             ;   in Loop: Header=BB4_3574 Depth=3
	s_mov_b32 s17, 0x7f800001
	s_xor_b32 s13, exec_lo, -1
; %bb.4842:                             ;   in Loop: Header=BB4_3574 Depth=3
	s_or_b32 exec_lo, exec_lo, s34
	s_delay_alu instid0(SALU_CYCLE_1)
	s_and_b32 s13, s13, exec_lo
	s_or_saveexec_b32 s31, s31
	v_mov_b32_e32 v180, s17
	s_xor_b32 exec_lo, exec_lo, s31
	s_cbranch_execz .LBB4_4190
.LBB4_4843:                             ;   in Loop: Header=BB4_3574 Depth=3
	v_cmp_ne_u16_e64 vcc_lo, 0, v177
	v_mov_b32_e32 v180, 0
	s_and_not1_b32 s13, s13, exec_lo
	s_delay_alu instid0(VALU_DEP_2) | instskip(NEXT) | instid1(SALU_CYCLE_1)
	s_and_b32 s17, vcc_lo, exec_lo
	s_or_b32 s13, s13, s17
	s_or_b32 exec_lo, exec_lo, s31
	s_and_saveexec_b32 s17, s13
	s_cbranch_execnz .LBB4_4191
	s_branch .LBB4_4192
.LBB4_4844:                             ;   in Loop: Header=BB4_3574 Depth=3
	s_mov_b32 s13, -1
	s_mov_b32 s34, exec_lo
                                        ; implicit-def: $sgpr17
	v_cmpx_eq_u16_e64 0x80, v178
; %bb.4845:                             ;   in Loop: Header=BB4_3574 Depth=3
	s_mov_b32 s17, 0x7f800001
	s_xor_b32 s13, exec_lo, -1
; %bb.4846:                             ;   in Loop: Header=BB4_3574 Depth=3
	s_or_b32 exec_lo, exec_lo, s34
	s_delay_alu instid0(SALU_CYCLE_1)
	s_and_b32 s13, s13, exec_lo
	s_or_saveexec_b32 s31, s31
	v_mov_b32_e32 v179, s17
	s_xor_b32 exec_lo, exec_lo, s31
	s_cbranch_execz .LBB4_4197
.LBB4_4847:                             ;   in Loop: Header=BB4_3574 Depth=3
	v_cmp_ne_u16_e64 vcc_lo, 0, v178
	v_mov_b32_e32 v179, 0
	s_and_not1_b32 s13, s13, exec_lo
	s_delay_alu instid0(VALU_DEP_2) | instskip(NEXT) | instid1(SALU_CYCLE_1)
	s_and_b32 s17, vcc_lo, exec_lo
	s_or_b32 s13, s13, s17
	s_or_b32 exec_lo, exec_lo, s31
	s_and_saveexec_b32 s17, s13
	s_cbranch_execnz .LBB4_4198
	s_branch .LBB4_4199
.LBB4_4848:                             ;   in Loop: Header=BB4_3574 Depth=3
	s_mov_b32 s13, -1
	s_mov_b32 s34, exec_lo
                                        ; implicit-def: $sgpr17
	v_cmpx_eq_u16_e64 0x80, v177
; %bb.4849:                             ;   in Loop: Header=BB4_3574 Depth=3
	s_mov_b32 s17, 0x7f800001
	s_xor_b32 s13, exec_lo, -1
; %bb.4850:                             ;   in Loop: Header=BB4_3574 Depth=3
	s_or_b32 exec_lo, exec_lo, s34
	s_delay_alu instid0(SALU_CYCLE_1)
	s_and_b32 s13, s13, exec_lo
	s_or_saveexec_b32 s31, s31
	v_mov_b32_e32 v178, s17
	s_xor_b32 exec_lo, exec_lo, s31
	s_cbranch_execz .LBB4_4201
.LBB4_4851:                             ;   in Loop: Header=BB4_3574 Depth=3
	v_cmp_ne_u16_e64 vcc_lo, 0, v177
	v_mov_b32_e32 v178, 0
	s_and_not1_b32 s13, s13, exec_lo
	s_delay_alu instid0(VALU_DEP_2) | instskip(NEXT) | instid1(SALU_CYCLE_1)
	s_and_b32 s17, vcc_lo, exec_lo
	s_or_b32 s13, s13, s17
	s_or_b32 exec_lo, exec_lo, s31
	s_and_saveexec_b32 s17, s13
	s_cbranch_execnz .LBB4_4202
	s_branch .LBB4_4203
.LBB4_4852:                             ;   in Loop: Header=BB4_3574 Depth=3
	s_mov_b32 s17, -1
	s_mov_b32 s34, exec_lo
                                        ; implicit-def: $sgpr31
	v_cmpx_eq_u16_e64 0x80, v180
; %bb.4853:                             ;   in Loop: Header=BB4_3574 Depth=3
	s_mov_b32 s31, 0x7f800001
	s_xor_b32 s17, exec_lo, -1
; %bb.4854:                             ;   in Loop: Header=BB4_3574 Depth=3
	s_or_b32 exec_lo, exec_lo, s34
	s_delay_alu instid0(SALU_CYCLE_1)
	s_and_b32 s17, s17, exec_lo
	s_or_saveexec_b32 s13, s13
	v_mov_b32_e32 v181, s31
	s_xor_b32 exec_lo, exec_lo, s13
	s_cbranch_execz .LBB4_4215
.LBB4_4855:                             ;   in Loop: Header=BB4_3574 Depth=3
	v_cmp_ne_u16_e64 vcc_lo, 0, v180
	v_mov_b32_e32 v181, 0
	s_and_not1_b32 s17, s17, exec_lo
	s_delay_alu instid0(VALU_DEP_2) | instskip(NEXT) | instid1(SALU_CYCLE_1)
	s_and_b32 vcc_lo, vcc_lo, exec_lo
	s_or_b32 s17, s17, vcc_lo
	s_or_b32 exec_lo, exec_lo, s13
	s_and_saveexec_b32 s13, s17
	s_cbranch_execnz .LBB4_4216
	s_branch .LBB4_4217
.LBB4_4856:                             ;   in Loop: Header=BB4_3574 Depth=3
	s_mov_b32 s13, -1
	s_mov_b32 s34, exec_lo
                                        ; implicit-def: $sgpr17
	v_cmpx_eq_u16_e64 0x80, v183
; %bb.4857:                             ;   in Loop: Header=BB4_3574 Depth=3
	s_mov_b32 s17, 0x7f800001
	s_xor_b32 s13, exec_lo, -1
; %bb.4858:                             ;   in Loop: Header=BB4_3574 Depth=3
	s_or_b32 exec_lo, exec_lo, s34
	s_delay_alu instid0(SALU_CYCLE_1)
	s_and_b32 s13, s13, exec_lo
                                        ; implicit-def: $vgpr183
	s_or_saveexec_b32 s31, s31
	v_mov_b32_e32 v182, s17
	s_xor_b32 exec_lo, exec_lo, s31
	s_cbranch_execz .LBB4_4219
.LBB4_4859:                             ;   in Loop: Header=BB4_3574 Depth=3
	v_cmp_ne_u16_e64 vcc_lo, 0, v183
	v_mov_b32_e32 v182, 0
	s_and_not1_b32 s13, s13, exec_lo
	s_delay_alu instid0(VALU_DEP_2) | instskip(NEXT) | instid1(SALU_CYCLE_1)
	s_and_b32 s17, vcc_lo, exec_lo
	s_or_b32 s13, s13, s17
	s_or_b32 exec_lo, exec_lo, s31
	s_and_saveexec_b32 s17, s13
	s_cbranch_execnz .LBB4_4220
	s_branch .LBB4_4221
.LBB4_4860:                             ;   in Loop: Header=BB4_3574 Depth=3
	s_mov_b32 s13, -1
	s_mov_b32 s34, exec_lo
                                        ; implicit-def: $sgpr17
	v_cmpx_eq_u16_e64 0x80, v180
; %bb.4861:                             ;   in Loop: Header=BB4_3574 Depth=3
	s_mov_b32 s17, 0x7f800001
	s_xor_b32 s13, exec_lo, -1
; %bb.4862:                             ;   in Loop: Header=BB4_3574 Depth=3
	s_or_b32 exec_lo, exec_lo, s34
	s_delay_alu instid0(SALU_CYCLE_1)
	s_and_b32 s13, s13, exec_lo
                                        ; implicit-def: $vgpr180
	s_or_saveexec_b32 s31, s31
	v_mov_b32_e32 v181, s17
	s_xor_b32 exec_lo, exec_lo, s31
	s_cbranch_execz .LBB4_4226
.LBB4_4863:                             ;   in Loop: Header=BB4_3574 Depth=3
	v_cmp_ne_u16_e64 vcc_lo, 0, v180
	v_mov_b32_e32 v181, 0
	s_and_not1_b32 s13, s13, exec_lo
	s_delay_alu instid0(VALU_DEP_2) | instskip(NEXT) | instid1(SALU_CYCLE_1)
	s_and_b32 s17, vcc_lo, exec_lo
	s_or_b32 s13, s13, s17
	s_or_b32 exec_lo, exec_lo, s31
	s_and_saveexec_b32 s17, s13
	s_cbranch_execnz .LBB4_4227
	s_branch .LBB4_4228
.LBB4_4864:                             ;   in Loop: Header=BB4_3574 Depth=3
	s_mov_b32 s13, -1
	s_mov_b32 s34, exec_lo
                                        ; implicit-def: $sgpr17
	v_cmpx_eq_u16_e64 0x80, v180
; %bb.4865:                             ;   in Loop: Header=BB4_3574 Depth=3
	s_mov_b32 s17, 0x7f800001
	s_xor_b32 s13, exec_lo, -1
; %bb.4866:                             ;   in Loop: Header=BB4_3574 Depth=3
	s_or_b32 exec_lo, exec_lo, s34
	s_delay_alu instid0(SALU_CYCLE_1)
	s_and_b32 s13, s13, exec_lo
                                        ; implicit-def: $vgpr180
	s_or_saveexec_b32 s31, s31
	v_mov_b32_e32 v179, s17
	s_xor_b32 exec_lo, exec_lo, s31
	s_cbranch_execz .LBB4_4230
.LBB4_4867:                             ;   in Loop: Header=BB4_3574 Depth=3
	v_cmp_ne_u16_e64 vcc_lo, 0, v180
	v_mov_b32_e32 v179, 0
	s_and_not1_b32 s13, s13, exec_lo
	s_delay_alu instid0(VALU_DEP_2) | instskip(NEXT) | instid1(SALU_CYCLE_1)
	s_and_b32 s17, vcc_lo, exec_lo
	s_or_b32 s13, s13, s17
	s_or_b32 exec_lo, exec_lo, s31
	s_and_saveexec_b32 s17, s13
	s_cbranch_execnz .LBB4_4231
	s_branch .LBB4_4232
.LBB4_4868:                             ;   in Loop: Header=BB4_3574 Depth=3
	s_mov_b32 s17, -1
	s_mov_b32 s34, exec_lo
                                        ; implicit-def: $sgpr31
	v_cmpx_eq_u16_e64 0x80, v180
; %bb.4869:                             ;   in Loop: Header=BB4_3574 Depth=3
	s_mov_b32 s31, 0x7f800001
	s_xor_b32 s17, exec_lo, -1
; %bb.4870:                             ;   in Loop: Header=BB4_3574 Depth=3
	s_or_b32 exec_lo, exec_lo, s34
	s_delay_alu instid0(SALU_CYCLE_1)
	s_and_b32 s17, s17, exec_lo
	s_or_saveexec_b32 s13, s13
	v_mov_b32_e32 v181, s31
	s_xor_b32 exec_lo, exec_lo, s13
	s_cbranch_execz .LBB4_4244
.LBB4_4871:                             ;   in Loop: Header=BB4_3574 Depth=3
	v_cmp_ne_u16_e64 vcc_lo, 0, v180
	v_mov_b32_e32 v181, 0
	s_and_not1_b32 s17, s17, exec_lo
	s_delay_alu instid0(VALU_DEP_2) | instskip(NEXT) | instid1(SALU_CYCLE_1)
	s_and_b32 vcc_lo, vcc_lo, exec_lo
	s_or_b32 s17, s17, vcc_lo
	s_or_b32 exec_lo, exec_lo, s13
	s_and_saveexec_b32 s13, s17
	s_cbranch_execnz .LBB4_4245
	s_branch .LBB4_4246
.LBB4_4872:                             ;   in Loop: Header=BB4_3574 Depth=3
	s_mov_b32 s13, -1
	s_mov_b32 s34, exec_lo
                                        ; implicit-def: $sgpr17
	v_cmpx_eq_u16_e64 0x80, v179
; %bb.4873:                             ;   in Loop: Header=BB4_3574 Depth=3
	s_mov_b32 s17, 0x7f800001
	s_xor_b32 s13, exec_lo, -1
; %bb.4874:                             ;   in Loop: Header=BB4_3574 Depth=3
	s_or_b32 exec_lo, exec_lo, s34
	s_delay_alu instid0(SALU_CYCLE_1)
	s_and_b32 s13, s13, exec_lo
	s_or_saveexec_b32 s31, s31
	v_mov_b32_e32 v182, s17
	s_xor_b32 exec_lo, exec_lo, s31
	s_cbranch_execz .LBB4_4248
.LBB4_4875:                             ;   in Loop: Header=BB4_3574 Depth=3
	v_cmp_ne_u16_e64 vcc_lo, 0, v179
	v_mov_b32_e32 v182, 0
	s_and_not1_b32 s13, s13, exec_lo
	s_delay_alu instid0(VALU_DEP_2) | instskip(NEXT) | instid1(SALU_CYCLE_1)
	s_and_b32 s17, vcc_lo, exec_lo
	s_or_b32 s13, s13, s17
	s_or_b32 exec_lo, exec_lo, s31
	s_and_saveexec_b32 s17, s13
	s_cbranch_execnz .LBB4_4249
	s_branch .LBB4_4250
.LBB4_4876:                             ;   in Loop: Header=BB4_3574 Depth=3
	s_mov_b32 s13, -1
	s_mov_b32 s34, exec_lo
                                        ; implicit-def: $sgpr17
	v_cmpx_eq_u16_e64 0x80, v180
; %bb.4877:                             ;   in Loop: Header=BB4_3574 Depth=3
	s_mov_b32 s17, 0x7f800001
	s_xor_b32 s13, exec_lo, -1
; %bb.4878:                             ;   in Loop: Header=BB4_3574 Depth=3
	s_or_b32 exec_lo, exec_lo, s34
	s_delay_alu instid0(SALU_CYCLE_1)
	s_and_b32 s13, s13, exec_lo
	s_or_saveexec_b32 s31, s31
	v_mov_b32_e32 v181, s17
	s_xor_b32 exec_lo, exec_lo, s31
	s_cbranch_execz .LBB4_4255
.LBB4_4879:                             ;   in Loop: Header=BB4_3574 Depth=3
	v_cmp_ne_u16_e64 vcc_lo, 0, v180
	v_mov_b32_e32 v181, 0
	s_and_not1_b32 s13, s13, exec_lo
	s_delay_alu instid0(VALU_DEP_2) | instskip(NEXT) | instid1(SALU_CYCLE_1)
	s_and_b32 s17, vcc_lo, exec_lo
	s_or_b32 s13, s13, s17
	s_or_b32 exec_lo, exec_lo, s31
	s_and_saveexec_b32 s17, s13
	s_cbranch_execnz .LBB4_4256
	s_branch .LBB4_4257
.LBB4_4880:                             ;   in Loop: Header=BB4_3574 Depth=3
	s_mov_b32 s13, -1
	s_mov_b32 s34, exec_lo
                                        ; implicit-def: $sgpr17
	v_cmpx_eq_u16_e64 0x80, v179
; %bb.4881:                             ;   in Loop: Header=BB4_3574 Depth=3
	s_mov_b32 s17, 0x7f800001
	s_xor_b32 s13, exec_lo, -1
; %bb.4882:                             ;   in Loop: Header=BB4_3574 Depth=3
	s_or_b32 exec_lo, exec_lo, s34
	s_delay_alu instid0(SALU_CYCLE_1)
	s_and_b32 s13, s13, exec_lo
	s_or_saveexec_b32 s31, s31
	v_mov_b32_e32 v13, s17
	s_xor_b32 exec_lo, exec_lo, s31
	s_cbranch_execz .LBB4_4259
.LBB4_4883:                             ;   in Loop: Header=BB4_3574 Depth=3
	v_cmp_ne_u16_e64 vcc_lo, 0, v179
	v_mov_b32_e32 v13, 0
	s_and_not1_b32 s13, s13, exec_lo
	s_delay_alu instid0(VALU_DEP_2) | instskip(NEXT) | instid1(SALU_CYCLE_1)
	s_and_b32 s17, vcc_lo, exec_lo
	s_or_b32 s13, s13, s17
	s_or_b32 exec_lo, exec_lo, s31
	s_and_saveexec_b32 s17, s13
	s_cbranch_execnz .LBB4_4260
	s_branch .LBB4_4261
.LBB4_4884:                             ;   in Loop: Header=BB4_3574 Depth=3
	s_mov_b32 s17, -1
	s_mov_b32 s34, exec_lo
                                        ; implicit-def: $sgpr31
	v_cmpx_eq_u16_e32 0x80, v13
; %bb.4885:                             ;   in Loop: Header=BB4_3574 Depth=3
	s_mov_b32 s31, 0x7f800001
	s_xor_b32 s17, exec_lo, -1
; %bb.4886:                             ;   in Loop: Header=BB4_3574 Depth=3
	s_or_b32 exec_lo, exec_lo, s34
	s_delay_alu instid0(SALU_CYCLE_1)
	s_and_b32 s17, s17, exec_lo
	s_or_saveexec_b32 s13, s13
	v_mov_b32_e32 v179, s31
	s_xor_b32 exec_lo, exec_lo, s13
	s_cbranch_execz .LBB4_4273
.LBB4_4887:                             ;   in Loop: Header=BB4_3574 Depth=3
	v_cmp_ne_u16_e32 vcc_lo, 0, v13
	v_mov_b32_e32 v179, 0
	s_and_not1_b32 s17, s17, exec_lo
	s_and_b32 vcc_lo, vcc_lo, exec_lo
	s_delay_alu instid0(SALU_CYCLE_1)
	s_or_b32 s17, s17, vcc_lo
	s_or_b32 exec_lo, exec_lo, s13
	s_and_saveexec_b32 s13, s17
	s_cbranch_execnz .LBB4_4274
	s_branch .LBB4_4275
.LBB4_4888:                             ;   in Loop: Header=BB4_3574 Depth=3
	s_mov_b32 s13, -1
	s_mov_b32 s34, exec_lo
                                        ; implicit-def: $sgpr17
	v_cmpx_eq_u16_e64 0x80, v181
; %bb.4889:                             ;   in Loop: Header=BB4_3574 Depth=3
	s_mov_b32 s17, 0x7f800001
	s_xor_b32 s13, exec_lo, -1
; %bb.4890:                             ;   in Loop: Header=BB4_3574 Depth=3
	s_or_b32 exec_lo, exec_lo, s34
	s_delay_alu instid0(SALU_CYCLE_1)
	s_and_b32 s13, s13, exec_lo
                                        ; implicit-def: $vgpr181
	s_or_saveexec_b32 s31, s31
	v_mov_b32_e32 v180, s17
	s_xor_b32 exec_lo, exec_lo, s31
	s_cbranch_execz .LBB4_4277
.LBB4_4891:                             ;   in Loop: Header=BB4_3574 Depth=3
	v_cmp_ne_u16_e64 vcc_lo, 0, v181
	v_mov_b32_e32 v180, 0
	s_and_not1_b32 s13, s13, exec_lo
	s_delay_alu instid0(VALU_DEP_2) | instskip(NEXT) | instid1(SALU_CYCLE_1)
	s_and_b32 s17, vcc_lo, exec_lo
	s_or_b32 s13, s13, s17
	s_or_b32 exec_lo, exec_lo, s31
	s_and_saveexec_b32 s17, s13
	s_cbranch_execnz .LBB4_4278
	s_branch .LBB4_4279
.LBB4_4892:                             ;   in Loop: Header=BB4_3574 Depth=3
	s_mov_b32 s13, -1
	s_mov_b32 s34, exec_lo
                                        ; implicit-def: $sgpr17
	v_cmpx_eq_u16_e32 0x80, v13
; %bb.4893:                             ;   in Loop: Header=BB4_3574 Depth=3
	s_mov_b32 s17, 0x7f800001
	s_xor_b32 s13, exec_lo, -1
; %bb.4894:                             ;   in Loop: Header=BB4_3574 Depth=3
	s_or_b32 exec_lo, exec_lo, s34
	s_delay_alu instid0(SALU_CYCLE_1)
	s_and_b32 s13, s13, exec_lo
                                        ; implicit-def: $vgpr13
	s_or_saveexec_b32 s31, s31
	v_mov_b32_e32 v179, s17
	s_xor_b32 exec_lo, exec_lo, s31
	s_cbranch_execz .LBB4_4284
.LBB4_4895:                             ;   in Loop: Header=BB4_3574 Depth=3
	v_cmp_ne_u16_e32 vcc_lo, 0, v13
	v_mov_b32_e32 v179, 0
	s_and_not1_b32 s13, s13, exec_lo
	s_and_b32 s17, vcc_lo, exec_lo
	s_delay_alu instid0(SALU_CYCLE_1)
	s_or_b32 s13, s13, s17
	s_or_b32 exec_lo, exec_lo, s31
	s_and_saveexec_b32 s17, s13
	s_cbranch_execnz .LBB4_4285
	s_branch .LBB4_4286
.LBB4_4896:                             ;   in Loop: Header=BB4_3574 Depth=3
	s_mov_b32 s13, -1
	s_mov_b32 s34, exec_lo
                                        ; implicit-def: $sgpr17
	v_cmpx_eq_u16_e64 0x80, v180
; %bb.4897:                             ;   in Loop: Header=BB4_3574 Depth=3
	s_mov_b32 s17, 0x7f800001
	s_xor_b32 s13, exec_lo, -1
; %bb.4898:                             ;   in Loop: Header=BB4_3574 Depth=3
	s_or_b32 exec_lo, exec_lo, s34
	s_delay_alu instid0(SALU_CYCLE_1)
	s_and_b32 s13, s13, exec_lo
                                        ; implicit-def: $vgpr180
	s_or_saveexec_b32 s31, s31
	v_mov_b32_e32 v13, s17
	s_xor_b32 exec_lo, exec_lo, s31
	s_cbranch_execz .LBB4_4288
.LBB4_4899:                             ;   in Loop: Header=BB4_3574 Depth=3
	v_cmp_ne_u16_e64 vcc_lo, 0, v180
	v_mov_b32_e32 v13, 0
	s_and_not1_b32 s13, s13, exec_lo
	s_delay_alu instid0(VALU_DEP_2) | instskip(NEXT) | instid1(SALU_CYCLE_1)
	s_and_b32 s17, vcc_lo, exec_lo
	s_or_b32 s13, s13, s17
	s_or_b32 exec_lo, exec_lo, s31
	s_and_saveexec_b32 s17, s13
	s_cbranch_execnz .LBB4_4289
	s_branch .LBB4_4290
.LBB4_4900:                             ;   in Loop: Header=BB4_3574 Depth=3
	s_mov_b32 s17, -1
	s_mov_b32 s34, exec_lo
                                        ; implicit-def: $sgpr31
	v_cmpx_eq_u16_e64 0x80, v180
; %bb.4901:                             ;   in Loop: Header=BB4_3574 Depth=3
	s_mov_b32 s31, 0x7f800001
	s_xor_b32 s17, exec_lo, -1
; %bb.4902:                             ;   in Loop: Header=BB4_3574 Depth=3
	s_or_b32 exec_lo, exec_lo, s34
	s_delay_alu instid0(SALU_CYCLE_1)
	s_and_b32 s17, s17, exec_lo
	s_or_saveexec_b32 s13, s13
	v_mov_b32_e32 v181, s31
	s_xor_b32 exec_lo, exec_lo, s13
	s_cbranch_execz .LBB4_4302
.LBB4_4903:                             ;   in Loop: Header=BB4_3574 Depth=3
	v_cmp_ne_u16_e64 vcc_lo, 0, v180
	v_mov_b32_e32 v181, 0
	s_and_not1_b32 s17, s17, exec_lo
	s_delay_alu instid0(VALU_DEP_2) | instskip(NEXT) | instid1(SALU_CYCLE_1)
	s_and_b32 vcc_lo, vcc_lo, exec_lo
	s_or_b32 s17, s17, vcc_lo
	s_or_b32 exec_lo, exec_lo, s13
	s_and_saveexec_b32 s13, s17
	s_cbranch_execnz .LBB4_4303
	s_branch .LBB4_4304
.LBB4_4904:                             ;   in Loop: Header=BB4_3574 Depth=3
	s_mov_b32 s13, -1
	s_mov_b32 s34, exec_lo
                                        ; implicit-def: $sgpr17
	v_cmpx_eq_u16_e64 0x80, v179
; %bb.4905:                             ;   in Loop: Header=BB4_3574 Depth=3
	s_mov_b32 s17, 0x7f800001
	s_xor_b32 s13, exec_lo, -1
; %bb.4906:                             ;   in Loop: Header=BB4_3574 Depth=3
	s_or_b32 exec_lo, exec_lo, s34
	s_delay_alu instid0(SALU_CYCLE_1)
	s_and_b32 s13, s13, exec_lo
	s_or_saveexec_b32 s31, s31
	v_mov_b32_e32 v182, s17
	s_xor_b32 exec_lo, exec_lo, s31
	s_cbranch_execz .LBB4_4306
.LBB4_4907:                             ;   in Loop: Header=BB4_3574 Depth=3
	v_cmp_ne_u16_e64 vcc_lo, 0, v179
	v_mov_b32_e32 v182, 0
	s_and_not1_b32 s13, s13, exec_lo
	s_delay_alu instid0(VALU_DEP_2) | instskip(NEXT) | instid1(SALU_CYCLE_1)
	s_and_b32 s17, vcc_lo, exec_lo
	s_or_b32 s13, s13, s17
	s_or_b32 exec_lo, exec_lo, s31
	s_and_saveexec_b32 s17, s13
	s_cbranch_execnz .LBB4_4307
	s_branch .LBB4_4308
.LBB4_4908:                             ;   in Loop: Header=BB4_3574 Depth=3
	s_mov_b32 s13, -1
	s_mov_b32 s34, exec_lo
                                        ; implicit-def: $sgpr17
	v_cmpx_eq_u16_e64 0x80, v180
; %bb.4909:                             ;   in Loop: Header=BB4_3574 Depth=3
	s_mov_b32 s17, 0x7f800001
	s_xor_b32 s13, exec_lo, -1
; %bb.4910:                             ;   in Loop: Header=BB4_3574 Depth=3
	s_or_b32 exec_lo, exec_lo, s34
	s_delay_alu instid0(SALU_CYCLE_1)
	s_and_b32 s13, s13, exec_lo
	s_or_saveexec_b32 s31, s31
	v_mov_b32_e32 v181, s17
	s_xor_b32 exec_lo, exec_lo, s31
	s_cbranch_execz .LBB4_4313
.LBB4_4911:                             ;   in Loop: Header=BB4_3574 Depth=3
	v_cmp_ne_u16_e64 vcc_lo, 0, v180
	v_mov_b32_e32 v181, 0
	s_and_not1_b32 s13, s13, exec_lo
	s_delay_alu instid0(VALU_DEP_2) | instskip(NEXT) | instid1(SALU_CYCLE_1)
	s_and_b32 s17, vcc_lo, exec_lo
	s_or_b32 s13, s13, s17
	s_or_b32 exec_lo, exec_lo, s31
	s_and_saveexec_b32 s17, s13
	s_cbranch_execnz .LBB4_4314
	s_branch .LBB4_4315
.LBB4_4912:                             ;   in Loop: Header=BB4_3574 Depth=3
	s_mov_b32 s13, -1
	s_mov_b32 s34, exec_lo
                                        ; implicit-def: $sgpr17
	v_cmpx_eq_u16_e64 0x80, v179
; %bb.4913:                             ;   in Loop: Header=BB4_3574 Depth=3
	s_mov_b32 s17, 0x7f800001
	s_xor_b32 s13, exec_lo, -1
; %bb.4914:                             ;   in Loop: Header=BB4_3574 Depth=3
	s_or_b32 exec_lo, exec_lo, s34
	s_delay_alu instid0(SALU_CYCLE_1)
	s_and_b32 s13, s13, exec_lo
	s_or_saveexec_b32 s31, s31
	v_mov_b32_e32 v180, s17
	s_xor_b32 exec_lo, exec_lo, s31
	s_cbranch_execz .LBB4_4317
.LBB4_4915:                             ;   in Loop: Header=BB4_3574 Depth=3
	v_cmp_ne_u16_e64 vcc_lo, 0, v179
	v_mov_b32_e32 v180, 0
	s_and_not1_b32 s13, s13, exec_lo
	s_delay_alu instid0(VALU_DEP_2) | instskip(NEXT) | instid1(SALU_CYCLE_1)
	s_and_b32 s17, vcc_lo, exec_lo
	s_or_b32 s13, s13, s17
	s_or_b32 exec_lo, exec_lo, s31
	s_and_saveexec_b32 s17, s13
	s_cbranch_execnz .LBB4_4318
	s_branch .LBB4_4319
.LBB4_4916:                             ;   in Loop: Header=BB4_3574 Depth=3
	s_mov_b32 s17, -1
	s_mov_b32 s34, exec_lo
                                        ; implicit-def: $sgpr31
	v_cmpx_eq_u16_e64 0x80, v182
; %bb.4917:                             ;   in Loop: Header=BB4_3574 Depth=3
	s_mov_b32 s31, 0x7f800001
	s_xor_b32 s17, exec_lo, -1
; %bb.4918:                             ;   in Loop: Header=BB4_3574 Depth=3
	s_or_b32 exec_lo, exec_lo, s34
	s_delay_alu instid0(SALU_CYCLE_1)
	s_and_b32 s17, s17, exec_lo
	s_or_saveexec_b32 s13, s13
	v_mov_b32_e32 v183, s31
	s_xor_b32 exec_lo, exec_lo, s13
	s_cbranch_execz .LBB4_4331
.LBB4_4919:                             ;   in Loop: Header=BB4_3574 Depth=3
	v_cmp_ne_u16_e64 vcc_lo, 0, v182
	v_mov_b32_e32 v183, 0
	s_and_not1_b32 s17, s17, exec_lo
	s_delay_alu instid0(VALU_DEP_2) | instskip(NEXT) | instid1(SALU_CYCLE_1)
	s_and_b32 vcc_lo, vcc_lo, exec_lo
	s_or_b32 s17, s17, vcc_lo
	s_or_b32 exec_lo, exec_lo, s13
	s_and_saveexec_b32 s13, s17
	s_cbranch_execnz .LBB4_4332
	s_branch .LBB4_4333
.LBB4_4920:                             ;   in Loop: Header=BB4_3574 Depth=3
	s_mov_b32 s13, -1
	s_mov_b32 s34, exec_lo
                                        ; implicit-def: $sgpr17
	v_cmpx_eq_u16_e32 0x80, v41
; %bb.4921:                             ;   in Loop: Header=BB4_3574 Depth=3
	s_mov_b32 s17, 0x7f800001
	s_xor_b32 s13, exec_lo, -1
; %bb.4922:                             ;   in Loop: Header=BB4_3574 Depth=3
	s_or_b32 exec_lo, exec_lo, s34
	s_delay_alu instid0(SALU_CYCLE_1)
	s_and_b32 s13, s13, exec_lo
                                        ; implicit-def: $vgpr41
	s_or_saveexec_b32 s31, s31
	v_mov_b32_e32 v40, s17
	s_xor_b32 exec_lo, exec_lo, s31
	s_cbranch_execz .LBB4_4335
.LBB4_4923:                             ;   in Loop: Header=BB4_3574 Depth=3
	v_cmp_ne_u16_e32 vcc_lo, 0, v41
	v_mov_b32_e32 v40, 0
	s_and_not1_b32 s13, s13, exec_lo
	s_and_b32 s17, vcc_lo, exec_lo
	s_delay_alu instid0(SALU_CYCLE_1)
	s_or_b32 s13, s13, s17
	s_or_b32 exec_lo, exec_lo, s31
	s_and_saveexec_b32 s17, s13
	s_cbranch_execnz .LBB4_4336
	s_branch .LBB4_4337
.LBB4_4924:                             ;   in Loop: Header=BB4_3574 Depth=3
	s_mov_b32 s13, -1
	s_mov_b32 s34, exec_lo
                                        ; implicit-def: $sgpr17
	v_cmpx_eq_u16_e64 0x80, v182
; %bb.4925:                             ;   in Loop: Header=BB4_3574 Depth=3
	s_mov_b32 s17, 0x7f800001
	s_xor_b32 s13, exec_lo, -1
; %bb.4926:                             ;   in Loop: Header=BB4_3574 Depth=3
	s_or_b32 exec_lo, exec_lo, s34
	s_delay_alu instid0(SALU_CYCLE_1)
	s_and_b32 s13, s13, exec_lo
                                        ; implicit-def: $vgpr182
	s_or_saveexec_b32 s31, s31
	v_mov_b32_e32 v183, s17
	s_xor_b32 exec_lo, exec_lo, s31
	s_cbranch_execz .LBB4_4342
.LBB4_4927:                             ;   in Loop: Header=BB4_3574 Depth=3
	v_cmp_ne_u16_e64 vcc_lo, 0, v182
	v_mov_b32_e32 v183, 0
	s_and_not1_b32 s13, s13, exec_lo
	s_delay_alu instid0(VALU_DEP_2) | instskip(NEXT) | instid1(SALU_CYCLE_1)
	s_and_b32 s17, vcc_lo, exec_lo
	s_or_b32 s13, s13, s17
	s_or_b32 exec_lo, exec_lo, s31
	s_and_saveexec_b32 s17, s13
	s_cbranch_execnz .LBB4_4343
	s_branch .LBB4_4344
.LBB4_4928:                             ;   in Loop: Header=BB4_3574 Depth=3
	s_mov_b32 s13, -1
	s_mov_b32 s34, exec_lo
                                        ; implicit-def: $sgpr17
	v_cmpx_eq_u16_e64 0x80, v182
; %bb.4929:                             ;   in Loop: Header=BB4_3574 Depth=3
	s_mov_b32 s17, 0x7f800001
	s_xor_b32 s13, exec_lo, -1
; %bb.4930:                             ;   in Loop: Header=BB4_3574 Depth=3
	s_or_b32 exec_lo, exec_lo, s34
	s_delay_alu instid0(SALU_CYCLE_1)
	s_and_b32 s13, s13, exec_lo
                                        ; implicit-def: $vgpr182
	s_or_saveexec_b32 s31, s31
	v_mov_b32_e32 v181, s17
	s_xor_b32 exec_lo, exec_lo, s31
	s_cbranch_execz .LBB4_4346
.LBB4_4931:                             ;   in Loop: Header=BB4_3574 Depth=3
	v_cmp_ne_u16_e64 vcc_lo, 0, v182
	v_mov_b32_e32 v181, 0
	s_and_not1_b32 s13, s13, exec_lo
	s_delay_alu instid0(VALU_DEP_2) | instskip(NEXT) | instid1(SALU_CYCLE_1)
	s_and_b32 s17, vcc_lo, exec_lo
	s_or_b32 s13, s13, s17
	s_or_b32 exec_lo, exec_lo, s31
	s_and_saveexec_b32 s17, s13
	s_cbranch_execnz .LBB4_4347
	s_branch .LBB4_4348
.LBB4_4932:                             ;   in Loop: Header=BB4_3574 Depth=3
	s_mov_b32 s17, -1
	s_mov_b32 s34, exec_lo
                                        ; implicit-def: $sgpr31
	v_cmpx_eq_u16_e64 0x80, v182
; %bb.4933:                             ;   in Loop: Header=BB4_3574 Depth=3
	s_mov_b32 s31, 0x7f800001
	s_xor_b32 s17, exec_lo, -1
; %bb.4934:                             ;   in Loop: Header=BB4_3574 Depth=3
	s_or_b32 exec_lo, exec_lo, s34
	s_delay_alu instid0(SALU_CYCLE_1)
	s_and_b32 s17, s17, exec_lo
	s_or_saveexec_b32 s13, s13
	v_mov_b32_e32 v183, s31
	s_xor_b32 exec_lo, exec_lo, s13
	s_cbranch_execz .LBB4_4360
.LBB4_4935:                             ;   in Loop: Header=BB4_3574 Depth=3
	v_cmp_ne_u16_e64 vcc_lo, 0, v182
	v_mov_b32_e32 v183, 0
	s_and_not1_b32 s17, s17, exec_lo
	s_delay_alu instid0(VALU_DEP_2) | instskip(NEXT) | instid1(SALU_CYCLE_1)
	s_and_b32 vcc_lo, vcc_lo, exec_lo
	s_or_b32 s17, s17, vcc_lo
	s_or_b32 exec_lo, exec_lo, s13
	s_and_saveexec_b32 s13, s17
	s_cbranch_execnz .LBB4_4361
	s_branch .LBB4_4362
.LBB4_4936:                             ;   in Loop: Header=BB4_3574 Depth=3
	s_mov_b32 s13, -1
	s_mov_b32 s34, exec_lo
                                        ; implicit-def: $sgpr17
	v_cmpx_eq_u16_e64 0x80, v181
; %bb.4937:                             ;   in Loop: Header=BB4_3574 Depth=3
	s_mov_b32 s17, 0x7f800001
	s_xor_b32 s13, exec_lo, -1
; %bb.4938:                             ;   in Loop: Header=BB4_3574 Depth=3
	s_or_b32 exec_lo, exec_lo, s34
	s_delay_alu instid0(SALU_CYCLE_1)
	s_and_b32 s13, s13, exec_lo
	s_or_saveexec_b32 s31, s31
	v_mov_b32_e32 v40, s17
	s_xor_b32 exec_lo, exec_lo, s31
	s_cbranch_execz .LBB4_4364
.LBB4_4939:                             ;   in Loop: Header=BB4_3574 Depth=3
	v_cmp_ne_u16_e64 vcc_lo, 0, v181
	v_mov_b32_e32 v40, 0
	s_and_not1_b32 s13, s13, exec_lo
	s_delay_alu instid0(VALU_DEP_2) | instskip(NEXT) | instid1(SALU_CYCLE_1)
	s_and_b32 s17, vcc_lo, exec_lo
	s_or_b32 s13, s13, s17
	s_or_b32 exec_lo, exec_lo, s31
	s_and_saveexec_b32 s17, s13
	s_cbranch_execnz .LBB4_4365
	s_branch .LBB4_4366
.LBB4_4940:                             ;   in Loop: Header=BB4_3574 Depth=3
	s_mov_b32 s13, -1
	s_mov_b32 s34, exec_lo
                                        ; implicit-def: $sgpr17
	v_cmpx_eq_u16_e64 0x80, v182
; %bb.4941:                             ;   in Loop: Header=BB4_3574 Depth=3
	s_mov_b32 s17, 0x7f800001
	s_xor_b32 s13, exec_lo, -1
; %bb.4942:                             ;   in Loop: Header=BB4_3574 Depth=3
	s_or_b32 exec_lo, exec_lo, s34
	s_delay_alu instid0(SALU_CYCLE_1)
	s_and_b32 s13, s13, exec_lo
	s_or_saveexec_b32 s31, s31
	v_mov_b32_e32 v183, s17
	s_xor_b32 exec_lo, exec_lo, s31
	s_cbranch_execz .LBB4_4371
.LBB4_4943:                             ;   in Loop: Header=BB4_3574 Depth=3
	v_cmp_ne_u16_e64 vcc_lo, 0, v182
	v_mov_b32_e32 v183, 0
	s_and_not1_b32 s13, s13, exec_lo
	s_delay_alu instid0(VALU_DEP_2) | instskip(NEXT) | instid1(SALU_CYCLE_1)
	s_and_b32 s17, vcc_lo, exec_lo
	s_or_b32 s13, s13, s17
	s_or_b32 exec_lo, exec_lo, s31
	s_and_saveexec_b32 s17, s13
	s_cbranch_execnz .LBB4_4372
	s_branch .LBB4_4373
.LBB4_4944:                             ;   in Loop: Header=BB4_3574 Depth=3
	s_mov_b32 s13, -1
	s_mov_b32 s34, exec_lo
                                        ; implicit-def: $sgpr17
	v_cmpx_eq_u16_e64 0x80, v181
; %bb.4945:                             ;   in Loop: Header=BB4_3574 Depth=3
	s_mov_b32 s17, 0x7f800001
	s_xor_b32 s13, exec_lo, -1
; %bb.4946:                             ;   in Loop: Header=BB4_3574 Depth=3
	s_or_b32 exec_lo, exec_lo, s34
	s_delay_alu instid0(SALU_CYCLE_1)
	s_and_b32 s13, s13, exec_lo
	s_or_saveexec_b32 s31, s31
	v_mov_b32_e32 v14, s17
	s_xor_b32 exec_lo, exec_lo, s31
	s_cbranch_execz .LBB4_4375
.LBB4_4947:                             ;   in Loop: Header=BB4_3574 Depth=3
	v_cmp_ne_u16_e64 vcc_lo, 0, v181
	v_mov_b32_e32 v14, 0
	s_and_not1_b32 s13, s13, exec_lo
	s_delay_alu instid0(VALU_DEP_2) | instskip(NEXT) | instid1(SALU_CYCLE_1)
	s_and_b32 s17, vcc_lo, exec_lo
	s_or_b32 s13, s13, s17
	s_or_b32 exec_lo, exec_lo, s31
	s_and_saveexec_b32 s17, s13
	s_cbranch_execnz .LBB4_4376
	s_branch .LBB4_4377
.LBB4_4948:                             ;   in Loop: Header=BB4_3574 Depth=3
	s_mov_b32 s17, -1
	s_mov_b32 s34, exec_lo
                                        ; implicit-def: $sgpr31
	v_cmpx_eq_u16_e32 0x80, v14
; %bb.4949:                             ;   in Loop: Header=BB4_3574 Depth=3
	s_mov_b32 s31, 0x7f800001
	s_xor_b32 s17, exec_lo, -1
; %bb.4950:                             ;   in Loop: Header=BB4_3574 Depth=3
	s_or_b32 exec_lo, exec_lo, s34
	s_delay_alu instid0(SALU_CYCLE_1)
	s_and_b32 s17, s17, exec_lo
	s_or_saveexec_b32 s13, s13
	v_mov_b32_e32 v181, s31
	s_xor_b32 exec_lo, exec_lo, s13
	s_cbranch_execz .LBB4_4389
.LBB4_4951:                             ;   in Loop: Header=BB4_3574 Depth=3
	v_cmp_ne_u16_e32 vcc_lo, 0, v14
	v_mov_b32_e32 v181, 0
	s_and_not1_b32 s17, s17, exec_lo
	s_and_b32 vcc_lo, vcc_lo, exec_lo
	s_delay_alu instid0(SALU_CYCLE_1)
	s_or_b32 s17, s17, vcc_lo
	s_or_b32 exec_lo, exec_lo, s13
	s_and_saveexec_b32 s13, s17
	s_cbranch_execnz .LBB4_4390
	s_branch .LBB4_4391
.LBB4_4952:                             ;   in Loop: Header=BB4_3574 Depth=3
	s_mov_b32 s13, -1
	s_mov_b32 s34, exec_lo
                                        ; implicit-def: $sgpr17
	v_cmpx_eq_u16_e64 0x80, v183
; %bb.4953:                             ;   in Loop: Header=BB4_3574 Depth=3
	s_mov_b32 s17, 0x7f800001
	s_xor_b32 s13, exec_lo, -1
; %bb.4954:                             ;   in Loop: Header=BB4_3574 Depth=3
	s_or_b32 exec_lo, exec_lo, s34
	s_delay_alu instid0(SALU_CYCLE_1)
	s_and_b32 s13, s13, exec_lo
                                        ; implicit-def: $vgpr183
	s_or_saveexec_b32 s31, s31
	v_mov_b32_e32 v182, s17
	s_xor_b32 exec_lo, exec_lo, s31
	s_cbranch_execz .LBB4_4393
.LBB4_4955:                             ;   in Loop: Header=BB4_3574 Depth=3
	v_cmp_ne_u16_e64 vcc_lo, 0, v183
	v_mov_b32_e32 v182, 0
	s_and_not1_b32 s13, s13, exec_lo
	s_delay_alu instid0(VALU_DEP_2) | instskip(NEXT) | instid1(SALU_CYCLE_1)
	s_and_b32 s17, vcc_lo, exec_lo
	s_or_b32 s13, s13, s17
	s_or_b32 exec_lo, exec_lo, s31
	s_and_saveexec_b32 s17, s13
	s_cbranch_execnz .LBB4_4394
	s_branch .LBB4_4395
.LBB4_4956:                             ;   in Loop: Header=BB4_3574 Depth=3
	s_mov_b32 s13, -1
	s_mov_b32 s34, exec_lo
                                        ; implicit-def: $sgpr17
	v_cmpx_eq_u16_e32 0x80, v14
; %bb.4957:                             ;   in Loop: Header=BB4_3574 Depth=3
	s_mov_b32 s17, 0x7f800001
	s_xor_b32 s13, exec_lo, -1
; %bb.4958:                             ;   in Loop: Header=BB4_3574 Depth=3
	s_or_b32 exec_lo, exec_lo, s34
	s_delay_alu instid0(SALU_CYCLE_1)
	s_and_b32 s13, s13, exec_lo
                                        ; implicit-def: $vgpr14
	s_or_saveexec_b32 s31, s31
	v_mov_b32_e32 v181, s17
	s_xor_b32 exec_lo, exec_lo, s31
	s_cbranch_execz .LBB4_4400
.LBB4_4959:                             ;   in Loop: Header=BB4_3574 Depth=3
	v_cmp_ne_u16_e32 vcc_lo, 0, v14
	v_mov_b32_e32 v181, 0
	s_and_not1_b32 s13, s13, exec_lo
	s_and_b32 s17, vcc_lo, exec_lo
	s_delay_alu instid0(SALU_CYCLE_1)
	s_or_b32 s13, s13, s17
	s_or_b32 exec_lo, exec_lo, s31
	s_and_saveexec_b32 s17, s13
	s_cbranch_execnz .LBB4_4401
	s_branch .LBB4_4402
.LBB4_4960:                             ;   in Loop: Header=BB4_3574 Depth=3
	s_mov_b32 s13, -1
	s_mov_b32 s34, exec_lo
                                        ; implicit-def: $sgpr17
	v_cmpx_eq_u16_e64 0x80, v182
; %bb.4961:                             ;   in Loop: Header=BB4_3574 Depth=3
	s_mov_b32 s17, 0x7f800001
	s_xor_b32 s13, exec_lo, -1
; %bb.4962:                             ;   in Loop: Header=BB4_3574 Depth=3
	s_or_b32 exec_lo, exec_lo, s34
	s_delay_alu instid0(SALU_CYCLE_1)
	s_and_b32 s13, s13, exec_lo
                                        ; implicit-def: $vgpr182
	s_or_saveexec_b32 s31, s31
	v_mov_b32_e32 v14, s17
	s_xor_b32 exec_lo, exec_lo, s31
	s_cbranch_execz .LBB4_4404
.LBB4_4963:                             ;   in Loop: Header=BB4_3574 Depth=3
	v_cmp_ne_u16_e64 vcc_lo, 0, v182
	v_mov_b32_e32 v14, 0
	s_and_not1_b32 s13, s13, exec_lo
	s_delay_alu instid0(VALU_DEP_2) | instskip(NEXT) | instid1(SALU_CYCLE_1)
	s_and_b32 s17, vcc_lo, exec_lo
	s_or_b32 s13, s13, s17
	s_or_b32 exec_lo, exec_lo, s31
	s_and_saveexec_b32 s17, s13
	s_cbranch_execnz .LBB4_4405
	s_branch .LBB4_4406
.LBB4_4964:                             ;   in Loop: Header=BB4_3574 Depth=3
	s_mov_b32 s17, -1
	s_mov_b32 s34, exec_lo
                                        ; implicit-def: $sgpr31
	v_cmpx_eq_u16_e64 0x80, v182
; %bb.4965:                             ;   in Loop: Header=BB4_3574 Depth=3
	s_mov_b32 s31, 0x7f800001
	s_xor_b32 s17, exec_lo, -1
; %bb.4966:                             ;   in Loop: Header=BB4_3574 Depth=3
	s_or_b32 exec_lo, exec_lo, s34
	s_delay_alu instid0(SALU_CYCLE_1)
	s_and_b32 s17, s17, exec_lo
	s_or_saveexec_b32 s13, s13
	v_mov_b32_e32 v183, s31
	s_xor_b32 exec_lo, exec_lo, s13
	s_cbranch_execz .LBB4_4418
.LBB4_4967:                             ;   in Loop: Header=BB4_3574 Depth=3
	v_cmp_ne_u16_e64 vcc_lo, 0, v182
	v_mov_b32_e32 v183, 0
	s_and_not1_b32 s17, s17, exec_lo
	s_delay_alu instid0(VALU_DEP_2) | instskip(NEXT) | instid1(SALU_CYCLE_1)
	s_and_b32 vcc_lo, vcc_lo, exec_lo
	s_or_b32 s17, s17, vcc_lo
	s_or_b32 exec_lo, exec_lo, s13
	s_and_saveexec_b32 s13, s17
	s_cbranch_execnz .LBB4_4419
	s_branch .LBB4_4420
.LBB4_4968:                             ;   in Loop: Header=BB4_3574 Depth=3
	s_mov_b32 s13, -1
	s_mov_b32 s34, exec_lo
                                        ; implicit-def: $sgpr17
	v_cmpx_eq_u16_e64 0x80, v181
; %bb.4969:                             ;   in Loop: Header=BB4_3574 Depth=3
	s_mov_b32 s17, 0x7f800001
	s_xor_b32 s13, exec_lo, -1
; %bb.4970:                             ;   in Loop: Header=BB4_3574 Depth=3
	s_or_b32 exec_lo, exec_lo, s34
	s_delay_alu instid0(SALU_CYCLE_1)
	s_and_b32 s13, s13, exec_lo
	s_or_saveexec_b32 s31, s31
	v_mov_b32_e32 v40, s17
	s_xor_b32 exec_lo, exec_lo, s31
	s_cbranch_execz .LBB4_4422
.LBB4_4971:                             ;   in Loop: Header=BB4_3574 Depth=3
	v_cmp_ne_u16_e64 vcc_lo, 0, v181
	v_mov_b32_e32 v40, 0
	s_and_not1_b32 s13, s13, exec_lo
	s_delay_alu instid0(VALU_DEP_2) | instskip(NEXT) | instid1(SALU_CYCLE_1)
	s_and_b32 s17, vcc_lo, exec_lo
	s_or_b32 s13, s13, s17
	s_or_b32 exec_lo, exec_lo, s31
	s_and_saveexec_b32 s17, s13
	s_cbranch_execnz .LBB4_4423
	s_branch .LBB4_4424
.LBB4_4972:                             ;   in Loop: Header=BB4_3574 Depth=3
	s_mov_b32 s13, -1
	s_mov_b32 s34, exec_lo
                                        ; implicit-def: $sgpr17
	v_cmpx_eq_u16_e64 0x80, v182
; %bb.4973:                             ;   in Loop: Header=BB4_3574 Depth=3
	s_mov_b32 s17, 0x7f800001
	s_xor_b32 s13, exec_lo, -1
; %bb.4974:                             ;   in Loop: Header=BB4_3574 Depth=3
	s_or_b32 exec_lo, exec_lo, s34
	s_delay_alu instid0(SALU_CYCLE_1)
	s_and_b32 s13, s13, exec_lo
	s_or_saveexec_b32 s31, s31
	v_mov_b32_e32 v183, s17
	s_xor_b32 exec_lo, exec_lo, s31
	s_cbranch_execz .LBB4_4429
.LBB4_4975:                             ;   in Loop: Header=BB4_3574 Depth=3
	v_cmp_ne_u16_e64 vcc_lo, 0, v182
	v_mov_b32_e32 v183, 0
	s_and_not1_b32 s13, s13, exec_lo
	s_delay_alu instid0(VALU_DEP_2) | instskip(NEXT) | instid1(SALU_CYCLE_1)
	s_and_b32 s17, vcc_lo, exec_lo
	s_or_b32 s13, s13, s17
	s_or_b32 exec_lo, exec_lo, s31
	s_and_saveexec_b32 s17, s13
	s_cbranch_execnz .LBB4_4430
	s_branch .LBB4_4431
.LBB4_4976:                             ;   in Loop: Header=BB4_3574 Depth=3
	s_mov_b32 s13, -1
	s_mov_b32 s34, exec_lo
                                        ; implicit-def: $sgpr17
	v_cmpx_eq_u16_e64 0x80, v181
; %bb.4977:                             ;   in Loop: Header=BB4_3574 Depth=3
	s_mov_b32 s17, 0x7f800001
	s_xor_b32 s13, exec_lo, -1
; %bb.4978:                             ;   in Loop: Header=BB4_3574 Depth=3
	s_or_b32 exec_lo, exec_lo, s34
	s_delay_alu instid0(SALU_CYCLE_1)
	s_and_b32 s13, s13, exec_lo
	s_or_saveexec_b32 s31, s31
	v_mov_b32_e32 v182, s17
	s_xor_b32 exec_lo, exec_lo, s31
	s_cbranch_execz .LBB4_4433
.LBB4_4979:                             ;   in Loop: Header=BB4_3574 Depth=3
	v_cmp_ne_u16_e64 vcc_lo, 0, v181
	v_mov_b32_e32 v182, 0
	s_and_not1_b32 s13, s13, exec_lo
	s_delay_alu instid0(VALU_DEP_2) | instskip(NEXT) | instid1(SALU_CYCLE_1)
	s_and_b32 s17, vcc_lo, exec_lo
	s_or_b32 s13, s13, s17
	s_or_b32 exec_lo, exec_lo, s31
	s_and_saveexec_b32 s17, s13
	s_cbranch_execnz .LBB4_4434
	s_branch .LBB4_4435
.LBB4_4980:                             ;   in Loop: Header=BB4_3574 Depth=3
	s_mov_b32 s17, -1
	s_mov_b32 s34, exec_lo
                                        ; implicit-def: $sgpr31
	v_cmpx_eq_u16_e32 0x80, v40
; %bb.4981:                             ;   in Loop: Header=BB4_3574 Depth=3
	s_mov_b32 s31, 0x7f800001
	s_xor_b32 s17, exec_lo, -1
; %bb.4982:                             ;   in Loop: Header=BB4_3574 Depth=3
	s_or_b32 exec_lo, exec_lo, s34
	s_delay_alu instid0(SALU_CYCLE_1)
	s_and_b32 s17, s17, exec_lo
	s_or_saveexec_b32 s13, s13
	v_mov_b32_e32 v41, s31
	s_xor_b32 exec_lo, exec_lo, s13
	s_cbranch_execz .LBB4_4447
.LBB4_4983:                             ;   in Loop: Header=BB4_3574 Depth=3
	v_cmp_ne_u16_e32 vcc_lo, 0, v40
	v_mov_b32_e32 v41, 0
	s_and_not1_b32 s17, s17, exec_lo
	s_and_b32 vcc_lo, vcc_lo, exec_lo
	s_delay_alu instid0(SALU_CYCLE_1)
	s_or_b32 s17, s17, vcc_lo
	s_or_b32 exec_lo, exec_lo, s13
	s_and_saveexec_b32 s13, s17
	s_cbranch_execnz .LBB4_4448
	s_branch .LBB4_4449
.LBB4_4984:                             ;   in Loop: Header=BB4_3574 Depth=3
	s_mov_b32 s13, -1
	s_mov_b32 s34, exec_lo
                                        ; implicit-def: $sgpr17
	v_cmpx_eq_u16_e32 0x80, v43
; %bb.4985:                             ;   in Loop: Header=BB4_3574 Depth=3
	s_mov_b32 s17, 0x7f800001
	s_xor_b32 s13, exec_lo, -1
; %bb.4986:                             ;   in Loop: Header=BB4_3574 Depth=3
	s_or_b32 exec_lo, exec_lo, s34
	s_delay_alu instid0(SALU_CYCLE_1)
	s_and_b32 s13, s13, exec_lo
                                        ; implicit-def: $vgpr43
	s_or_saveexec_b32 s31, s31
	v_mov_b32_e32 v42, s17
	s_xor_b32 exec_lo, exec_lo, s31
	s_cbranch_execz .LBB4_4451
.LBB4_4987:                             ;   in Loop: Header=BB4_3574 Depth=3
	v_cmp_ne_u16_e32 vcc_lo, 0, v43
	v_mov_b32_e32 v42, 0
	s_and_not1_b32 s13, s13, exec_lo
	s_and_b32 s17, vcc_lo, exec_lo
	s_delay_alu instid0(SALU_CYCLE_1)
	s_or_b32 s13, s13, s17
	s_or_b32 exec_lo, exec_lo, s31
	s_and_saveexec_b32 s17, s13
	s_cbranch_execnz .LBB4_4452
	s_branch .LBB4_4453
.LBB4_4988:                             ;   in Loop: Header=BB4_3574 Depth=3
	s_mov_b32 s13, -1
	s_mov_b32 s34, exec_lo
                                        ; implicit-def: $sgpr17
	v_cmpx_eq_u16_e32 0x80, v40
; %bb.4989:                             ;   in Loop: Header=BB4_3574 Depth=3
	s_mov_b32 s17, 0x7f800001
	s_xor_b32 s13, exec_lo, -1
; %bb.4990:                             ;   in Loop: Header=BB4_3574 Depth=3
	s_or_b32 exec_lo, exec_lo, s34
	s_delay_alu instid0(SALU_CYCLE_1)
	s_and_b32 s13, s13, exec_lo
                                        ; implicit-def: $vgpr40
	s_or_saveexec_b32 s31, s31
	v_mov_b32_e32 v41, s17
	s_xor_b32 exec_lo, exec_lo, s31
	s_cbranch_execz .LBB4_4458
.LBB4_4991:                             ;   in Loop: Header=BB4_3574 Depth=3
	v_cmp_ne_u16_e32 vcc_lo, 0, v40
	v_mov_b32_e32 v41, 0
	s_and_not1_b32 s13, s13, exec_lo
	s_and_b32 s17, vcc_lo, exec_lo
	s_delay_alu instid0(SALU_CYCLE_1)
	s_or_b32 s13, s13, s17
	s_or_b32 exec_lo, exec_lo, s31
	s_and_saveexec_b32 s17, s13
	s_cbranch_execnz .LBB4_4459
	s_branch .LBB4_4460
.LBB4_4992:                             ;   in Loop: Header=BB4_3574 Depth=3
	s_mov_b32 s13, -1
	s_mov_b32 s34, exec_lo
                                        ; implicit-def: $sgpr17
	v_cmpx_eq_u16_e32 0x80, v40
; %bb.4993:                             ;   in Loop: Header=BB4_3574 Depth=3
	s_mov_b32 s17, 0x7f800001
	s_xor_b32 s13, exec_lo, -1
; %bb.4994:                             ;   in Loop: Header=BB4_3574 Depth=3
	s_or_b32 exec_lo, exec_lo, s34
	s_delay_alu instid0(SALU_CYCLE_1)
	s_and_b32 s13, s13, exec_lo
                                        ; implicit-def: $vgpr40
	s_or_saveexec_b32 s31, s31
	v_mov_b32_e32 v183, s17
	s_xor_b32 exec_lo, exec_lo, s31
	s_cbranch_execz .LBB4_4462
.LBB4_4995:                             ;   in Loop: Header=BB4_3574 Depth=3
	v_cmp_ne_u16_e32 vcc_lo, 0, v40
	v_mov_b32_e32 v183, 0
	s_and_not1_b32 s13, s13, exec_lo
	s_and_b32 s17, vcc_lo, exec_lo
	s_delay_alu instid0(SALU_CYCLE_1)
	s_or_b32 s13, s13, s17
	s_or_b32 exec_lo, exec_lo, s31
	s_and_saveexec_b32 s17, s13
	s_cbranch_execnz .LBB4_4463
	s_branch .LBB4_4464
.LBB4_4996:                             ;   in Loop: Header=BB4_3574 Depth=3
	s_mov_b32 s17, -1
	s_mov_b32 s34, exec_lo
                                        ; implicit-def: $sgpr31
	v_cmpx_eq_u16_e32 0x80, v40
; %bb.4997:                             ;   in Loop: Header=BB4_3574 Depth=3
	s_mov_b32 s31, 0x7f800001
	s_xor_b32 s17, exec_lo, -1
; %bb.4998:                             ;   in Loop: Header=BB4_3574 Depth=3
	s_or_b32 exec_lo, exec_lo, s34
	s_delay_alu instid0(SALU_CYCLE_1)
	s_and_b32 s17, s17, exec_lo
	s_or_saveexec_b32 s13, s13
	v_mov_b32_e32 v41, s31
	s_xor_b32 exec_lo, exec_lo, s13
	s_cbranch_execz .LBB4_4476
.LBB4_4999:                             ;   in Loop: Header=BB4_3574 Depth=3
	v_cmp_ne_u16_e32 vcc_lo, 0, v40
	v_mov_b32_e32 v41, 0
	s_and_not1_b32 s17, s17, exec_lo
	s_and_b32 vcc_lo, vcc_lo, exec_lo
	s_delay_alu instid0(SALU_CYCLE_1)
	s_or_b32 s17, s17, vcc_lo
	s_or_b32 exec_lo, exec_lo, s13
	s_and_saveexec_b32 s13, s17
	s_cbranch_execnz .LBB4_4477
	s_branch .LBB4_4478
.LBB4_5000:                             ;   in Loop: Header=BB4_3574 Depth=3
	s_mov_b32 s13, -1
	s_mov_b32 s34, exec_lo
                                        ; implicit-def: $sgpr17
	v_cmpx_eq_u16_e64 0x80, v183
; %bb.5001:                             ;   in Loop: Header=BB4_3574 Depth=3
	s_mov_b32 s17, 0x7f800001
	s_xor_b32 s13, exec_lo, -1
; %bb.5002:                             ;   in Loop: Header=BB4_3574 Depth=3
	s_or_b32 exec_lo, exec_lo, s34
	s_delay_alu instid0(SALU_CYCLE_1)
	s_and_b32 s13, s13, exec_lo
	s_or_saveexec_b32 s31, s31
	v_mov_b32_e32 v42, s17
	s_xor_b32 exec_lo, exec_lo, s31
	s_cbranch_execz .LBB4_4480
.LBB4_5003:                             ;   in Loop: Header=BB4_3574 Depth=3
	v_cmp_ne_u16_e64 vcc_lo, 0, v183
	v_mov_b32_e32 v42, 0
	s_and_not1_b32 s13, s13, exec_lo
	s_delay_alu instid0(VALU_DEP_2) | instskip(NEXT) | instid1(SALU_CYCLE_1)
	s_and_b32 s17, vcc_lo, exec_lo
	s_or_b32 s13, s13, s17
	s_or_b32 exec_lo, exec_lo, s31
	s_and_saveexec_b32 s17, s13
	s_cbranch_execnz .LBB4_4481
	s_branch .LBB4_4482
.LBB4_5004:                             ;   in Loop: Header=BB4_3574 Depth=3
	s_mov_b32 s13, -1
	s_mov_b32 s34, exec_lo
                                        ; implicit-def: $sgpr17
	v_cmpx_eq_u16_e32 0x80, v40
; %bb.5005:                             ;   in Loop: Header=BB4_3574 Depth=3
	s_mov_b32 s17, 0x7f800001
	s_xor_b32 s13, exec_lo, -1
; %bb.5006:                             ;   in Loop: Header=BB4_3574 Depth=3
	s_or_b32 exec_lo, exec_lo, s34
	s_delay_alu instid0(SALU_CYCLE_1)
	s_and_b32 s13, s13, exec_lo
	s_or_saveexec_b32 s31, s31
	v_mov_b32_e32 v41, s17
	s_xor_b32 exec_lo, exec_lo, s31
	s_cbranch_execz .LBB4_4487
.LBB4_5007:                             ;   in Loop: Header=BB4_3574 Depth=3
	v_cmp_ne_u16_e32 vcc_lo, 0, v40
	v_mov_b32_e32 v41, 0
	s_and_not1_b32 s13, s13, exec_lo
	s_and_b32 s17, vcc_lo, exec_lo
	s_delay_alu instid0(SALU_CYCLE_1)
	s_or_b32 s13, s13, s17
	s_or_b32 exec_lo, exec_lo, s31
	s_and_saveexec_b32 s17, s13
	s_cbranch_execnz .LBB4_4488
	s_branch .LBB4_4489
.LBB4_5008:                             ;   in Loop: Header=BB4_3574 Depth=3
	s_mov_b32 s13, -1
	s_mov_b32 s34, exec_lo
                                        ; implicit-def: $sgpr17
	v_cmpx_eq_u16_e64 0x80, v183
; %bb.5009:                             ;   in Loop: Header=BB4_3574 Depth=3
	s_mov_b32 s17, 0x7f800001
	s_xor_b32 s13, exec_lo, -1
; %bb.5010:                             ;   in Loop: Header=BB4_3574 Depth=3
	s_or_b32 exec_lo, exec_lo, s34
	s_delay_alu instid0(SALU_CYCLE_1)
	s_and_b32 s13, s13, exec_lo
	s_or_saveexec_b32 s31, s31
	v_mov_b32_e32 v15, s17
	s_xor_b32 exec_lo, exec_lo, s31
	s_cbranch_execz .LBB4_4491
.LBB4_5011:                             ;   in Loop: Header=BB4_3574 Depth=3
	v_cmp_ne_u16_e64 vcc_lo, 0, v183
	v_mov_b32_e32 v15, 0
	s_and_not1_b32 s13, s13, exec_lo
	s_delay_alu instid0(VALU_DEP_2) | instskip(NEXT) | instid1(SALU_CYCLE_1)
	s_and_b32 s17, vcc_lo, exec_lo
	s_or_b32 s13, s13, s17
	s_or_b32 exec_lo, exec_lo, s31
	s_and_saveexec_b32 s17, s13
	s_cbranch_execnz .LBB4_4492
	s_branch .LBB4_4493
.LBB4_5012:                             ;   in Loop: Header=BB4_3484 Depth=2
	s_mov_b32 s13, -1
	s_branch .LBB4_6526
.LBB4_5013:                             ;   in Loop: Header=BB4_3484 Depth=2
	s_or_b32 exec_lo, exec_lo, s15
.LBB4_5014:                             ;   in Loop: Header=BB4_3484 Depth=2
	s_delay_alu instid0(SALU_CYCLE_1) | instskip(SKIP_3) | instid1(VALU_DEP_1)
	s_or_b32 exec_lo, exec_lo, s14
	v_dual_mov_b32 v16, 0 :: v_dual_lshlrev_b32 v69, 10, v149
	s_mov_b32 s13, 0
	s_mov_b32 s16, exec_lo
                                        ; implicit-def: $vgpr17
                                        ; implicit-def: $vgpr18
                                        ; implicit-def: $vgpr8
	v_cmpx_ne_u32_e64 v148, v69
	s_cbranch_execz .LBB4_5745
; %bb.5015:                             ;   in Loop: Header=BB4_3484 Depth=2
	v_lshlrev_b32_e32 v2, 5, v2
	v_sub_nc_u32_e32 v9, v148, v69
	s_mov_b32 s17, exec_lo
	s_delay_alu instid0(VALU_DEP_2) | instskip(NEXT) | instid1(VALU_DEP_2)
	v_sub_nc_u32_e32 v2, v100, v2
	v_ashrrev_i32_e32 v10, 31, v9
	s_delay_alu instid0(VALU_DEP_2) | instskip(NEXT) | instid1(VALU_DEP_2)
	v_ashrrev_i32_e32 v8, 31, v2
	v_lshrrev_b32_e32 v10, 23, v10
	s_delay_alu instid0(VALU_DEP_2) | instskip(NEXT) | instid1(VALU_DEP_2)
	v_lshrrev_b32_e32 v8, 27, v8
	v_add_nc_u32_e32 v10, v9, v10
	s_delay_alu instid0(VALU_DEP_2) | instskip(NEXT) | instid1(VALU_DEP_1)
	v_add_nc_u32_e32 v8, v2, v8
	v_and_b32_e32 v11, 0xffffffe0, v8
	s_delay_alu instid0(VALU_DEP_1) | instskip(NEXT) | instid1(VALU_DEP_4)
	v_sub_nc_u32_e32 v70, v2, v11
	v_and_b32_e32 v2, 0xfffffe00, v10
	v_ashrrev_i32_e32 v11, 5, v8
	v_ashrrev_i32_e32 v10, 9, v10
	s_delay_alu instid0(VALU_DEP_4) | instskip(NEXT) | instid1(VALU_DEP_4)
	v_lshlrev_b32_e32 v8, 4, v70
	v_sub_nc_u32_e32 v80, v9, v2
	s_delay_alu instid0(VALU_DEP_2) | instskip(NEXT) | instid1(VALU_DEP_2)
	v_lshl_add_u32 v8, v11, 9, v8
	v_cmp_lt_i32_e64 s13, 15, v80
	s_delay_alu instid0(VALU_DEP_2) | instskip(NEXT) | instid1(VALU_DEP_2)
	v_sub_nc_u32_e32 v82, v9, v8
	v_add_co_ci_u32_e64 v10, vcc_lo, 0, v10, s13
	s_delay_alu instid0(VALU_DEP_1) | instskip(NEXT) | instid1(VALU_DEP_3)
	v_sub_nc_u32_e32 v81, v10, v11
	v_cmpx_lt_i32_e32 15, v82
	s_cbranch_execz .LBB4_5742
; %bb.5016:                             ;   in Loop: Header=BB4_3484 Depth=2
	s_cbranch_execz .LBB4_5017
; %bb.10960:
	s_getpc_b64 s[48:49]
.Lpost_getpc257:
	s_add_u32 s48, s48, (.LBB4_10592-.Lpost_getpc257)&4294967295
	s_addc_u32 s49, s49, (.LBB4_10592-.Lpost_getpc257)>>32
	s_setpc_b64 s[48:49]
.LBB4_5017:                             ;   in Loop: Header=BB4_3484 Depth=2
	ds_load_b128 v[9:12], v0
	v_add_nc_u32_e32 v8, v8, v69
	s_bitcmp1_b32 s30, 0
	s_mov_b32 s31, 0
	s_cselect_b32 s34, -1, 0
	s_delay_alu instid0(VALU_DEP_1) | instskip(SKIP_2) | instid1(VALU_DEP_2)
	v_ashrrev_i32_e32 v13, 31, v8
	s_waitcnt lgkmcnt(0)
	v_add_co_u32 v16, vcc_lo, v9, v8
	v_add_co_ci_u32_e32 v17, vcc_lo, v10, v13, vcc_lo
	s_delay_alu instid0(VALU_DEP_1) | instskip(SKIP_2) | instid1(VALU_DEP_1)
	v_mov_b32_e32 v21, v17
	v_add_co_u32 v18, vcc_lo, v11, v8
	v_add_co_ci_u32_e32 v19, vcc_lo, v12, v13, vcc_lo
	v_dual_mov_b32 v20, v16 :: v_dual_mov_b32 v23, v19
	s_delay_alu instid0(VALU_DEP_3)
	v_mov_b32_e32 v22, v18
.LBB4_5018:                             ;   Parent Loop BB4_51 Depth=1
                                        ;     Parent Loop BB4_3484 Depth=2
                                        ; =>    This Loop Header: Depth=3
                                        ;         Child Loop BB4_5483 Depth 4
	global_load_b128 v[12:15], v[20:21], off slc dlc
	global_load_b128 v[8:11], v[22:23], off slc dlc
	s_and_b32 vcc_lo, exec_lo, s34
	s_waitcnt vmcnt(1)
	v_and_b32_e32 v83, 0xff, v12
	s_delay_alu instid0(VALU_DEP_1)
	v_cmp_lt_i16_e64 s14, 0x7f, v83
	s_cbranch_vccz .LBB4_5028
; %bb.5019:                             ;   in Loop: Header=BB4_5018 Depth=3
	s_mov_b32 s15, 0
                                        ; implicit-def: $sgpr35
	s_delay_alu instid0(VALU_DEP_1) | instskip(NEXT) | instid1(SALU_CYCLE_1)
	s_and_saveexec_b32 vcc_lo, s14
	s_xor_b32 s14, exec_lo, vcc_lo
	s_cbranch_execnz .LBB4_5485
; %bb.5020:                             ;   in Loop: Header=BB4_5018 Depth=3
	s_or_saveexec_b32 s14, s14
	v_mov_b32_e32 v84, s35
	s_xor_b32 exec_lo, exec_lo, s14
	s_cbranch_execnz .LBB4_5488
.LBB4_5021:                             ;   in Loop: Header=BB4_5018 Depth=3
	s_or_b32 exec_lo, exec_lo, s14
	s_and_saveexec_b32 s14, s15
	s_cbranch_execz .LBB4_5023
.LBB4_5022:                             ;   in Loop: Header=BB4_5018 Depth=3
	v_bfe_u32 v150, v12, 3, 4
	s_delay_alu instid0(VALU_DEP_1) | instskip(SKIP_1) | instid1(VALU_DEP_1)
	v_cmp_eq_u32_e32 vcc_lo, 0, v150
	v_and_b32_e32 v84, 7, v12
	v_clz_i32_u32_e32 v85, v84
	s_delay_alu instid0(VALU_DEP_1) | instskip(NEXT) | instid1(VALU_DEP_1)
	v_min_u32_e32 v85, 32, v85
	v_subrev_nc_u32_e32 v149, 28, v85
	v_sub_nc_u32_e32 v85, 29, v85
	s_delay_alu instid0(VALU_DEP_2) | instskip(NEXT) | instid1(VALU_DEP_2)
	v_lshlrev_b32_e32 v149, v149, v12
	v_cndmask_b32_e32 v85, v150, v85, vcc_lo
	s_delay_alu instid0(VALU_DEP_2) | instskip(SKIP_1) | instid1(VALU_DEP_3)
	v_and_b32_e32 v149, 7, v149
	v_lshlrev_b32_e32 v151, 24, v12
	v_lshl_add_u32 v85, v85, 23, 0x3b800000
	s_delay_alu instid0(VALU_DEP_2) | instskip(NEXT) | instid1(VALU_DEP_1)
	v_dual_cndmask_b32 v84, v84, v149 :: v_dual_and_b32 v149, 0x80000000, v151
	v_lshlrev_b32_e32 v84, 20, v84
	s_delay_alu instid0(VALU_DEP_1)
	v_or3_b32 v84, v149, v85, v84
.LBB4_5023:                             ;   in Loop: Header=BB4_5018 Depth=3
	s_or_b32 exec_lo, exec_lo, s14
	s_waitcnt vmcnt(0)
	v_and_b32_e32 v149, 0xff, v8
	s_mov_b32 s14, 0
	s_mov_b32 s35, exec_lo
                                        ; implicit-def: $sgpr15
	s_delay_alu instid0(VALU_DEP_1)
	v_cmpx_lt_i16_e64 0x7f, v149
	s_xor_b32 s35, exec_lo, s35
	s_cbranch_execnz .LBB4_5489
; %bb.5024:                             ;   in Loop: Header=BB4_5018 Depth=3
	s_or_saveexec_b32 s35, s35
	v_mov_b32_e32 v85, s15
	s_xor_b32 exec_lo, exec_lo, s35
	s_cbranch_execnz .LBB4_5492
.LBB4_5025:                             ;   in Loop: Header=BB4_5018 Depth=3
	s_or_b32 exec_lo, exec_lo, s35
	s_and_saveexec_b32 s15, s14
	s_cbranch_execz .LBB4_5027
.LBB4_5026:                             ;   in Loop: Header=BB4_5018 Depth=3
	v_and_b32_e32 v85, 7, v8
	v_bfe_u32 v151, v8, 3, 4
	s_delay_alu instid0(VALU_DEP_2) | instskip(NEXT) | instid1(VALU_DEP_2)
	v_clz_i32_u32_e32 v149, v85
	v_cmp_eq_u32_e32 vcc_lo, 0, v151
	s_delay_alu instid0(VALU_DEP_2) | instskip(NEXT) | instid1(VALU_DEP_1)
	v_min_u32_e32 v149, 32, v149
	v_subrev_nc_u32_e32 v150, 28, v149
	v_sub_nc_u32_e32 v149, 29, v149
	s_delay_alu instid0(VALU_DEP_1) | instskip(NEXT) | instid1(VALU_DEP_1)
	v_dual_cndmask_b32 v149, v151, v149 :: v_dual_lshlrev_b32 v150, v150, v8
	v_and_b32_e32 v150, 7, v150
	v_lshlrev_b32_e32 v160, 24, v8
	s_delay_alu instid0(VALU_DEP_3) | instskip(NEXT) | instid1(VALU_DEP_2)
	v_lshl_add_u32 v149, v149, 23, 0x3b800000
	v_dual_cndmask_b32 v85, v85, v150 :: v_dual_and_b32 v150, 0x80000000, v160
	s_delay_alu instid0(VALU_DEP_1) | instskip(NEXT) | instid1(VALU_DEP_1)
	v_lshlrev_b32_e32 v85, 20, v85
	v_or3_b32 v85, v150, v149, v85
.LBB4_5027:                             ;   in Loop: Header=BB4_5018 Depth=3
	s_or_b32 exec_lo, exec_lo, s15
	s_delay_alu instid0(VALU_DEP_1) | instskip(SKIP_1) | instid1(VALU_DEP_1)
	v_dual_max_f32 v85, v85, v85 :: v_dual_max_f32 v84, v84, v84
	s_mov_b32 s14, 0
	v_max_f32_e32 v84, v84, v85
	s_branch .LBB4_5029
.LBB4_5028:                             ;   in Loop: Header=BB4_5018 Depth=3
	s_mov_b32 s14, -1
                                        ; implicit-def: $vgpr84
.LBB4_5029:                             ;   in Loop: Header=BB4_5018 Depth=3
	s_delay_alu instid0(SALU_CYCLE_1)
	s_and_b32 vcc_lo, exec_lo, s14
	s_cbranch_vccz .LBB4_5039
; %bb.5030:                             ;   in Loop: Header=BB4_5018 Depth=3
	s_mov_b32 s14, 0
	s_mov_b32 s35, exec_lo
                                        ; implicit-def: $sgpr15
	v_cmpx_lt_i16_e32 0x7f, v83
	s_xor_b32 s35, exec_lo, s35
	s_cbranch_execnz .LBB4_5493
; %bb.5031:                             ;   in Loop: Header=BB4_5018 Depth=3
	s_or_saveexec_b32 s35, s35
	v_mov_b32_e32 v84, s15
	s_xor_b32 exec_lo, exec_lo, s35
	s_cbranch_execnz .LBB4_5496
.LBB4_5032:                             ;   in Loop: Header=BB4_5018 Depth=3
	s_or_b32 exec_lo, exec_lo, s35
	s_and_saveexec_b32 s15, s14
	s_cbranch_execz .LBB4_5034
.LBB4_5033:                             ;   in Loop: Header=BB4_5018 Depth=3
	v_and_b32_e32 v83, 7, v12
	v_bfe_u32 v149, v12, 3, 4
	s_delay_alu instid0(VALU_DEP_2) | instskip(NEXT) | instid1(VALU_DEP_2)
	v_clz_i32_u32_e32 v84, v83
	v_cmp_eq_u32_e32 vcc_lo, 0, v149
	s_delay_alu instid0(VALU_DEP_2) | instskip(NEXT) | instid1(VALU_DEP_1)
	v_min_u32_e32 v84, 32, v84
	v_subrev_nc_u32_e32 v85, 28, v84
	v_sub_nc_u32_e32 v84, 29, v84
	s_delay_alu instid0(VALU_DEP_2) | instskip(NEXT) | instid1(VALU_DEP_1)
	v_lshlrev_b32_e32 v85, v85, v12
	v_dual_cndmask_b32 v84, v149, v84 :: v_dual_and_b32 v85, 7, v85
	v_lshlrev_b32_e32 v150, 24, v12
	s_delay_alu instid0(VALU_DEP_2) | instskip(NEXT) | instid1(VALU_DEP_3)
	v_lshl_add_u32 v84, v84, 23, 0x3b800000
	v_cndmask_b32_e32 v83, v83, v85, vcc_lo
	s_delay_alu instid0(VALU_DEP_3) | instskip(NEXT) | instid1(VALU_DEP_2)
	v_and_b32_e32 v85, 0x80000000, v150
	v_lshlrev_b32_e32 v83, 20, v83
	s_delay_alu instid0(VALU_DEP_1)
	v_or3_b32 v84, v85, v84, v83
.LBB4_5034:                             ;   in Loop: Header=BB4_5018 Depth=3
	s_or_b32 exec_lo, exec_lo, s15
	s_waitcnt vmcnt(0)
	v_and_b32_e32 v85, 0xff, v8
	s_mov_b32 s14, 0
	s_mov_b32 s35, exec_lo
                                        ; implicit-def: $sgpr15
	s_delay_alu instid0(VALU_DEP_1)
	v_cmpx_lt_i16_e32 0x7f, v85
	s_xor_b32 s35, exec_lo, s35
	s_cbranch_execnz .LBB4_5497
; %bb.5035:                             ;   in Loop: Header=BB4_5018 Depth=3
	s_or_saveexec_b32 s35, s35
	v_mov_b32_e32 v83, s15
	s_xor_b32 exec_lo, exec_lo, s35
	s_cbranch_execnz .LBB4_5500
.LBB4_5036:                             ;   in Loop: Header=BB4_5018 Depth=3
	s_or_b32 exec_lo, exec_lo, s35
	s_and_saveexec_b32 s15, s14
	s_cbranch_execz .LBB4_5038
.LBB4_5037:                             ;   in Loop: Header=BB4_5018 Depth=3
	v_and_b32_e32 v83, 7, v8
	v_bfe_u32 v150, v8, 3, 4
	v_lshlrev_b32_e32 v151, 24, v8
	s_delay_alu instid0(VALU_DEP_3) | instskip(NEXT) | instid1(VALU_DEP_3)
	v_clz_i32_u32_e32 v85, v83
	v_cmp_eq_u32_e32 vcc_lo, 0, v150
	s_delay_alu instid0(VALU_DEP_2) | instskip(NEXT) | instid1(VALU_DEP_1)
	v_min_u32_e32 v85, 32, v85
	v_subrev_nc_u32_e32 v149, 28, v85
	v_sub_nc_u32_e32 v85, 29, v85
	s_delay_alu instid0(VALU_DEP_2) | instskip(NEXT) | instid1(VALU_DEP_2)
	v_lshlrev_b32_e32 v149, v149, v8
	v_cndmask_b32_e32 v85, v150, v85, vcc_lo
	s_delay_alu instid0(VALU_DEP_2) | instskip(NEXT) | instid1(VALU_DEP_2)
	v_and_b32_e32 v149, 7, v149
	v_lshl_add_u32 v85, v85, 23, 0x3b800000
	s_delay_alu instid0(VALU_DEP_2) | instskip(SKIP_1) | instid1(VALU_DEP_2)
	v_cndmask_b32_e32 v83, v83, v149, vcc_lo
	v_and_b32_e32 v149, 0x80000000, v151
	v_lshlrev_b32_e32 v83, 20, v83
	s_delay_alu instid0(VALU_DEP_1)
	v_or3_b32 v83, v149, v85, v83
.LBB4_5038:                             ;   in Loop: Header=BB4_5018 Depth=3
	s_or_b32 exec_lo, exec_lo, s15
	s_delay_alu instid0(VALU_DEP_1) | instskip(NEXT) | instid1(VALU_DEP_1)
	v_dual_max_f32 v83, v83, v83 :: v_dual_max_f32 v84, v84, v84
	v_min_f32_e32 v84, v84, v83
.LBB4_5039:                             ;   in Loop: Header=BB4_5018 Depth=3
	s_delay_alu instid0(VALU_DEP_1) | instskip(NEXT) | instid1(VALU_DEP_1)
	v_and_b32_e32 v83, 0x7f800000, v84
	v_cmp_ne_u32_e32 vcc_lo, 0x7f800000, v83
	v_mov_b32_e32 v83, 0x80
	s_and_saveexec_b32 s15, vcc_lo
	s_cbranch_execz .LBB4_5047
; %bb.5040:                             ;   in Loop: Header=BB4_5018 Depth=3
	v_mov_b32_e32 v83, 0
	s_mov_b32 s35, exec_lo
	v_cmpx_ne_u32_e32 0, v84
	s_cbranch_execz .LBB4_5046
; %bb.5041:                             ;   in Loop: Header=BB4_5018 Depth=3
	v_bfe_u32 v83, v84, 23, 8
	v_and_b32_e32 v85, 0x7fffff, v84
	s_delay_alu instid0(VALU_DEP_2) | instskip(SKIP_1) | instid1(VALU_DEP_3)
	v_sub_nc_u32_e32 v149, 0x78, v83
	v_cmp_gt_u32_e32 vcc_lo, 0x79, v83
	v_or_b32_e32 v150, 0x800000, v85
	s_delay_alu instid0(VALU_DEP_3) | instskip(SKIP_2) | instid1(VALU_DEP_3)
	v_cndmask_b32_e32 v149, 0, v149, vcc_lo
	v_cmp_eq_u32_e32 vcc_lo, 0, v83
	v_add_nc_u32_e32 v83, 0xffffff89, v83
	v_cndmask_b32_e64 v149, v149, 0x77, vcc_lo
	v_cndmask_b32_e32 v85, v150, v85, vcc_lo
	s_delay_alu instid0(VALU_DEP_3) | instskip(NEXT) | instid1(VALU_DEP_3)
	v_cndmask_b32_e64 v83, v83, 0xffffff8a, vcc_lo
	v_lshl_add_u32 v150, 0x100000, v149, -1
	s_delay_alu instid0(VALU_DEP_3) | instskip(SKIP_1) | instid1(VALU_DEP_4)
	v_lshrrev_b32_e32 v151, v149, v85
	v_lshlrev_b32_e64 v161, v149, 0x80000
	v_add_nc_u32_e32 v149, v149, v83
	s_delay_alu instid0(VALU_DEP_4) | instskip(NEXT) | instid1(VALU_DEP_4)
	v_and_b32_e32 v85, v150, v85
	v_bfe_u32 v160, v151, 20, 1
	s_delay_alu instid0(VALU_DEP_2) | instskip(NEXT) | instid1(VALU_DEP_2)
	v_cmp_eq_u32_e64 s14, v85, v161
	v_add_nc_u32_e32 v150, -1, v160
	s_delay_alu instid0(VALU_DEP_1) | instskip(SKIP_2) | instid1(VALU_DEP_2)
	v_cndmask_b32_e64 v85, 0, v150, s14
	v_lshrrev_b32_e32 v150, 23, v151
	s_mov_b32 s14, exec_lo
	v_add_nc_u32_e32 v85, v85, v151
	s_delay_alu instid0(VALU_DEP_2) | instskip(NEXT) | instid1(VALU_DEP_2)
	v_xor_b32_e32 v150, 1, v150
	v_and_b32_e32 v83, 0xfffff, v85
	s_delay_alu instid0(VALU_DEP_1) | instskip(NEXT) | instid1(VALU_DEP_3)
	v_add_nc_u32_e32 v85, v83, v151
                                        ; implicit-def: $vgpr83
	v_cmpx_ne_u32_e64 v149, v150
	s_xor_b32 s14, exec_lo, s14
; %bb.5042:                             ;   in Loop: Header=BB4_5018 Depth=3
	s_delay_alu instid0(VALU_DEP_2) | instskip(SKIP_2) | instid1(VALU_DEP_2)
	v_cmp_lt_u32_e32 vcc_lo, 0xffffff, v85
	v_sub_nc_u32_e32 v83, v149, v150
	v_cndmask_b32_e64 v149, 0, 1, vcc_lo
	v_add_co_ci_u32_e32 v83, vcc_lo, 0, v83, vcc_lo
	s_delay_alu instid0(VALU_DEP_2)
	v_lshrrev_b32_e32 v85, v149, v85
; %bb.5043:                             ;   in Loop: Header=BB4_5018 Depth=3
	s_and_not1_saveexec_b32 s14, s14
; %bb.5044:                             ;   in Loop: Header=BB4_5018 Depth=3
	s_delay_alu instid0(VALU_DEP_1)
	v_bfe_u32 v83, v85, 23, 1
; %bb.5045:                             ;   in Loop: Header=BB4_5018 Depth=3
	s_or_b32 exec_lo, exec_lo, s14
	v_lshrrev_b32_e32 v85, 20, v85
	s_delay_alu instid0(VALU_DEP_2) | instskip(SKIP_2) | instid1(VALU_DEP_2)
	v_cmp_gt_i32_e32 vcc_lo, 16, v83
	v_lshrrev_b32_e32 v84, 24, v84
	v_min_i32_e32 v149, 15, v83
	v_dual_cndmask_b32 v85, 7, v85 :: v_dual_and_b32 v84, 0x80, v84
	s_delay_alu instid0(VALU_DEP_2) | instskip(NEXT) | instid1(VALU_DEP_2)
	v_lshlrev_b32_e32 v149, 3, v149
	v_or_b32_e32 v83, v83, v85
	s_delay_alu instid0(VALU_DEP_1) | instskip(SKIP_1) | instid1(VALU_DEP_1)
	v_cmp_ne_u32_e32 vcc_lo, 0, v83
	v_and_b32_e32 v150, 7, v85
	v_or3_b32 v84, v149, v84, v150
	s_delay_alu instid0(VALU_DEP_1)
	v_cndmask_b32_e32 v83, 0, v84, vcc_lo
.LBB4_5046:                             ;   in Loop: Header=BB4_5018 Depth=3
	s_or_b32 exec_lo, exec_lo, s35
.LBB4_5047:                             ;   in Loop: Header=BB4_5018 Depth=3
	s_delay_alu instid0(SALU_CYCLE_1) | instskip(SKIP_4) | instid1(VALU_DEP_2)
	s_or_b32 exec_lo, exec_lo, s15
	v_lshrrev_b16 v85, 8, v12
	s_waitcnt vmcnt(0)
	v_lshrrev_b16 v84, 8, v8
	s_and_b32 vcc_lo, exec_lo, s34
	v_cmp_lt_i16_e64 s14, 0x7f, v85
	s_cbranch_vccz .LBB4_5057
; %bb.5048:                             ;   in Loop: Header=BB4_5018 Depth=3
	s_mov_b32 s15, 0
                                        ; implicit-def: $sgpr35
	s_delay_alu instid0(VALU_DEP_1) | instskip(NEXT) | instid1(SALU_CYCLE_1)
	s_and_saveexec_b32 vcc_lo, s14
	s_xor_b32 s14, exec_lo, vcc_lo
	s_cbranch_execnz .LBB4_5501
; %bb.5049:                             ;   in Loop: Header=BB4_5018 Depth=3
	s_or_saveexec_b32 s14, s14
	v_mov_b32_e32 v149, s35
	s_xor_b32 exec_lo, exec_lo, s14
	s_cbranch_execnz .LBB4_5504
.LBB4_5050:                             ;   in Loop: Header=BB4_5018 Depth=3
	s_or_b32 exec_lo, exec_lo, s14
	s_and_saveexec_b32 s14, s15
	s_cbranch_execz .LBB4_5052
.LBB4_5051:                             ;   in Loop: Header=BB4_5018 Depth=3
	v_and_b32_e32 v149, 0xffff, v85
	v_lshlrev_b32_e32 v161, 16, v12
	s_delay_alu instid0(VALU_DEP_2) | instskip(NEXT) | instid1(VALU_DEP_1)
	v_and_b32_e32 v150, 7, v149
	v_clz_i32_u32_e32 v151, v150
	s_delay_alu instid0(VALU_DEP_1) | instskip(NEXT) | instid1(VALU_DEP_1)
	v_min_u32_e32 v151, 32, v151
	v_subrev_nc_u32_e32 v160, 28, v151
	v_sub_nc_u32_e32 v151, 29, v151
	s_delay_alu instid0(VALU_DEP_2) | instskip(SKIP_1) | instid1(VALU_DEP_2)
	v_lshlrev_b32_e32 v160, v160, v149
	v_bfe_u32 v149, v149, 3, 4
	v_and_b32_e32 v160, 7, v160
	s_delay_alu instid0(VALU_DEP_2) | instskip(NEXT) | instid1(VALU_DEP_2)
	v_cmp_eq_u32_e32 vcc_lo, 0, v149
	v_dual_cndmask_b32 v149, v149, v151 :: v_dual_cndmask_b32 v150, v150, v160
	v_and_b32_e32 v151, 0x80000000, v161
	s_delay_alu instid0(VALU_DEP_2) | instskip(NEXT) | instid1(VALU_DEP_3)
	v_lshl_add_u32 v149, v149, 23, 0x3b800000
	v_lshlrev_b32_e32 v150, 20, v150
	s_delay_alu instid0(VALU_DEP_1)
	v_or3_b32 v149, v151, v149, v150
.LBB4_5052:                             ;   in Loop: Header=BB4_5018 Depth=3
	s_or_b32 exec_lo, exec_lo, s14
	s_mov_b32 s14, 0
	s_mov_b32 s35, exec_lo
                                        ; implicit-def: $sgpr15
	v_cmpx_lt_i16_e32 0x7f, v84
	s_xor_b32 s35, exec_lo, s35
	s_cbranch_execnz .LBB4_5505
; %bb.5053:                             ;   in Loop: Header=BB4_5018 Depth=3
	s_or_saveexec_b32 s35, s35
	v_mov_b32_e32 v150, s15
	s_xor_b32 exec_lo, exec_lo, s35
	s_cbranch_execnz .LBB4_5508
.LBB4_5054:                             ;   in Loop: Header=BB4_5018 Depth=3
	s_or_b32 exec_lo, exec_lo, s35
	s_and_saveexec_b32 s15, s14
	s_cbranch_execz .LBB4_5056
.LBB4_5055:                             ;   in Loop: Header=BB4_5018 Depth=3
	v_and_b32_e32 v150, 0xffff, v84
	v_lshlrev_b32_e32 v162, 16, v8
	s_delay_alu instid0(VALU_DEP_2) | instskip(NEXT) | instid1(VALU_DEP_1)
	v_and_b32_e32 v151, 7, v150
	v_clz_i32_u32_e32 v160, v151
	s_delay_alu instid0(VALU_DEP_1) | instskip(NEXT) | instid1(VALU_DEP_1)
	v_min_u32_e32 v160, 32, v160
	v_subrev_nc_u32_e32 v161, 28, v160
	v_sub_nc_u32_e32 v160, 29, v160
	s_delay_alu instid0(VALU_DEP_2) | instskip(SKIP_1) | instid1(VALU_DEP_2)
	v_lshlrev_b32_e32 v161, v161, v150
	v_bfe_u32 v150, v150, 3, 4
	v_and_b32_e32 v161, 7, v161
	s_delay_alu instid0(VALU_DEP_2) | instskip(NEXT) | instid1(VALU_DEP_2)
	v_cmp_eq_u32_e32 vcc_lo, 0, v150
	v_dual_cndmask_b32 v150, v150, v160 :: v_dual_cndmask_b32 v151, v151, v161
	v_and_b32_e32 v160, 0x80000000, v162
	s_delay_alu instid0(VALU_DEP_2) | instskip(NEXT) | instid1(VALU_DEP_3)
	v_lshl_add_u32 v150, v150, 23, 0x3b800000
	v_lshlrev_b32_e32 v151, 20, v151
	s_delay_alu instid0(VALU_DEP_1)
	v_or3_b32 v150, v160, v150, v151
.LBB4_5056:                             ;   in Loop: Header=BB4_5018 Depth=3
	s_or_b32 exec_lo, exec_lo, s15
	s_delay_alu instid0(VALU_DEP_1) | instskip(SKIP_1) | instid1(VALU_DEP_1)
	v_dual_max_f32 v150, v150, v150 :: v_dual_max_f32 v149, v149, v149
	s_mov_b32 s14, 0
	v_max_f32_e32 v149, v149, v150
	s_branch .LBB4_5058
.LBB4_5057:                             ;   in Loop: Header=BB4_5018 Depth=3
	s_mov_b32 s14, -1
                                        ; implicit-def: $vgpr149
.LBB4_5058:                             ;   in Loop: Header=BB4_5018 Depth=3
	s_delay_alu instid0(SALU_CYCLE_1)
	s_and_b32 vcc_lo, exec_lo, s14
	s_cbranch_vccz .LBB4_5068
; %bb.5059:                             ;   in Loop: Header=BB4_5018 Depth=3
	s_mov_b32 s14, 0
	s_mov_b32 s35, exec_lo
                                        ; implicit-def: $sgpr15
	v_cmpx_lt_i16_e32 0x7f, v85
	s_xor_b32 s35, exec_lo, s35
	s_cbranch_execnz .LBB4_5509
; %bb.5060:                             ;   in Loop: Header=BB4_5018 Depth=3
	s_or_saveexec_b32 s35, s35
	v_mov_b32_e32 v149, s15
	s_xor_b32 exec_lo, exec_lo, s35
	s_cbranch_execnz .LBB4_5512
.LBB4_5061:                             ;   in Loop: Header=BB4_5018 Depth=3
	s_or_b32 exec_lo, exec_lo, s35
	s_and_saveexec_b32 s15, s14
	s_cbranch_execz .LBB4_5063
.LBB4_5062:                             ;   in Loop: Header=BB4_5018 Depth=3
	v_and_b32_e32 v85, 0xffff, v85
	s_delay_alu instid0(VALU_DEP_1) | instskip(NEXT) | instid1(VALU_DEP_1)
	v_and_b32_e32 v149, 7, v85
	v_clz_i32_u32_e32 v150, v149
	s_delay_alu instid0(VALU_DEP_1) | instskip(NEXT) | instid1(VALU_DEP_1)
	v_min_u32_e32 v150, 32, v150
	v_subrev_nc_u32_e32 v151, 28, v150
	v_sub_nc_u32_e32 v150, 29, v150
	s_delay_alu instid0(VALU_DEP_2) | instskip(SKIP_1) | instid1(VALU_DEP_2)
	v_lshlrev_b32_e32 v151, v151, v85
	v_bfe_u32 v85, v85, 3, 4
	v_and_b32_e32 v151, 7, v151
	s_delay_alu instid0(VALU_DEP_2) | instskip(SKIP_1) | instid1(VALU_DEP_1)
	v_cmp_eq_u32_e32 vcc_lo, 0, v85
	v_dual_cndmask_b32 v85, v85, v150 :: v_dual_lshlrev_b32 v160, 16, v12
	v_dual_cndmask_b32 v149, v149, v151 :: v_dual_and_b32 v150, 0x80000000, v160
	s_delay_alu instid0(VALU_DEP_2) | instskip(NEXT) | instid1(VALU_DEP_2)
	v_lshl_add_u32 v85, v85, 23, 0x3b800000
	v_lshlrev_b32_e32 v149, 20, v149
	s_delay_alu instid0(VALU_DEP_1)
	v_or3_b32 v149, v150, v85, v149
.LBB4_5063:                             ;   in Loop: Header=BB4_5018 Depth=3
	s_or_b32 exec_lo, exec_lo, s15
	s_mov_b32 s14, 0
	s_mov_b32 s35, exec_lo
                                        ; implicit-def: $sgpr15
	v_cmpx_lt_i16_e32 0x7f, v84
	s_xor_b32 s35, exec_lo, s35
	s_cbranch_execnz .LBB4_5513
; %bb.5064:                             ;   in Loop: Header=BB4_5018 Depth=3
	s_or_saveexec_b32 s35, s35
	v_mov_b32_e32 v85, s15
	s_xor_b32 exec_lo, exec_lo, s35
	s_cbranch_execnz .LBB4_5516
.LBB4_5065:                             ;   in Loop: Header=BB4_5018 Depth=3
	s_or_b32 exec_lo, exec_lo, s35
	s_and_saveexec_b32 s15, s14
	s_cbranch_execz .LBB4_5067
.LBB4_5066:                             ;   in Loop: Header=BB4_5018 Depth=3
	v_and_b32_e32 v84, 0xffff, v84
	v_lshlrev_b32_e32 v160, 16, v8
	s_delay_alu instid0(VALU_DEP_2) | instskip(NEXT) | instid1(VALU_DEP_1)
	v_and_b32_e32 v85, 7, v84
	v_clz_i32_u32_e32 v150, v85
	s_delay_alu instid0(VALU_DEP_1) | instskip(NEXT) | instid1(VALU_DEP_1)
	v_min_u32_e32 v150, 32, v150
	v_subrev_nc_u32_e32 v151, 28, v150
	v_sub_nc_u32_e32 v150, 29, v150
	s_delay_alu instid0(VALU_DEP_2) | instskip(SKIP_1) | instid1(VALU_DEP_2)
	v_lshlrev_b32_e32 v151, v151, v84
	v_bfe_u32 v84, v84, 3, 4
	v_and_b32_e32 v151, 7, v151
	s_delay_alu instid0(VALU_DEP_2) | instskip(NEXT) | instid1(VALU_DEP_2)
	v_cmp_eq_u32_e32 vcc_lo, 0, v84
	v_dual_cndmask_b32 v84, v84, v150 :: v_dual_cndmask_b32 v85, v85, v151
	v_and_b32_e32 v150, 0x80000000, v160
	s_delay_alu instid0(VALU_DEP_2) | instskip(NEXT) | instid1(VALU_DEP_3)
	v_lshl_add_u32 v84, v84, 23, 0x3b800000
	v_lshlrev_b32_e32 v85, 20, v85
	s_delay_alu instid0(VALU_DEP_1)
	v_or3_b32 v85, v150, v84, v85
.LBB4_5067:                             ;   in Loop: Header=BB4_5018 Depth=3
	s_or_b32 exec_lo, exec_lo, s15
	s_delay_alu instid0(VALU_DEP_1) | instskip(SKIP_1) | instid1(VALU_DEP_1)
	v_max_f32_e32 v84, v85, v85
	v_max_f32_e32 v85, v149, v149
	v_min_f32_e32 v149, v85, v84
.LBB4_5068:                             ;   in Loop: Header=BB4_5018 Depth=3
	s_delay_alu instid0(VALU_DEP_1) | instskip(NEXT) | instid1(VALU_DEP_1)
	v_and_b32_e32 v84, 0x7f800000, v149
	v_cmp_ne_u32_e32 vcc_lo, 0x7f800000, v84
	v_mov_b32_e32 v84, 0x80
	s_and_saveexec_b32 s15, vcc_lo
	s_cbranch_execz .LBB4_5076
; %bb.5069:                             ;   in Loop: Header=BB4_5018 Depth=3
	v_mov_b32_e32 v84, 0
	s_mov_b32 s35, exec_lo
	v_cmpx_ne_u32_e32 0, v149
	s_cbranch_execz .LBB4_5075
; %bb.5070:                             ;   in Loop: Header=BB4_5018 Depth=3
	v_bfe_u32 v84, v149, 23, 8
	s_delay_alu instid0(VALU_DEP_1) | instskip(SKIP_1) | instid1(VALU_DEP_2)
	v_sub_nc_u32_e32 v150, 0x78, v84
	v_cmp_gt_u32_e32 vcc_lo, 0x79, v84
	v_dual_cndmask_b32 v150, 0, v150 :: v_dual_and_b32 v85, 0x7fffff, v149
	s_delay_alu instid0(VALU_DEP_1) | instskip(SKIP_2) | instid1(VALU_DEP_4)
	v_or_b32_e32 v151, 0x800000, v85
	v_cmp_eq_u32_e32 vcc_lo, 0, v84
	v_add_nc_u32_e32 v84, 0xffffff89, v84
	v_cndmask_b32_e64 v150, v150, 0x77, vcc_lo
	s_delay_alu instid0(VALU_DEP_4) | instskip(NEXT) | instid1(VALU_DEP_3)
	v_cndmask_b32_e32 v85, v151, v85, vcc_lo
	v_cndmask_b32_e64 v84, v84, 0xffffff8a, vcc_lo
	s_delay_alu instid0(VALU_DEP_3) | instskip(NEXT) | instid1(VALU_DEP_3)
	v_lshl_add_u32 v151, 0x100000, v150, -1
	v_lshrrev_b32_e32 v160, v150, v85
	v_lshlrev_b32_e64 v162, v150, 0x80000
	s_delay_alu instid0(VALU_DEP_4) | instskip(NEXT) | instid1(VALU_DEP_4)
	v_add_nc_u32_e32 v150, v150, v84
	v_and_b32_e32 v85, v151, v85
	s_delay_alu instid0(VALU_DEP_4) | instskip(NEXT) | instid1(VALU_DEP_2)
	v_bfe_u32 v161, v160, 20, 1
	v_cmp_eq_u32_e64 s14, v85, v162
	s_delay_alu instid0(VALU_DEP_2) | instskip(NEXT) | instid1(VALU_DEP_1)
	v_add_nc_u32_e32 v151, -1, v161
	v_cndmask_b32_e64 v85, 0, v151, s14
	v_lshrrev_b32_e32 v151, 23, v160
	s_mov_b32 s14, exec_lo
	s_delay_alu instid0(VALU_DEP_2) | instskip(NEXT) | instid1(VALU_DEP_2)
	v_add_nc_u32_e32 v85, v85, v160
	v_xor_b32_e32 v151, 1, v151
	s_delay_alu instid0(VALU_DEP_2) | instskip(NEXT) | instid1(VALU_DEP_1)
	v_and_b32_e32 v84, 0xfffff, v85
	v_add_nc_u32_e32 v85, v84, v160
                                        ; implicit-def: $vgpr84
	s_delay_alu instid0(VALU_DEP_3)
	v_cmpx_ne_u32_e64 v150, v151
	s_xor_b32 s14, exec_lo, s14
; %bb.5071:                             ;   in Loop: Header=BB4_5018 Depth=3
	s_delay_alu instid0(VALU_DEP_2) | instskip(SKIP_2) | instid1(VALU_DEP_2)
	v_cmp_lt_u32_e32 vcc_lo, 0xffffff, v85
	v_sub_nc_u32_e32 v84, v150, v151
	v_cndmask_b32_e64 v150, 0, 1, vcc_lo
	v_add_co_ci_u32_e32 v84, vcc_lo, 0, v84, vcc_lo
	s_delay_alu instid0(VALU_DEP_2)
	v_lshrrev_b32_e32 v85, v150, v85
; %bb.5072:                             ;   in Loop: Header=BB4_5018 Depth=3
	s_and_not1_saveexec_b32 s14, s14
; %bb.5073:                             ;   in Loop: Header=BB4_5018 Depth=3
	s_delay_alu instid0(VALU_DEP_1)
	v_bfe_u32 v84, v85, 23, 1
; %bb.5074:                             ;   in Loop: Header=BB4_5018 Depth=3
	s_or_b32 exec_lo, exec_lo, s14
	v_lshrrev_b32_e32 v85, 20, v85
	s_delay_alu instid0(VALU_DEP_2) | instskip(SKIP_2) | instid1(VALU_DEP_4)
	v_cmp_gt_i32_e32 vcc_lo, 16, v84
	v_lshrrev_b32_e32 v149, 24, v149
	v_min_i32_e32 v150, 15, v84
	v_cndmask_b32_e32 v85, 7, v85, vcc_lo
	s_delay_alu instid0(VALU_DEP_3) | instskip(NEXT) | instid1(VALU_DEP_3)
	v_and_b32_e32 v149, 0x80, v149
	v_lshlrev_b32_e32 v150, 3, v150
	s_delay_alu instid0(VALU_DEP_3) | instskip(SKIP_1) | instid1(VALU_DEP_2)
	v_and_b32_e32 v151, 7, v85
	v_or_b32_e32 v84, v84, v85
	v_or3_b32 v85, v150, v149, v151
	s_delay_alu instid0(VALU_DEP_2) | instskip(NEXT) | instid1(VALU_DEP_2)
	v_cmp_ne_u32_e32 vcc_lo, 0, v84
	v_cndmask_b32_e32 v84, 0, v85, vcc_lo
.LBB4_5075:                             ;   in Loop: Header=BB4_5018 Depth=3
	s_or_b32 exec_lo, exec_lo, s35
.LBB4_5076:                             ;   in Loop: Header=BB4_5018 Depth=3
	s_delay_alu instid0(SALU_CYCLE_1) | instskip(SKIP_3) | instid1(VALU_DEP_2)
	s_or_b32 exec_lo, exec_lo, s15
	v_lshrrev_b32_e32 v149, 16, v12
	v_lshrrev_b32_e32 v85, 16, v8
	s_and_b32 vcc_lo, exec_lo, s34
	v_and_b32_e32 v150, 0xff, v149
	s_delay_alu instid0(VALU_DEP_1)
	v_cmp_lt_i16_e64 s14, 0x7f, v150
	s_cbranch_vccz .LBB4_5086
; %bb.5077:                             ;   in Loop: Header=BB4_5018 Depth=3
	s_mov_b32 s15, 0
                                        ; implicit-def: $sgpr35
	s_delay_alu instid0(VALU_DEP_1) | instskip(NEXT) | instid1(SALU_CYCLE_1)
	s_and_saveexec_b32 vcc_lo, s14
	s_xor_b32 s14, exec_lo, vcc_lo
	s_cbranch_execnz .LBB4_5517
; %bb.5078:                             ;   in Loop: Header=BB4_5018 Depth=3
	s_or_saveexec_b32 s14, s14
	v_mov_b32_e32 v151, s35
	s_xor_b32 exec_lo, exec_lo, s14
	s_cbranch_execnz .LBB4_5520
.LBB4_5079:                             ;   in Loop: Header=BB4_5018 Depth=3
	s_or_b32 exec_lo, exec_lo, s14
	s_and_saveexec_b32 s14, s15
	s_cbranch_execz .LBB4_5081
.LBB4_5080:                             ;   in Loop: Header=BB4_5018 Depth=3
	v_bfe_u32 v151, v12, 16, 3
	v_bfe_u32 v162, v12, 19, 4
	v_lshlrev_b32_e32 v163, 24, v149
	s_delay_alu instid0(VALU_DEP_3) | instskip(NEXT) | instid1(VALU_DEP_3)
	v_clz_i32_u32_e32 v160, v151
	v_cmp_eq_u32_e32 vcc_lo, 0, v162
	s_delay_alu instid0(VALU_DEP_2) | instskip(NEXT) | instid1(VALU_DEP_1)
	v_min_u32_e32 v160, 32, v160
	v_subrev_nc_u32_e32 v161, 28, v160
	v_sub_nc_u32_e32 v160, 29, v160
	s_delay_alu instid0(VALU_DEP_1) | instskip(NEXT) | instid1(VALU_DEP_1)
	v_dual_cndmask_b32 v160, v162, v160 :: v_dual_lshlrev_b32 v161, v161, v149
	v_and_b32_e32 v161, 7, v161
	s_delay_alu instid0(VALU_DEP_2) | instskip(NEXT) | instid1(VALU_DEP_2)
	v_lshl_add_u32 v160, v160, 23, 0x3b800000
	v_cndmask_b32_e32 v151, v151, v161, vcc_lo
	v_and_b32_e32 v161, 0x80000000, v163
	s_delay_alu instid0(VALU_DEP_2) | instskip(NEXT) | instid1(VALU_DEP_1)
	v_lshlrev_b32_e32 v151, 20, v151
	v_or3_b32 v151, v161, v160, v151
.LBB4_5081:                             ;   in Loop: Header=BB4_5018 Depth=3
	s_or_b32 exec_lo, exec_lo, s14
	v_and_b32_e32 v161, 0xff, v85
	s_mov_b32 s14, 0
	s_mov_b32 s35, exec_lo
                                        ; implicit-def: $sgpr15
	s_delay_alu instid0(VALU_DEP_1)
	v_cmpx_lt_i16_e64 0x7f, v161
	s_xor_b32 s35, exec_lo, s35
	s_cbranch_execnz .LBB4_5521
; %bb.5082:                             ;   in Loop: Header=BB4_5018 Depth=3
	s_or_saveexec_b32 s35, s35
	v_mov_b32_e32 v160, s15
	s_xor_b32 exec_lo, exec_lo, s35
	s_cbranch_execnz .LBB4_5524
.LBB4_5083:                             ;   in Loop: Header=BB4_5018 Depth=3
	s_or_b32 exec_lo, exec_lo, s35
	s_and_saveexec_b32 s15, s14
	s_cbranch_execz .LBB4_5085
.LBB4_5084:                             ;   in Loop: Header=BB4_5018 Depth=3
	v_bfe_u32 v160, v8, 16, 3
	v_bfe_u32 v163, v8, 19, 4
	v_lshlrev_b32_e32 v164, 24, v85
	s_delay_alu instid0(VALU_DEP_3) | instskip(NEXT) | instid1(VALU_DEP_3)
	v_clz_i32_u32_e32 v161, v160
	v_cmp_eq_u32_e32 vcc_lo, 0, v163
	s_delay_alu instid0(VALU_DEP_2) | instskip(NEXT) | instid1(VALU_DEP_1)
	v_min_u32_e32 v161, 32, v161
	v_subrev_nc_u32_e32 v162, 28, v161
	v_sub_nc_u32_e32 v161, 29, v161
	s_delay_alu instid0(VALU_DEP_2) | instskip(NEXT) | instid1(VALU_DEP_1)
	v_lshlrev_b32_e32 v162, v162, v85
	v_dual_cndmask_b32 v161, v163, v161 :: v_dual_and_b32 v162, 7, v162
	s_delay_alu instid0(VALU_DEP_1) | instskip(NEXT) | instid1(VALU_DEP_2)
	v_lshl_add_u32 v161, v161, 23, 0x3b800000
	v_cndmask_b32_e32 v160, v160, v162, vcc_lo
	v_and_b32_e32 v162, 0x80000000, v164
	s_delay_alu instid0(VALU_DEP_2) | instskip(NEXT) | instid1(VALU_DEP_1)
	v_lshlrev_b32_e32 v160, 20, v160
	v_or3_b32 v160, v162, v161, v160
.LBB4_5085:                             ;   in Loop: Header=BB4_5018 Depth=3
	s_or_b32 exec_lo, exec_lo, s15
	s_delay_alu instid0(VALU_DEP_1) | instskip(SKIP_1) | instid1(VALU_DEP_1)
	v_dual_max_f32 v160, v160, v160 :: v_dual_max_f32 v151, v151, v151
	s_mov_b32 s14, 0
	v_max_f32_e32 v151, v151, v160
	s_branch .LBB4_5087
.LBB4_5086:                             ;   in Loop: Header=BB4_5018 Depth=3
	s_mov_b32 s14, -1
                                        ; implicit-def: $vgpr151
.LBB4_5087:                             ;   in Loop: Header=BB4_5018 Depth=3
	s_delay_alu instid0(SALU_CYCLE_1)
	s_and_b32 vcc_lo, exec_lo, s14
	s_cbranch_vccz .LBB4_5097
; %bb.5088:                             ;   in Loop: Header=BB4_5018 Depth=3
	s_mov_b32 s14, 0
	s_mov_b32 s35, exec_lo
                                        ; implicit-def: $sgpr15
	v_cmpx_lt_i16_e64 0x7f, v150
	s_xor_b32 s35, exec_lo, s35
	s_cbranch_execnz .LBB4_5525
; %bb.5089:                             ;   in Loop: Header=BB4_5018 Depth=3
	s_or_saveexec_b32 s35, s35
	v_mov_b32_e32 v151, s15
	s_xor_b32 exec_lo, exec_lo, s35
	s_cbranch_execnz .LBB4_5528
.LBB4_5090:                             ;   in Loop: Header=BB4_5018 Depth=3
	s_or_b32 exec_lo, exec_lo, s35
	s_and_saveexec_b32 s15, s14
	s_cbranch_execz .LBB4_5092
.LBB4_5091:                             ;   in Loop: Header=BB4_5018 Depth=3
	v_bfe_u32 v150, v12, 16, 3
	v_bfe_u32 v161, v12, 19, 4
	s_delay_alu instid0(VALU_DEP_2) | instskip(NEXT) | instid1(VALU_DEP_2)
	v_clz_i32_u32_e32 v151, v150
	v_cmp_eq_u32_e32 vcc_lo, 0, v161
	s_delay_alu instid0(VALU_DEP_2) | instskip(NEXT) | instid1(VALU_DEP_1)
	v_min_u32_e32 v151, 32, v151
	v_subrev_nc_u32_e32 v160, 28, v151
	v_sub_nc_u32_e32 v151, 29, v151
	s_delay_alu instid0(VALU_DEP_1) | instskip(NEXT) | instid1(VALU_DEP_1)
	v_dual_cndmask_b32 v151, v161, v151 :: v_dual_lshlrev_b32 v160, v160, v149
	v_and_b32_e32 v160, 7, v160
	v_lshlrev_b32_e32 v149, 24, v149
	s_delay_alu instid0(VALU_DEP_3) | instskip(NEXT) | instid1(VALU_DEP_2)
	v_lshl_add_u32 v151, v151, 23, 0x3b800000
	v_dual_cndmask_b32 v150, v150, v160 :: v_dual_and_b32 v149, 0x80000000, v149
	s_delay_alu instid0(VALU_DEP_1) | instskip(NEXT) | instid1(VALU_DEP_1)
	v_lshlrev_b32_e32 v150, 20, v150
	v_or3_b32 v151, v149, v151, v150
.LBB4_5092:                             ;   in Loop: Header=BB4_5018 Depth=3
	s_or_b32 exec_lo, exec_lo, s15
	v_and_b32_e32 v150, 0xff, v85
	s_mov_b32 s14, 0
	s_mov_b32 s35, exec_lo
                                        ; implicit-def: $sgpr15
	s_delay_alu instid0(VALU_DEP_1)
	v_cmpx_lt_i16_e64 0x7f, v150
	s_xor_b32 s35, exec_lo, s35
	s_cbranch_execnz .LBB4_5529
; %bb.5093:                             ;   in Loop: Header=BB4_5018 Depth=3
	s_or_saveexec_b32 s35, s35
	v_mov_b32_e32 v149, s15
	s_xor_b32 exec_lo, exec_lo, s35
	s_cbranch_execnz .LBB4_5532
.LBB4_5094:                             ;   in Loop: Header=BB4_5018 Depth=3
	s_or_b32 exec_lo, exec_lo, s35
	s_and_saveexec_b32 s15, s14
	s_cbranch_execz .LBB4_5096
.LBB4_5095:                             ;   in Loop: Header=BB4_5018 Depth=3
	v_bfe_u32 v149, v8, 16, 3
	v_bfe_u32 v161, v8, 19, 4
	s_delay_alu instid0(VALU_DEP_2) | instskip(NEXT) | instid1(VALU_DEP_2)
	v_clz_i32_u32_e32 v150, v149
	v_cmp_eq_u32_e32 vcc_lo, 0, v161
	s_delay_alu instid0(VALU_DEP_2) | instskip(NEXT) | instid1(VALU_DEP_1)
	v_min_u32_e32 v150, 32, v150
	v_subrev_nc_u32_e32 v160, 28, v150
	v_sub_nc_u32_e32 v150, 29, v150
	s_delay_alu instid0(VALU_DEP_2) | instskip(NEXT) | instid1(VALU_DEP_2)
	v_lshlrev_b32_e32 v160, v160, v85
	v_dual_cndmask_b32 v150, v161, v150 :: v_dual_lshlrev_b32 v85, 24, v85
	s_delay_alu instid0(VALU_DEP_2) | instskip(NEXT) | instid1(VALU_DEP_2)
	v_and_b32_e32 v160, 7, v160
	v_and_b32_e32 v85, 0x80000000, v85
	s_delay_alu instid0(VALU_DEP_3) | instskip(NEXT) | instid1(VALU_DEP_3)
	v_lshl_add_u32 v150, v150, 23, 0x3b800000
	v_cndmask_b32_e32 v149, v149, v160, vcc_lo
	s_delay_alu instid0(VALU_DEP_1) | instskip(NEXT) | instid1(VALU_DEP_1)
	v_lshlrev_b32_e32 v149, 20, v149
	v_or3_b32 v149, v85, v150, v149
.LBB4_5096:                             ;   in Loop: Header=BB4_5018 Depth=3
	s_or_b32 exec_lo, exec_lo, s15
	s_delay_alu instid0(VALU_DEP_1) | instskip(SKIP_1) | instid1(VALU_DEP_1)
	v_max_f32_e32 v85, v149, v149
	v_max_f32_e32 v149, v151, v151
	v_min_f32_e32 v151, v149, v85
.LBB4_5097:                             ;   in Loop: Header=BB4_5018 Depth=3
	s_delay_alu instid0(VALU_DEP_1) | instskip(NEXT) | instid1(VALU_DEP_1)
	v_and_b32_e32 v85, 0x7f800000, v151
	v_cmp_ne_u32_e32 vcc_lo, 0x7f800000, v85
	v_mov_b32_e32 v85, 0x80
	s_and_saveexec_b32 s15, vcc_lo
	s_cbranch_execz .LBB4_5105
; %bb.5098:                             ;   in Loop: Header=BB4_5018 Depth=3
	v_mov_b32_e32 v85, 0
	s_mov_b32 s35, exec_lo
	v_cmpx_ne_u32_e32 0, v151
	s_cbranch_execz .LBB4_5104
; %bb.5099:                             ;   in Loop: Header=BB4_5018 Depth=3
	v_bfe_u32 v85, v151, 23, 8
	s_delay_alu instid0(VALU_DEP_1) | instskip(SKIP_1) | instid1(VALU_DEP_2)
	v_sub_nc_u32_e32 v150, 0x78, v85
	v_cmp_gt_u32_e32 vcc_lo, 0x79, v85
	v_dual_cndmask_b32 v150, 0, v150 :: v_dual_and_b32 v149, 0x7fffff, v151
	s_delay_alu instid0(VALU_DEP_1) | instskip(SKIP_2) | instid1(VALU_DEP_4)
	v_or_b32_e32 v160, 0x800000, v149
	v_cmp_eq_u32_e32 vcc_lo, 0, v85
	v_add_nc_u32_e32 v85, 0xffffff89, v85
	v_cndmask_b32_e64 v150, v150, 0x77, vcc_lo
	s_delay_alu instid0(VALU_DEP_4) | instskip(NEXT) | instid1(VALU_DEP_3)
	v_cndmask_b32_e32 v149, v160, v149, vcc_lo
	v_cndmask_b32_e64 v85, v85, 0xffffff8a, vcc_lo
	s_delay_alu instid0(VALU_DEP_3) | instskip(NEXT) | instid1(VALU_DEP_3)
	v_lshl_add_u32 v160, 0x100000, v150, -1
	v_lshrrev_b32_e32 v161, v150, v149
	v_lshlrev_b32_e64 v163, v150, 0x80000
	s_delay_alu instid0(VALU_DEP_4) | instskip(NEXT) | instid1(VALU_DEP_4)
	v_add_nc_u32_e32 v150, v150, v85
	v_and_b32_e32 v149, v160, v149
	s_delay_alu instid0(VALU_DEP_4) | instskip(NEXT) | instid1(VALU_DEP_2)
	v_bfe_u32 v162, v161, 20, 1
	v_cmp_eq_u32_e64 s14, v149, v163
	s_delay_alu instid0(VALU_DEP_2) | instskip(NEXT) | instid1(VALU_DEP_1)
	v_add_nc_u32_e32 v160, -1, v162
	v_cndmask_b32_e64 v149, 0, v160, s14
	v_lshrrev_b32_e32 v160, 23, v161
	s_mov_b32 s14, exec_lo
	s_delay_alu instid0(VALU_DEP_2) | instskip(NEXT) | instid1(VALU_DEP_2)
	v_add_nc_u32_e32 v149, v149, v161
	v_xor_b32_e32 v160, 1, v160
	s_delay_alu instid0(VALU_DEP_2) | instskip(NEXT) | instid1(VALU_DEP_1)
	v_and_b32_e32 v85, 0xfffff, v149
	v_add_nc_u32_e32 v149, v85, v161
                                        ; implicit-def: $vgpr85
	s_delay_alu instid0(VALU_DEP_3)
	v_cmpx_ne_u32_e64 v150, v160
	s_xor_b32 s14, exec_lo, s14
; %bb.5100:                             ;   in Loop: Header=BB4_5018 Depth=3
	s_delay_alu instid0(VALU_DEP_2) | instskip(SKIP_2) | instid1(VALU_DEP_2)
	v_cmp_lt_u32_e32 vcc_lo, 0xffffff, v149
	v_sub_nc_u32_e32 v85, v150, v160
	v_cndmask_b32_e64 v150, 0, 1, vcc_lo
	v_add_co_ci_u32_e32 v85, vcc_lo, 0, v85, vcc_lo
	s_delay_alu instid0(VALU_DEP_2)
	v_lshrrev_b32_e32 v149, v150, v149
; %bb.5101:                             ;   in Loop: Header=BB4_5018 Depth=3
	s_and_not1_saveexec_b32 s14, s14
; %bb.5102:                             ;   in Loop: Header=BB4_5018 Depth=3
	s_delay_alu instid0(VALU_DEP_1)
	v_bfe_u32 v85, v149, 23, 1
; %bb.5103:                             ;   in Loop: Header=BB4_5018 Depth=3
	s_or_b32 exec_lo, exec_lo, s14
	v_lshrrev_b32_e32 v149, 20, v149
	s_delay_alu instid0(VALU_DEP_2) | instskip(SKIP_2) | instid1(VALU_DEP_2)
	v_cmp_gt_i32_e32 vcc_lo, 16, v85
	v_lshrrev_b32_e32 v150, 24, v151
	v_min_i32_e32 v151, 15, v85
	v_dual_cndmask_b32 v149, 7, v149 :: v_dual_and_b32 v150, 0x80, v150
	s_delay_alu instid0(VALU_DEP_2) | instskip(NEXT) | instid1(VALU_DEP_2)
	v_lshlrev_b32_e32 v151, 3, v151
	v_and_b32_e32 v160, 7, v149
	v_or_b32_e32 v85, v85, v149
	s_delay_alu instid0(VALU_DEP_2) | instskip(NEXT) | instid1(VALU_DEP_2)
	v_or3_b32 v149, v151, v150, v160
	v_cmp_ne_u32_e32 vcc_lo, 0, v85
	s_delay_alu instid0(VALU_DEP_2)
	v_cndmask_b32_e32 v85, 0, v149, vcc_lo
.LBB4_5104:                             ;   in Loop: Header=BB4_5018 Depth=3
	s_or_b32 exec_lo, exec_lo, s35
.LBB4_5105:                             ;   in Loop: Header=BB4_5018 Depth=3
	s_delay_alu instid0(SALU_CYCLE_1) | instskip(SKIP_3) | instid1(VALU_DEP_2)
	s_or_b32 exec_lo, exec_lo, s15
	v_lshrrev_b32_e32 v150, 24, v12
	v_lshrrev_b32_e32 v149, 24, v8
	s_and_b32 vcc_lo, exec_lo, s34
	v_cmp_lt_i16_e64 s14, 0x7f, v150
	s_cbranch_vccz .LBB4_5115
; %bb.5106:                             ;   in Loop: Header=BB4_5018 Depth=3
	s_mov_b32 s15, 0
                                        ; implicit-def: $sgpr35
	s_delay_alu instid0(VALU_DEP_1) | instskip(NEXT) | instid1(SALU_CYCLE_1)
	s_and_saveexec_b32 vcc_lo, s14
	s_xor_b32 s14, exec_lo, vcc_lo
	s_cbranch_execnz .LBB4_5533
; %bb.5107:                             ;   in Loop: Header=BB4_5018 Depth=3
	s_or_saveexec_b32 s14, s14
	v_mov_b32_e32 v151, s35
	s_xor_b32 exec_lo, exec_lo, s14
	s_cbranch_execnz .LBB4_5536
.LBB4_5108:                             ;   in Loop: Header=BB4_5018 Depth=3
	s_or_b32 exec_lo, exec_lo, s14
	s_and_saveexec_b32 s14, s15
	s_cbranch_execz .LBB4_5110
.LBB4_5109:                             ;   in Loop: Header=BB4_5018 Depth=3
	v_bfe_u32 v151, v12, 24, 3
	v_bfe_u32 v162, v12, 27, 4
	s_delay_alu instid0(VALU_DEP_2) | instskip(NEXT) | instid1(VALU_DEP_2)
	v_clz_i32_u32_e32 v160, v151
	v_cmp_eq_u32_e32 vcc_lo, 0, v162
	s_delay_alu instid0(VALU_DEP_2) | instskip(NEXT) | instid1(VALU_DEP_1)
	v_min_u32_e32 v160, 32, v160
	v_subrev_nc_u32_e32 v161, 28, v160
	v_sub_nc_u32_e32 v160, 29, v160
	s_delay_alu instid0(VALU_DEP_1) | instskip(NEXT) | instid1(VALU_DEP_1)
	v_dual_cndmask_b32 v160, v162, v160 :: v_dual_lshlrev_b32 v161, v161, v150
	v_and_b32_e32 v161, 7, v161
	s_delay_alu instid0(VALU_DEP_2) | instskip(NEXT) | instid1(VALU_DEP_2)
	v_lshl_add_u32 v160, v160, 23, 0x3b800000
	v_cndmask_b32_e32 v151, v151, v161, vcc_lo
	v_and_b32_e32 v161, 0x80000000, v12
	s_delay_alu instid0(VALU_DEP_2) | instskip(NEXT) | instid1(VALU_DEP_1)
	v_lshlrev_b32_e32 v151, 20, v151
	v_or3_b32 v151, v161, v160, v151
.LBB4_5110:                             ;   in Loop: Header=BB4_5018 Depth=3
	s_or_b32 exec_lo, exec_lo, s14
	s_mov_b32 s14, 0
	s_mov_b32 s35, exec_lo
                                        ; implicit-def: $sgpr15
	v_cmpx_lt_i16_e64 0x7f, v149
	s_xor_b32 s35, exec_lo, s35
	s_cbranch_execnz .LBB4_5537
; %bb.5111:                             ;   in Loop: Header=BB4_5018 Depth=3
	s_or_saveexec_b32 s35, s35
	v_mov_b32_e32 v160, s15
	s_xor_b32 exec_lo, exec_lo, s35
	s_cbranch_execnz .LBB4_5540
.LBB4_5112:                             ;   in Loop: Header=BB4_5018 Depth=3
	s_or_b32 exec_lo, exec_lo, s35
	s_and_saveexec_b32 s15, s14
	s_cbranch_execz .LBB4_5114
.LBB4_5113:                             ;   in Loop: Header=BB4_5018 Depth=3
	v_bfe_u32 v160, v8, 24, 3
	v_bfe_u32 v163, v8, 27, 4
	s_delay_alu instid0(VALU_DEP_2) | instskip(NEXT) | instid1(VALU_DEP_2)
	v_clz_i32_u32_e32 v161, v160
	v_cmp_eq_u32_e32 vcc_lo, 0, v163
	s_delay_alu instid0(VALU_DEP_2) | instskip(NEXT) | instid1(VALU_DEP_1)
	v_min_u32_e32 v161, 32, v161
	v_subrev_nc_u32_e32 v162, 28, v161
	v_sub_nc_u32_e32 v161, 29, v161
	s_delay_alu instid0(VALU_DEP_2) | instskip(NEXT) | instid1(VALU_DEP_1)
	v_lshlrev_b32_e32 v162, v162, v149
	v_dual_cndmask_b32 v161, v163, v161 :: v_dual_and_b32 v162, 7, v162
	s_delay_alu instid0(VALU_DEP_1) | instskip(NEXT) | instid1(VALU_DEP_2)
	v_lshl_add_u32 v161, v161, 23, 0x3b800000
	v_cndmask_b32_e32 v160, v160, v162, vcc_lo
	v_and_b32_e32 v162, 0x80000000, v8
	s_delay_alu instid0(VALU_DEP_2) | instskip(NEXT) | instid1(VALU_DEP_1)
	v_lshlrev_b32_e32 v160, 20, v160
	v_or3_b32 v160, v162, v161, v160
.LBB4_5114:                             ;   in Loop: Header=BB4_5018 Depth=3
	s_or_b32 exec_lo, exec_lo, s15
	s_delay_alu instid0(VALU_DEP_1) | instskip(SKIP_1) | instid1(VALU_DEP_1)
	v_dual_max_f32 v160, v160, v160 :: v_dual_max_f32 v151, v151, v151
	s_mov_b32 s14, 0
	v_max_f32_e32 v151, v151, v160
	s_branch .LBB4_5116
.LBB4_5115:                             ;   in Loop: Header=BB4_5018 Depth=3
	s_mov_b32 s14, -1
                                        ; implicit-def: $vgpr151
.LBB4_5116:                             ;   in Loop: Header=BB4_5018 Depth=3
	s_delay_alu instid0(SALU_CYCLE_1)
	s_and_b32 vcc_lo, exec_lo, s14
	s_cbranch_vccz .LBB4_5126
; %bb.5117:                             ;   in Loop: Header=BB4_5018 Depth=3
	s_mov_b32 s14, 0
	s_mov_b32 s35, exec_lo
                                        ; implicit-def: $sgpr15
	v_cmpx_lt_i16_e64 0x7f, v150
	s_xor_b32 s35, exec_lo, s35
	s_cbranch_execnz .LBB4_5541
; %bb.5118:                             ;   in Loop: Header=BB4_5018 Depth=3
	s_or_saveexec_b32 s35, s35
	v_mov_b32_e32 v151, s15
	s_xor_b32 exec_lo, exec_lo, s35
	s_cbranch_execnz .LBB4_5544
.LBB4_5119:                             ;   in Loop: Header=BB4_5018 Depth=3
	s_or_b32 exec_lo, exec_lo, s35
	s_and_saveexec_b32 s15, s14
	s_cbranch_execz .LBB4_5121
.LBB4_5120:                             ;   in Loop: Header=BB4_5018 Depth=3
	v_bfe_u32 v151, v12, 24, 3
	s_delay_alu instid0(VALU_DEP_1) | instskip(NEXT) | instid1(VALU_DEP_1)
	v_clz_i32_u32_e32 v160, v151
	v_min_u32_e32 v160, 32, v160
	s_delay_alu instid0(VALU_DEP_1) | instskip(SKIP_1) | instid1(VALU_DEP_2)
	v_subrev_nc_u32_e32 v161, 28, v160
	v_sub_nc_u32_e32 v160, 29, v160
	v_lshlrev_b32_e32 v150, v161, v150
	v_bfe_u32 v161, v12, 27, 4
	v_and_b32_e32 v12, 0x80000000, v12
	s_delay_alu instid0(VALU_DEP_3) | instskip(NEXT) | instid1(VALU_DEP_3)
	v_and_b32_e32 v150, 7, v150
	v_cmp_eq_u32_e32 vcc_lo, 0, v161
	v_cndmask_b32_e32 v160, v161, v160, vcc_lo
	s_delay_alu instid0(VALU_DEP_3) | instskip(NEXT) | instid1(VALU_DEP_2)
	v_cndmask_b32_e32 v150, v151, v150, vcc_lo
	v_lshl_add_u32 v151, v160, 23, 0x3b800000
	s_delay_alu instid0(VALU_DEP_2) | instskip(NEXT) | instid1(VALU_DEP_1)
	v_lshlrev_b32_e32 v150, 20, v150
	v_or3_b32 v151, v12, v151, v150
.LBB4_5121:                             ;   in Loop: Header=BB4_5018 Depth=3
	s_or_b32 exec_lo, exec_lo, s15
	s_mov_b32 s14, 0
	s_mov_b32 s35, exec_lo
                                        ; implicit-def: $sgpr15
	v_cmpx_lt_i16_e64 0x7f, v149
	s_xor_b32 s35, exec_lo, s35
	s_cbranch_execnz .LBB4_5545
; %bb.5122:                             ;   in Loop: Header=BB4_5018 Depth=3
	s_or_saveexec_b32 s35, s35
	v_mov_b32_e32 v12, s15
	s_xor_b32 exec_lo, exec_lo, s35
	s_cbranch_execnz .LBB4_5548
.LBB4_5123:                             ;   in Loop: Header=BB4_5018 Depth=3
	s_or_b32 exec_lo, exec_lo, s35
	s_and_saveexec_b32 s15, s14
	s_cbranch_execz .LBB4_5125
.LBB4_5124:                             ;   in Loop: Header=BB4_5018 Depth=3
	v_bfe_u32 v12, v8, 24, 3
	s_delay_alu instid0(VALU_DEP_1) | instskip(NEXT) | instid1(VALU_DEP_1)
	v_clz_i32_u32_e32 v150, v12
	v_min_u32_e32 v150, 32, v150
	s_delay_alu instid0(VALU_DEP_1) | instskip(SKIP_1) | instid1(VALU_DEP_2)
	v_subrev_nc_u32_e32 v160, 28, v150
	v_sub_nc_u32_e32 v150, 29, v150
	v_lshlrev_b32_e32 v149, v160, v149
	v_bfe_u32 v160, v8, 27, 4
	v_and_b32_e32 v8, 0x80000000, v8
	s_delay_alu instid0(VALU_DEP_2) | instskip(NEXT) | instid1(VALU_DEP_4)
	v_cmp_eq_u32_e32 vcc_lo, 0, v160
	v_dual_cndmask_b32 v150, v160, v150 :: v_dual_and_b32 v149, 7, v149
	s_delay_alu instid0(VALU_DEP_1) | instskip(NEXT) | instid1(VALU_DEP_2)
	v_cndmask_b32_e32 v12, v12, v149, vcc_lo
	v_lshl_add_u32 v149, v150, 23, 0x3b800000
	s_delay_alu instid0(VALU_DEP_2) | instskip(NEXT) | instid1(VALU_DEP_1)
	v_lshlrev_b32_e32 v12, 20, v12
	v_or3_b32 v12, v8, v149, v12
.LBB4_5125:                             ;   in Loop: Header=BB4_5018 Depth=3
	s_or_b32 exec_lo, exec_lo, s15
	s_delay_alu instid0(VALU_DEP_1) | instskip(SKIP_1) | instid1(VALU_DEP_1)
	v_max_f32_e32 v8, v12, v12
	v_max_f32_e32 v12, v151, v151
	v_min_f32_e32 v151, v12, v8
.LBB4_5126:                             ;   in Loop: Header=BB4_5018 Depth=3
	s_delay_alu instid0(VALU_DEP_1) | instskip(NEXT) | instid1(VALU_DEP_1)
	v_and_b32_e32 v8, 0x7f800000, v151
	v_cmp_ne_u32_e32 vcc_lo, 0x7f800000, v8
	v_mov_b32_e32 v8, 0x80
	s_and_saveexec_b32 s15, vcc_lo
	s_cbranch_execz .LBB4_5134
; %bb.5127:                             ;   in Loop: Header=BB4_5018 Depth=3
	v_mov_b32_e32 v8, 0
	s_mov_b32 s35, exec_lo
	v_cmpx_ne_u32_e32 0, v151
	s_cbranch_execz .LBB4_5133
; %bb.5128:                             ;   in Loop: Header=BB4_5018 Depth=3
	v_bfe_u32 v8, v151, 23, 8
	s_delay_alu instid0(VALU_DEP_1) | instskip(SKIP_1) | instid1(VALU_DEP_2)
	v_sub_nc_u32_e32 v149, 0x78, v8
	v_cmp_gt_u32_e32 vcc_lo, 0x79, v8
	v_dual_cndmask_b32 v149, 0, v149 :: v_dual_and_b32 v12, 0x7fffff, v151
	s_delay_alu instid0(VALU_DEP_1) | instskip(SKIP_2) | instid1(VALU_DEP_4)
	v_or_b32_e32 v150, 0x800000, v12
	v_cmp_eq_u32_e32 vcc_lo, 0, v8
	v_add_nc_u32_e32 v8, 0xffffff89, v8
	v_cndmask_b32_e64 v149, v149, 0x77, vcc_lo
	s_delay_alu instid0(VALU_DEP_4) | instskip(NEXT) | instid1(VALU_DEP_3)
	v_cndmask_b32_e32 v12, v150, v12, vcc_lo
	v_cndmask_b32_e64 v8, v8, 0xffffff8a, vcc_lo
	s_delay_alu instid0(VALU_DEP_3) | instskip(NEXT) | instid1(VALU_DEP_3)
	v_lshl_add_u32 v150, 0x100000, v149, -1
	v_lshrrev_b32_e32 v160, v149, v12
	v_lshlrev_b32_e64 v162, v149, 0x80000
	s_delay_alu instid0(VALU_DEP_4) | instskip(NEXT) | instid1(VALU_DEP_4)
	v_add_nc_u32_e32 v149, v149, v8
	v_and_b32_e32 v12, v150, v12
	s_delay_alu instid0(VALU_DEP_4) | instskip(NEXT) | instid1(VALU_DEP_2)
	v_bfe_u32 v161, v160, 20, 1
	v_cmp_eq_u32_e64 s14, v12, v162
	s_delay_alu instid0(VALU_DEP_2) | instskip(NEXT) | instid1(VALU_DEP_1)
	v_add_nc_u32_e32 v150, -1, v161
	v_cndmask_b32_e64 v12, 0, v150, s14
	v_lshrrev_b32_e32 v150, 23, v160
	s_mov_b32 s14, exec_lo
	s_delay_alu instid0(VALU_DEP_2) | instskip(NEXT) | instid1(VALU_DEP_2)
	v_add_nc_u32_e32 v12, v12, v160
	v_xor_b32_e32 v150, 1, v150
	s_delay_alu instid0(VALU_DEP_2) | instskip(NEXT) | instid1(VALU_DEP_1)
	v_and_b32_e32 v8, 0xfffff, v12
	v_add_nc_u32_e32 v12, v8, v160
                                        ; implicit-def: $vgpr8
	s_delay_alu instid0(VALU_DEP_3)
	v_cmpx_ne_u32_e64 v149, v150
	s_xor_b32 s14, exec_lo, s14
; %bb.5129:                             ;   in Loop: Header=BB4_5018 Depth=3
	s_delay_alu instid0(VALU_DEP_2) | instskip(SKIP_2) | instid1(VALU_DEP_2)
	v_cmp_lt_u32_e32 vcc_lo, 0xffffff, v12
	v_sub_nc_u32_e32 v8, v149, v150
	v_cndmask_b32_e64 v149, 0, 1, vcc_lo
	v_add_co_ci_u32_e32 v8, vcc_lo, 0, v8, vcc_lo
	s_delay_alu instid0(VALU_DEP_2)
	v_lshrrev_b32_e32 v12, v149, v12
; %bb.5130:                             ;   in Loop: Header=BB4_5018 Depth=3
	s_and_not1_saveexec_b32 s14, s14
; %bb.5131:                             ;   in Loop: Header=BB4_5018 Depth=3
	s_delay_alu instid0(VALU_DEP_1)
	v_bfe_u32 v8, v12, 23, 1
; %bb.5132:                             ;   in Loop: Header=BB4_5018 Depth=3
	s_or_b32 exec_lo, exec_lo, s14
	v_lshrrev_b32_e32 v12, 20, v12
	s_delay_alu instid0(VALU_DEP_2) | instskip(SKIP_2) | instid1(VALU_DEP_2)
	v_cmp_gt_i32_e32 vcc_lo, 16, v8
	v_lshrrev_b32_e32 v149, 24, v151
	v_min_i32_e32 v150, 15, v8
	v_dual_cndmask_b32 v12, 7, v12 :: v_dual_and_b32 v149, 0x80, v149
	s_delay_alu instid0(VALU_DEP_2) | instskip(NEXT) | instid1(VALU_DEP_2)
	v_lshlrev_b32_e32 v150, 3, v150
	v_and_b32_e32 v151, 7, v12
	v_or_b32_e32 v8, v8, v12
	s_delay_alu instid0(VALU_DEP_2) | instskip(NEXT) | instid1(VALU_DEP_2)
	v_or3_b32 v12, v150, v149, v151
	v_cmp_ne_u32_e32 vcc_lo, 0, v8
	s_delay_alu instid0(VALU_DEP_2)
	v_cndmask_b32_e32 v8, 0, v12, vcc_lo
.LBB4_5133:                             ;   in Loop: Header=BB4_5018 Depth=3
	s_or_b32 exec_lo, exec_lo, s35
.LBB4_5134:                             ;   in Loop: Header=BB4_5018 Depth=3
	s_delay_alu instid0(SALU_CYCLE_1) | instskip(SKIP_2) | instid1(VALU_DEP_1)
	s_or_b32 exec_lo, exec_lo, s15
	v_and_b32_e32 v12, 0xff, v13
	s_and_b32 vcc_lo, exec_lo, s34
	v_cmp_lt_i16_e64 s14, 0x7f, v12
	s_cbranch_vccz .LBB4_5144
; %bb.5135:                             ;   in Loop: Header=BB4_5018 Depth=3
	s_mov_b32 s15, 0
                                        ; implicit-def: $sgpr35
	s_delay_alu instid0(VALU_DEP_1) | instskip(NEXT) | instid1(SALU_CYCLE_1)
	s_and_saveexec_b32 vcc_lo, s14
	s_xor_b32 s14, exec_lo, vcc_lo
	s_cbranch_execnz .LBB4_5549
; %bb.5136:                             ;   in Loop: Header=BB4_5018 Depth=3
	s_or_saveexec_b32 s14, s14
	v_mov_b32_e32 v149, s35
	s_xor_b32 exec_lo, exec_lo, s14
	s_cbranch_execnz .LBB4_5552
.LBB4_5137:                             ;   in Loop: Header=BB4_5018 Depth=3
	s_or_b32 exec_lo, exec_lo, s14
	s_and_saveexec_b32 s14, s15
	s_cbranch_execz .LBB4_5139
.LBB4_5138:                             ;   in Loop: Header=BB4_5018 Depth=3
	v_bfe_u32 v160, v13, 3, 4
	v_lshlrev_b32_e32 v161, 24, v13
	s_delay_alu instid0(VALU_DEP_2) | instskip(SKIP_1) | instid1(VALU_DEP_1)
	v_cmp_eq_u32_e32 vcc_lo, 0, v160
	v_and_b32_e32 v149, 7, v13
	v_clz_i32_u32_e32 v150, v149
	s_delay_alu instid0(VALU_DEP_1) | instskip(NEXT) | instid1(VALU_DEP_1)
	v_min_u32_e32 v150, 32, v150
	v_subrev_nc_u32_e32 v151, 28, v150
	v_sub_nc_u32_e32 v150, 29, v150
	s_delay_alu instid0(VALU_DEP_1) | instskip(NEXT) | instid1(VALU_DEP_1)
	v_dual_cndmask_b32 v150, v160, v150 :: v_dual_lshlrev_b32 v151, v151, v13
	v_and_b32_e32 v151, 7, v151
	s_delay_alu instid0(VALU_DEP_2) | instskip(NEXT) | instid1(VALU_DEP_2)
	v_lshl_add_u32 v150, v150, 23, 0x3b800000
	v_cndmask_b32_e32 v149, v149, v151, vcc_lo
	v_and_b32_e32 v151, 0x80000000, v161
	s_delay_alu instid0(VALU_DEP_2) | instskip(NEXT) | instid1(VALU_DEP_1)
	v_lshlrev_b32_e32 v149, 20, v149
	v_or3_b32 v149, v151, v150, v149
.LBB4_5139:                             ;   in Loop: Header=BB4_5018 Depth=3
	s_or_b32 exec_lo, exec_lo, s14
	v_and_b32_e32 v151, 0xff, v9
	s_mov_b32 s14, 0
	s_mov_b32 s35, exec_lo
                                        ; implicit-def: $sgpr15
	s_delay_alu instid0(VALU_DEP_1)
	v_cmpx_lt_i16_e64 0x7f, v151
	s_xor_b32 s35, exec_lo, s35
	s_cbranch_execnz .LBB4_5553
; %bb.5140:                             ;   in Loop: Header=BB4_5018 Depth=3
	s_or_saveexec_b32 s35, s35
	v_mov_b32_e32 v150, s15
	s_xor_b32 exec_lo, exec_lo, s35
	s_cbranch_execnz .LBB4_5556
.LBB4_5141:                             ;   in Loop: Header=BB4_5018 Depth=3
	s_or_b32 exec_lo, exec_lo, s35
	s_and_saveexec_b32 s15, s14
	s_cbranch_execz .LBB4_5143
.LBB4_5142:                             ;   in Loop: Header=BB4_5018 Depth=3
	v_bfe_u32 v161, v9, 3, 4
	v_lshlrev_b32_e32 v162, 24, v9
	s_delay_alu instid0(VALU_DEP_2) | instskip(SKIP_1) | instid1(VALU_DEP_1)
	v_cmp_eq_u32_e32 vcc_lo, 0, v161
	v_and_b32_e32 v150, 7, v9
	v_clz_i32_u32_e32 v151, v150
	s_delay_alu instid0(VALU_DEP_1) | instskip(NEXT) | instid1(VALU_DEP_1)
	v_min_u32_e32 v151, 32, v151
	v_subrev_nc_u32_e32 v160, 28, v151
	v_sub_nc_u32_e32 v151, 29, v151
	s_delay_alu instid0(VALU_DEP_1) | instskip(NEXT) | instid1(VALU_DEP_1)
	v_dual_cndmask_b32 v151, v161, v151 :: v_dual_lshlrev_b32 v160, v160, v9
	v_and_b32_e32 v160, 7, v160
	s_delay_alu instid0(VALU_DEP_2) | instskip(NEXT) | instid1(VALU_DEP_2)
	v_lshl_add_u32 v151, v151, 23, 0x3b800000
	v_cndmask_b32_e32 v150, v150, v160, vcc_lo
	v_and_b32_e32 v160, 0x80000000, v162
	s_delay_alu instid0(VALU_DEP_2) | instskip(NEXT) | instid1(VALU_DEP_1)
	v_lshlrev_b32_e32 v150, 20, v150
	v_or3_b32 v150, v160, v151, v150
.LBB4_5143:                             ;   in Loop: Header=BB4_5018 Depth=3
	s_or_b32 exec_lo, exec_lo, s15
	s_delay_alu instid0(VALU_DEP_1) | instskip(SKIP_1) | instid1(VALU_DEP_1)
	v_dual_max_f32 v150, v150, v150 :: v_dual_max_f32 v149, v149, v149
	s_mov_b32 s14, 0
	v_max_f32_e32 v149, v149, v150
	s_branch .LBB4_5145
.LBB4_5144:                             ;   in Loop: Header=BB4_5018 Depth=3
	s_mov_b32 s14, -1
                                        ; implicit-def: $vgpr149
.LBB4_5145:                             ;   in Loop: Header=BB4_5018 Depth=3
	s_delay_alu instid0(SALU_CYCLE_1)
	s_and_b32 vcc_lo, exec_lo, s14
	s_cbranch_vccz .LBB4_5155
; %bb.5146:                             ;   in Loop: Header=BB4_5018 Depth=3
	s_mov_b32 s14, 0
	s_mov_b32 s35, exec_lo
                                        ; implicit-def: $sgpr15
	v_cmpx_lt_i16_e32 0x7f, v12
	s_xor_b32 s35, exec_lo, s35
	s_cbranch_execnz .LBB4_5557
; %bb.5147:                             ;   in Loop: Header=BB4_5018 Depth=3
	s_or_saveexec_b32 s35, s35
	v_mov_b32_e32 v149, s15
	s_xor_b32 exec_lo, exec_lo, s35
	s_cbranch_execnz .LBB4_5560
.LBB4_5148:                             ;   in Loop: Header=BB4_5018 Depth=3
	s_or_b32 exec_lo, exec_lo, s35
	s_and_saveexec_b32 s15, s14
	s_cbranch_execz .LBB4_5150
.LBB4_5149:                             ;   in Loop: Header=BB4_5018 Depth=3
	v_and_b32_e32 v12, 7, v13
	v_bfe_u32 v151, v13, 3, 4
	v_lshlrev_b32_e32 v160, 24, v13
	s_delay_alu instid0(VALU_DEP_3) | instskip(NEXT) | instid1(VALU_DEP_3)
	v_clz_i32_u32_e32 v149, v12
	v_cmp_eq_u32_e32 vcc_lo, 0, v151
	s_delay_alu instid0(VALU_DEP_2) | instskip(NEXT) | instid1(VALU_DEP_1)
	v_min_u32_e32 v149, 32, v149
	v_subrev_nc_u32_e32 v150, 28, v149
	v_sub_nc_u32_e32 v149, 29, v149
	s_delay_alu instid0(VALU_DEP_2) | instskip(NEXT) | instid1(VALU_DEP_1)
	v_lshlrev_b32_e32 v150, v150, v13
	v_dual_cndmask_b32 v149, v151, v149 :: v_dual_and_b32 v150, 7, v150
	s_delay_alu instid0(VALU_DEP_1) | instskip(NEXT) | instid1(VALU_DEP_2)
	v_lshl_add_u32 v149, v149, 23, 0x3b800000
	v_cndmask_b32_e32 v12, v12, v150, vcc_lo
	v_and_b32_e32 v150, 0x80000000, v160
	s_delay_alu instid0(VALU_DEP_2) | instskip(NEXT) | instid1(VALU_DEP_1)
	v_lshlrev_b32_e32 v12, 20, v12
	v_or3_b32 v149, v150, v149, v12
.LBB4_5150:                             ;   in Loop: Header=BB4_5018 Depth=3
	s_or_b32 exec_lo, exec_lo, s15
	v_and_b32_e32 v150, 0xff, v9
	s_mov_b32 s14, 0
	s_mov_b32 s35, exec_lo
                                        ; implicit-def: $sgpr15
	s_delay_alu instid0(VALU_DEP_1)
	v_cmpx_lt_i16_e64 0x7f, v150
	s_xor_b32 s35, exec_lo, s35
	s_cbranch_execnz .LBB4_5561
; %bb.5151:                             ;   in Loop: Header=BB4_5018 Depth=3
	s_or_saveexec_b32 s35, s35
	v_mov_b32_e32 v12, s15
	s_xor_b32 exec_lo, exec_lo, s35
	s_cbranch_execnz .LBB4_5564
.LBB4_5152:                             ;   in Loop: Header=BB4_5018 Depth=3
	s_or_b32 exec_lo, exec_lo, s35
	s_and_saveexec_b32 s15, s14
	s_cbranch_execz .LBB4_5154
.LBB4_5153:                             ;   in Loop: Header=BB4_5018 Depth=3
	v_and_b32_e32 v12, 7, v9
	v_bfe_u32 v160, v9, 3, 4
	s_delay_alu instid0(VALU_DEP_2) | instskip(NEXT) | instid1(VALU_DEP_2)
	v_clz_i32_u32_e32 v150, v12
	v_cmp_eq_u32_e32 vcc_lo, 0, v160
	s_delay_alu instid0(VALU_DEP_2) | instskip(NEXT) | instid1(VALU_DEP_1)
	v_min_u32_e32 v150, 32, v150
	v_subrev_nc_u32_e32 v151, 28, v150
	v_sub_nc_u32_e32 v150, 29, v150
	s_delay_alu instid0(VALU_DEP_1) | instskip(NEXT) | instid1(VALU_DEP_1)
	v_dual_cndmask_b32 v150, v160, v150 :: v_dual_lshlrev_b32 v151, v151, v9
	v_and_b32_e32 v151, 7, v151
	v_lshlrev_b32_e32 v161, 24, v9
	s_delay_alu instid0(VALU_DEP_3) | instskip(NEXT) | instid1(VALU_DEP_2)
	v_lshl_add_u32 v150, v150, 23, 0x3b800000
	v_dual_cndmask_b32 v12, v12, v151 :: v_dual_and_b32 v151, 0x80000000, v161
	s_delay_alu instid0(VALU_DEP_1) | instskip(NEXT) | instid1(VALU_DEP_1)
	v_lshlrev_b32_e32 v12, 20, v12
	v_or3_b32 v12, v151, v150, v12
.LBB4_5154:                             ;   in Loop: Header=BB4_5018 Depth=3
	s_or_b32 exec_lo, exec_lo, s15
	s_delay_alu instid0(VALU_DEP_1) | instskip(NEXT) | instid1(VALU_DEP_1)
	v_dual_max_f32 v12, v12, v12 :: v_dual_max_f32 v149, v149, v149
	v_min_f32_e32 v149, v149, v12
.LBB4_5155:                             ;   in Loop: Header=BB4_5018 Depth=3
	s_delay_alu instid0(VALU_DEP_1) | instskip(NEXT) | instid1(VALU_DEP_1)
	v_and_b32_e32 v12, 0x7f800000, v149
	v_cmp_ne_u32_e32 vcc_lo, 0x7f800000, v12
	v_mov_b32_e32 v12, 0x80
	s_and_saveexec_b32 s15, vcc_lo
	s_cbranch_execz .LBB4_5163
; %bb.5156:                             ;   in Loop: Header=BB4_5018 Depth=3
	v_mov_b32_e32 v12, 0
	s_mov_b32 s35, exec_lo
	v_cmpx_ne_u32_e32 0, v149
	s_cbranch_execz .LBB4_5162
; %bb.5157:                             ;   in Loop: Header=BB4_5018 Depth=3
	v_bfe_u32 v12, v149, 23, 8
	s_delay_alu instid0(VALU_DEP_1) | instskip(SKIP_1) | instid1(VALU_DEP_2)
	v_sub_nc_u32_e32 v151, 0x78, v12
	v_cmp_gt_u32_e32 vcc_lo, 0x79, v12
	v_dual_cndmask_b32 v151, 0, v151 :: v_dual_and_b32 v150, 0x7fffff, v149
	s_delay_alu instid0(VALU_DEP_1) | instskip(SKIP_2) | instid1(VALU_DEP_4)
	v_or_b32_e32 v160, 0x800000, v150
	v_cmp_eq_u32_e32 vcc_lo, 0, v12
	v_add_nc_u32_e32 v12, 0xffffff89, v12
	v_cndmask_b32_e64 v151, v151, 0x77, vcc_lo
	s_delay_alu instid0(VALU_DEP_2) | instskip(SKIP_1) | instid1(VALU_DEP_3)
	v_cndmask_b32_e64 v12, v12, 0xffffff8a, vcc_lo
	v_cndmask_b32_e32 v150, v160, v150, vcc_lo
	v_lshl_add_u32 v160, 0x100000, v151, -1
	v_lshlrev_b32_e64 v163, v151, 0x80000
	s_delay_alu instid0(VALU_DEP_3) | instskip(SKIP_1) | instid1(VALU_DEP_4)
	v_lshrrev_b32_e32 v161, v151, v150
	v_add_nc_u32_e32 v151, v151, v12
	v_and_b32_e32 v150, v160, v150
	s_delay_alu instid0(VALU_DEP_3) | instskip(NEXT) | instid1(VALU_DEP_2)
	v_bfe_u32 v162, v161, 20, 1
	v_cmp_eq_u32_e64 s14, v150, v163
	s_delay_alu instid0(VALU_DEP_2) | instskip(NEXT) | instid1(VALU_DEP_1)
	v_add_nc_u32_e32 v160, -1, v162
	v_cndmask_b32_e64 v150, 0, v160, s14
	v_lshrrev_b32_e32 v160, 23, v161
	s_mov_b32 s14, exec_lo
	s_delay_alu instid0(VALU_DEP_2) | instskip(NEXT) | instid1(VALU_DEP_2)
	v_add_nc_u32_e32 v150, v150, v161
	v_xor_b32_e32 v160, 1, v160
	s_delay_alu instid0(VALU_DEP_2) | instskip(NEXT) | instid1(VALU_DEP_1)
	v_and_b32_e32 v12, 0xfffff, v150
	v_add_nc_u32_e32 v150, v12, v161
                                        ; implicit-def: $vgpr12
	s_delay_alu instid0(VALU_DEP_3)
	v_cmpx_ne_u32_e64 v151, v160
	s_xor_b32 s14, exec_lo, s14
; %bb.5158:                             ;   in Loop: Header=BB4_5018 Depth=3
	s_delay_alu instid0(VALU_DEP_2) | instskip(SKIP_2) | instid1(VALU_DEP_2)
	v_cmp_lt_u32_e32 vcc_lo, 0xffffff, v150
	v_sub_nc_u32_e32 v12, v151, v160
	v_cndmask_b32_e64 v151, 0, 1, vcc_lo
	v_add_co_ci_u32_e32 v12, vcc_lo, 0, v12, vcc_lo
	s_delay_alu instid0(VALU_DEP_2)
	v_lshrrev_b32_e32 v150, v151, v150
; %bb.5159:                             ;   in Loop: Header=BB4_5018 Depth=3
	s_and_not1_saveexec_b32 s14, s14
; %bb.5160:                             ;   in Loop: Header=BB4_5018 Depth=3
	s_delay_alu instid0(VALU_DEP_1)
	v_bfe_u32 v12, v150, 23, 1
; %bb.5161:                             ;   in Loop: Header=BB4_5018 Depth=3
	s_or_b32 exec_lo, exec_lo, s14
	v_lshrrev_b32_e32 v150, 20, v150
	s_delay_alu instid0(VALU_DEP_2) | instskip(SKIP_2) | instid1(VALU_DEP_2)
	v_cmp_gt_i32_e32 vcc_lo, 16, v12
	v_lshrrev_b32_e32 v149, 24, v149
	v_min_i32_e32 v151, 15, v12
	v_dual_cndmask_b32 v150, 7, v150 :: v_dual_and_b32 v149, 0x80, v149
	s_delay_alu instid0(VALU_DEP_1) | instskip(SKIP_1) | instid1(VALU_DEP_2)
	v_or_b32_e32 v12, v12, v150
	v_and_b32_e32 v160, 7, v150
	v_cmp_ne_u32_e32 vcc_lo, 0, v12
	v_lshlrev_b32_e32 v151, 3, v151
	s_delay_alu instid0(VALU_DEP_1) | instskip(NEXT) | instid1(VALU_DEP_1)
	v_or3_b32 v149, v151, v149, v160
	v_cndmask_b32_e32 v12, 0, v149, vcc_lo
.LBB4_5162:                             ;   in Loop: Header=BB4_5018 Depth=3
	s_or_b32 exec_lo, exec_lo, s35
.LBB4_5163:                             ;   in Loop: Header=BB4_5018 Depth=3
	s_delay_alu instid0(SALU_CYCLE_1) | instskip(SKIP_3) | instid1(VALU_DEP_2)
	s_or_b32 exec_lo, exec_lo, s15
	v_lshrrev_b16 v150, 8, v13
	v_lshrrev_b16 v149, 8, v9
	s_and_b32 vcc_lo, exec_lo, s34
	v_cmp_lt_i16_e64 s14, 0x7f, v150
	s_cbranch_vccz .LBB4_5173
; %bb.5164:                             ;   in Loop: Header=BB4_5018 Depth=3
	s_mov_b32 s15, 0
                                        ; implicit-def: $sgpr35
	s_delay_alu instid0(VALU_DEP_1) | instskip(NEXT) | instid1(SALU_CYCLE_1)
	s_and_saveexec_b32 vcc_lo, s14
	s_xor_b32 s14, exec_lo, vcc_lo
	s_cbranch_execnz .LBB4_5565
; %bb.5165:                             ;   in Loop: Header=BB4_5018 Depth=3
	s_or_saveexec_b32 s14, s14
	v_mov_b32_e32 v151, s35
	s_xor_b32 exec_lo, exec_lo, s14
	s_cbranch_execnz .LBB4_5568
.LBB4_5166:                             ;   in Loop: Header=BB4_5018 Depth=3
	s_or_b32 exec_lo, exec_lo, s14
	s_and_saveexec_b32 s14, s15
	s_cbranch_execz .LBB4_5168
.LBB4_5167:                             ;   in Loop: Header=BB4_5018 Depth=3
	v_and_b32_e32 v151, 0xffff, v150
	s_delay_alu instid0(VALU_DEP_1) | instskip(NEXT) | instid1(VALU_DEP_1)
	v_and_b32_e32 v160, 7, v151
	v_clz_i32_u32_e32 v161, v160
	s_delay_alu instid0(VALU_DEP_1) | instskip(NEXT) | instid1(VALU_DEP_1)
	v_min_u32_e32 v161, 32, v161
	v_subrev_nc_u32_e32 v162, 28, v161
	v_sub_nc_u32_e32 v161, 29, v161
	s_delay_alu instid0(VALU_DEP_2) | instskip(SKIP_1) | instid1(VALU_DEP_2)
	v_lshlrev_b32_e32 v162, v162, v151
	v_bfe_u32 v151, v151, 3, 4
	v_and_b32_e32 v162, 7, v162
	s_delay_alu instid0(VALU_DEP_2) | instskip(SKIP_1) | instid1(VALU_DEP_3)
	v_cmp_eq_u32_e32 vcc_lo, 0, v151
	v_cndmask_b32_e32 v151, v151, v161, vcc_lo
	v_dual_cndmask_b32 v160, v160, v162 :: v_dual_lshlrev_b32 v163, 16, v13
	s_delay_alu instid0(VALU_DEP_2) | instskip(NEXT) | instid1(VALU_DEP_2)
	v_lshl_add_u32 v151, v151, 23, 0x3b800000
	v_and_b32_e32 v161, 0x80000000, v163
	s_delay_alu instid0(VALU_DEP_3) | instskip(NEXT) | instid1(VALU_DEP_1)
	v_lshlrev_b32_e32 v160, 20, v160
	v_or3_b32 v151, v161, v151, v160
.LBB4_5168:                             ;   in Loop: Header=BB4_5018 Depth=3
	s_or_b32 exec_lo, exec_lo, s14
	s_mov_b32 s14, 0
	s_mov_b32 s35, exec_lo
                                        ; implicit-def: $sgpr15
	v_cmpx_lt_i16_e64 0x7f, v149
	s_xor_b32 s35, exec_lo, s35
	s_cbranch_execnz .LBB4_5569
; %bb.5169:                             ;   in Loop: Header=BB4_5018 Depth=3
	s_or_saveexec_b32 s35, s35
	v_mov_b32_e32 v160, s15
	s_xor_b32 exec_lo, exec_lo, s35
	s_cbranch_execnz .LBB4_5572
.LBB4_5170:                             ;   in Loop: Header=BB4_5018 Depth=3
	s_or_b32 exec_lo, exec_lo, s35
	s_and_saveexec_b32 s15, s14
	s_cbranch_execz .LBB4_5172
.LBB4_5171:                             ;   in Loop: Header=BB4_5018 Depth=3
	v_and_b32_e32 v160, 0xffff, v149
	v_lshlrev_b32_e32 v164, 16, v9
	s_delay_alu instid0(VALU_DEP_2) | instskip(NEXT) | instid1(VALU_DEP_1)
	v_and_b32_e32 v161, 7, v160
	v_clz_i32_u32_e32 v162, v161
	s_delay_alu instid0(VALU_DEP_1) | instskip(NEXT) | instid1(VALU_DEP_1)
	v_min_u32_e32 v162, 32, v162
	v_subrev_nc_u32_e32 v163, 28, v162
	v_sub_nc_u32_e32 v162, 29, v162
	s_delay_alu instid0(VALU_DEP_2) | instskip(SKIP_1) | instid1(VALU_DEP_2)
	v_lshlrev_b32_e32 v163, v163, v160
	v_bfe_u32 v160, v160, 3, 4
	v_and_b32_e32 v163, 7, v163
	s_delay_alu instid0(VALU_DEP_2) | instskip(NEXT) | instid1(VALU_DEP_2)
	v_cmp_eq_u32_e32 vcc_lo, 0, v160
	v_dual_cndmask_b32 v160, v160, v162 :: v_dual_cndmask_b32 v161, v161, v163
	v_and_b32_e32 v162, 0x80000000, v164
	s_delay_alu instid0(VALU_DEP_2) | instskip(NEXT) | instid1(VALU_DEP_3)
	v_lshl_add_u32 v160, v160, 23, 0x3b800000
	v_lshlrev_b32_e32 v161, 20, v161
	s_delay_alu instid0(VALU_DEP_1)
	v_or3_b32 v160, v162, v160, v161
.LBB4_5172:                             ;   in Loop: Header=BB4_5018 Depth=3
	s_or_b32 exec_lo, exec_lo, s15
	s_delay_alu instid0(VALU_DEP_1) | instskip(SKIP_1) | instid1(VALU_DEP_1)
	v_dual_max_f32 v160, v160, v160 :: v_dual_max_f32 v151, v151, v151
	s_mov_b32 s14, 0
	v_max_f32_e32 v151, v151, v160
	s_branch .LBB4_5174
.LBB4_5173:                             ;   in Loop: Header=BB4_5018 Depth=3
	s_mov_b32 s14, -1
                                        ; implicit-def: $vgpr151
.LBB4_5174:                             ;   in Loop: Header=BB4_5018 Depth=3
	s_delay_alu instid0(SALU_CYCLE_1)
	s_and_b32 vcc_lo, exec_lo, s14
	s_cbranch_vccz .LBB4_5184
; %bb.5175:                             ;   in Loop: Header=BB4_5018 Depth=3
	s_mov_b32 s14, 0
	s_mov_b32 s35, exec_lo
                                        ; implicit-def: $sgpr15
	v_cmpx_lt_i16_e64 0x7f, v150
	s_xor_b32 s35, exec_lo, s35
	s_cbranch_execnz .LBB4_5573
; %bb.5176:                             ;   in Loop: Header=BB4_5018 Depth=3
	s_or_saveexec_b32 s35, s35
	v_mov_b32_e32 v151, s15
	s_xor_b32 exec_lo, exec_lo, s35
	s_cbranch_execnz .LBB4_5576
.LBB4_5177:                             ;   in Loop: Header=BB4_5018 Depth=3
	s_or_b32 exec_lo, exec_lo, s35
	s_and_saveexec_b32 s15, s14
	s_cbranch_execz .LBB4_5179
.LBB4_5178:                             ;   in Loop: Header=BB4_5018 Depth=3
	v_and_b32_e32 v150, 0xffff, v150
	v_lshlrev_b32_e32 v162, 16, v13
	s_delay_alu instid0(VALU_DEP_2) | instskip(NEXT) | instid1(VALU_DEP_1)
	v_and_b32_e32 v151, 7, v150
	v_clz_i32_u32_e32 v160, v151
	s_delay_alu instid0(VALU_DEP_1) | instskip(NEXT) | instid1(VALU_DEP_1)
	v_min_u32_e32 v160, 32, v160
	v_subrev_nc_u32_e32 v161, 28, v160
	v_sub_nc_u32_e32 v160, 29, v160
	s_delay_alu instid0(VALU_DEP_2) | instskip(SKIP_1) | instid1(VALU_DEP_2)
	v_lshlrev_b32_e32 v161, v161, v150
	v_bfe_u32 v150, v150, 3, 4
	v_and_b32_e32 v161, 7, v161
	s_delay_alu instid0(VALU_DEP_2) | instskip(NEXT) | instid1(VALU_DEP_2)
	v_cmp_eq_u32_e32 vcc_lo, 0, v150
	v_dual_cndmask_b32 v150, v150, v160 :: v_dual_cndmask_b32 v151, v151, v161
	v_and_b32_e32 v160, 0x80000000, v162
	s_delay_alu instid0(VALU_DEP_2) | instskip(NEXT) | instid1(VALU_DEP_3)
	v_lshl_add_u32 v150, v150, 23, 0x3b800000
	v_lshlrev_b32_e32 v151, 20, v151
	s_delay_alu instid0(VALU_DEP_1)
	v_or3_b32 v151, v160, v150, v151
.LBB4_5179:                             ;   in Loop: Header=BB4_5018 Depth=3
	s_or_b32 exec_lo, exec_lo, s15
	s_mov_b32 s14, 0
	s_mov_b32 s35, exec_lo
                                        ; implicit-def: $sgpr15
	v_cmpx_lt_i16_e64 0x7f, v149
	s_xor_b32 s35, exec_lo, s35
	s_cbranch_execnz .LBB4_5577
; %bb.5180:                             ;   in Loop: Header=BB4_5018 Depth=3
	s_or_saveexec_b32 s35, s35
	v_mov_b32_e32 v150, s15
	s_xor_b32 exec_lo, exec_lo, s35
	s_cbranch_execnz .LBB4_5580
.LBB4_5181:                             ;   in Loop: Header=BB4_5018 Depth=3
	s_or_b32 exec_lo, exec_lo, s35
	s_and_saveexec_b32 s15, s14
	s_cbranch_execz .LBB4_5183
.LBB4_5182:                             ;   in Loop: Header=BB4_5018 Depth=3
	v_and_b32_e32 v149, 0xffff, v149
	v_lshlrev_b32_e32 v162, 16, v9
	s_delay_alu instid0(VALU_DEP_2) | instskip(NEXT) | instid1(VALU_DEP_1)
	v_and_b32_e32 v150, 7, v149
	v_clz_i32_u32_e32 v160, v150
	s_delay_alu instid0(VALU_DEP_1) | instskip(NEXT) | instid1(VALU_DEP_1)
	v_min_u32_e32 v160, 32, v160
	v_subrev_nc_u32_e32 v161, 28, v160
	v_sub_nc_u32_e32 v160, 29, v160
	s_delay_alu instid0(VALU_DEP_2) | instskip(SKIP_1) | instid1(VALU_DEP_2)
	v_lshlrev_b32_e32 v161, v161, v149
	v_bfe_u32 v149, v149, 3, 4
	v_and_b32_e32 v161, 7, v161
	s_delay_alu instid0(VALU_DEP_2) | instskip(NEXT) | instid1(VALU_DEP_2)
	v_cmp_eq_u32_e32 vcc_lo, 0, v149
	v_dual_cndmask_b32 v149, v149, v160 :: v_dual_cndmask_b32 v150, v150, v161
	v_and_b32_e32 v160, 0x80000000, v162
	s_delay_alu instid0(VALU_DEP_2) | instskip(NEXT) | instid1(VALU_DEP_3)
	v_lshl_add_u32 v149, v149, 23, 0x3b800000
	v_lshlrev_b32_e32 v150, 20, v150
	s_delay_alu instid0(VALU_DEP_1)
	v_or3_b32 v150, v160, v149, v150
.LBB4_5183:                             ;   in Loop: Header=BB4_5018 Depth=3
	s_or_b32 exec_lo, exec_lo, s15
	s_delay_alu instid0(VALU_DEP_1) | instskip(NEXT) | instid1(VALU_DEP_1)
	v_dual_max_f32 v149, v150, v150 :: v_dual_max_f32 v150, v151, v151
	v_min_f32_e32 v151, v150, v149
.LBB4_5184:                             ;   in Loop: Header=BB4_5018 Depth=3
	s_delay_alu instid0(VALU_DEP_1) | instskip(NEXT) | instid1(VALU_DEP_1)
	v_and_b32_e32 v149, 0x7f800000, v151
	v_cmp_ne_u32_e32 vcc_lo, 0x7f800000, v149
	v_mov_b32_e32 v149, 0x80
	s_and_saveexec_b32 s15, vcc_lo
	s_cbranch_execz .LBB4_5192
; %bb.5185:                             ;   in Loop: Header=BB4_5018 Depth=3
	v_mov_b32_e32 v149, 0
	s_mov_b32 s35, exec_lo
	v_cmpx_ne_u32_e32 0, v151
	s_cbranch_execz .LBB4_5191
; %bb.5186:                             ;   in Loop: Header=BB4_5018 Depth=3
	v_bfe_u32 v149, v151, 23, 8
	v_and_b32_e32 v150, 0x7fffff, v151
	s_delay_alu instid0(VALU_DEP_2) | instskip(SKIP_1) | instid1(VALU_DEP_3)
	v_sub_nc_u32_e32 v160, 0x78, v149
	v_cmp_gt_u32_e32 vcc_lo, 0x79, v149
	v_or_b32_e32 v161, 0x800000, v150
	s_delay_alu instid0(VALU_DEP_3) | instskip(SKIP_2) | instid1(VALU_DEP_3)
	v_cndmask_b32_e32 v160, 0, v160, vcc_lo
	v_cmp_eq_u32_e32 vcc_lo, 0, v149
	v_add_nc_u32_e32 v149, 0xffffff89, v149
	v_cndmask_b32_e64 v160, v160, 0x77, vcc_lo
	v_cndmask_b32_e32 v150, v161, v150, vcc_lo
	s_delay_alu instid0(VALU_DEP_3) | instskip(NEXT) | instid1(VALU_DEP_3)
	v_cndmask_b32_e64 v149, v149, 0xffffff8a, vcc_lo
	v_lshl_add_u32 v161, 0x100000, v160, -1
	s_delay_alu instid0(VALU_DEP_3) | instskip(SKIP_1) | instid1(VALU_DEP_4)
	v_lshrrev_b32_e32 v162, v160, v150
	v_lshlrev_b32_e64 v164, v160, 0x80000
	v_add_nc_u32_e32 v160, v160, v149
	s_delay_alu instid0(VALU_DEP_4) | instskip(NEXT) | instid1(VALU_DEP_4)
	v_and_b32_e32 v150, v161, v150
	v_bfe_u32 v163, v162, 20, 1
	s_delay_alu instid0(VALU_DEP_2) | instskip(NEXT) | instid1(VALU_DEP_2)
	v_cmp_eq_u32_e64 s14, v150, v164
	v_add_nc_u32_e32 v161, -1, v163
	s_delay_alu instid0(VALU_DEP_1) | instskip(SKIP_2) | instid1(VALU_DEP_2)
	v_cndmask_b32_e64 v150, 0, v161, s14
	v_lshrrev_b32_e32 v161, 23, v162
	s_mov_b32 s14, exec_lo
	v_add_nc_u32_e32 v150, v150, v162
	s_delay_alu instid0(VALU_DEP_2) | instskip(NEXT) | instid1(VALU_DEP_2)
	v_xor_b32_e32 v161, 1, v161
	v_and_b32_e32 v149, 0xfffff, v150
	s_delay_alu instid0(VALU_DEP_1) | instskip(NEXT) | instid1(VALU_DEP_3)
	v_add_nc_u32_e32 v150, v149, v162
                                        ; implicit-def: $vgpr149
	v_cmpx_ne_u32_e64 v160, v161
	s_xor_b32 s14, exec_lo, s14
; %bb.5187:                             ;   in Loop: Header=BB4_5018 Depth=3
	s_delay_alu instid0(VALU_DEP_2) | instskip(SKIP_2) | instid1(VALU_DEP_2)
	v_cmp_lt_u32_e32 vcc_lo, 0xffffff, v150
	v_sub_nc_u32_e32 v149, v160, v161
	v_cndmask_b32_e64 v160, 0, 1, vcc_lo
	v_add_co_ci_u32_e32 v149, vcc_lo, 0, v149, vcc_lo
	s_delay_alu instid0(VALU_DEP_2)
	v_lshrrev_b32_e32 v150, v160, v150
; %bb.5188:                             ;   in Loop: Header=BB4_5018 Depth=3
	s_and_not1_saveexec_b32 s14, s14
; %bb.5189:                             ;   in Loop: Header=BB4_5018 Depth=3
	s_delay_alu instid0(VALU_DEP_1)
	v_bfe_u32 v149, v150, 23, 1
; %bb.5190:                             ;   in Loop: Header=BB4_5018 Depth=3
	s_or_b32 exec_lo, exec_lo, s14
	v_lshrrev_b32_e32 v150, 20, v150
	s_delay_alu instid0(VALU_DEP_2) | instskip(SKIP_2) | instid1(VALU_DEP_2)
	v_cmp_gt_i32_e32 vcc_lo, 16, v149
	v_lshrrev_b32_e32 v151, 24, v151
	v_min_i32_e32 v160, 15, v149
	v_dual_cndmask_b32 v150, 7, v150 :: v_dual_and_b32 v151, 0x80, v151
	s_delay_alu instid0(VALU_DEP_1) | instskip(SKIP_1) | instid1(VALU_DEP_2)
	v_or_b32_e32 v149, v149, v150
	v_and_b32_e32 v161, 7, v150
	v_cmp_ne_u32_e32 vcc_lo, 0, v149
	v_lshlrev_b32_e32 v160, 3, v160
	s_delay_alu instid0(VALU_DEP_1) | instskip(NEXT) | instid1(VALU_DEP_1)
	v_or3_b32 v150, v160, v151, v161
	v_cndmask_b32_e32 v149, 0, v150, vcc_lo
.LBB4_5191:                             ;   in Loop: Header=BB4_5018 Depth=3
	s_or_b32 exec_lo, exec_lo, s35
.LBB4_5192:                             ;   in Loop: Header=BB4_5018 Depth=3
	s_delay_alu instid0(SALU_CYCLE_1) | instskip(SKIP_3) | instid1(VALU_DEP_2)
	s_or_b32 exec_lo, exec_lo, s15
	v_lshrrev_b32_e32 v151, 16, v13
	v_lshrrev_b32_e32 v150, 16, v9
	s_and_b32 vcc_lo, exec_lo, s34
	v_and_b32_e32 v160, 0xff, v151
	s_delay_alu instid0(VALU_DEP_1)
	v_cmp_lt_i16_e64 s14, 0x7f, v160
	s_cbranch_vccz .LBB4_5202
; %bb.5193:                             ;   in Loop: Header=BB4_5018 Depth=3
	s_mov_b32 s15, 0
                                        ; implicit-def: $sgpr35
	s_delay_alu instid0(VALU_DEP_1) | instskip(NEXT) | instid1(SALU_CYCLE_1)
	s_and_saveexec_b32 vcc_lo, s14
	s_xor_b32 s14, exec_lo, vcc_lo
	s_cbranch_execnz .LBB4_5581
; %bb.5194:                             ;   in Loop: Header=BB4_5018 Depth=3
	s_or_saveexec_b32 s14, s14
	v_mov_b32_e32 v161, s35
	s_xor_b32 exec_lo, exec_lo, s14
	s_cbranch_execnz .LBB4_5584
.LBB4_5195:                             ;   in Loop: Header=BB4_5018 Depth=3
	s_or_b32 exec_lo, exec_lo, s14
	s_and_saveexec_b32 s14, s15
	s_cbranch_execz .LBB4_5197
.LBB4_5196:                             ;   in Loop: Header=BB4_5018 Depth=3
	v_bfe_u32 v161, v13, 16, 3
	v_bfe_u32 v164, v13, 19, 4
	v_lshlrev_b32_e32 v165, 24, v151
	s_delay_alu instid0(VALU_DEP_3) | instskip(NEXT) | instid1(VALU_DEP_3)
	v_clz_i32_u32_e32 v162, v161
	v_cmp_eq_u32_e32 vcc_lo, 0, v164
	s_delay_alu instid0(VALU_DEP_2) | instskip(NEXT) | instid1(VALU_DEP_1)
	v_min_u32_e32 v162, 32, v162
	v_subrev_nc_u32_e32 v163, 28, v162
	v_sub_nc_u32_e32 v162, 29, v162
	s_delay_alu instid0(VALU_DEP_1) | instskip(NEXT) | instid1(VALU_DEP_1)
	v_dual_cndmask_b32 v162, v164, v162 :: v_dual_lshlrev_b32 v163, v163, v151
	v_and_b32_e32 v163, 7, v163
	s_delay_alu instid0(VALU_DEP_2) | instskip(NEXT) | instid1(VALU_DEP_2)
	v_lshl_add_u32 v162, v162, 23, 0x3b800000
	v_cndmask_b32_e32 v161, v161, v163, vcc_lo
	v_and_b32_e32 v163, 0x80000000, v165
	s_delay_alu instid0(VALU_DEP_2) | instskip(NEXT) | instid1(VALU_DEP_1)
	v_lshlrev_b32_e32 v161, 20, v161
	v_or3_b32 v161, v163, v162, v161
.LBB4_5197:                             ;   in Loop: Header=BB4_5018 Depth=3
	s_or_b32 exec_lo, exec_lo, s14
	v_and_b32_e32 v163, 0xff, v150
	s_mov_b32 s14, 0
	s_mov_b32 s35, exec_lo
                                        ; implicit-def: $sgpr15
	s_delay_alu instid0(VALU_DEP_1)
	v_cmpx_lt_i16_e64 0x7f, v163
	s_xor_b32 s35, exec_lo, s35
	s_cbranch_execnz .LBB4_5585
; %bb.5198:                             ;   in Loop: Header=BB4_5018 Depth=3
	s_or_saveexec_b32 s35, s35
	v_mov_b32_e32 v162, s15
	s_xor_b32 exec_lo, exec_lo, s35
	s_cbranch_execnz .LBB4_5588
.LBB4_5199:                             ;   in Loop: Header=BB4_5018 Depth=3
	s_or_b32 exec_lo, exec_lo, s35
	s_and_saveexec_b32 s15, s14
	s_cbranch_execz .LBB4_5201
.LBB4_5200:                             ;   in Loop: Header=BB4_5018 Depth=3
	v_bfe_u32 v162, v9, 16, 3
	v_bfe_u32 v165, v9, 19, 4
	v_lshlrev_b32_e32 v166, 24, v150
	s_delay_alu instid0(VALU_DEP_3) | instskip(NEXT) | instid1(VALU_DEP_3)
	v_clz_i32_u32_e32 v163, v162
	v_cmp_eq_u32_e32 vcc_lo, 0, v165
	s_delay_alu instid0(VALU_DEP_2) | instskip(NEXT) | instid1(VALU_DEP_1)
	v_min_u32_e32 v163, 32, v163
	v_subrev_nc_u32_e32 v164, 28, v163
	v_sub_nc_u32_e32 v163, 29, v163
	s_delay_alu instid0(VALU_DEP_1) | instskip(NEXT) | instid1(VALU_DEP_1)
	v_dual_cndmask_b32 v163, v165, v163 :: v_dual_lshlrev_b32 v164, v164, v150
	v_and_b32_e32 v164, 7, v164
	s_delay_alu instid0(VALU_DEP_2) | instskip(NEXT) | instid1(VALU_DEP_2)
	v_lshl_add_u32 v163, v163, 23, 0x3b800000
	v_cndmask_b32_e32 v162, v162, v164, vcc_lo
	v_and_b32_e32 v164, 0x80000000, v166
	s_delay_alu instid0(VALU_DEP_2) | instskip(NEXT) | instid1(VALU_DEP_1)
	v_lshlrev_b32_e32 v162, 20, v162
	v_or3_b32 v162, v164, v163, v162
.LBB4_5201:                             ;   in Loop: Header=BB4_5018 Depth=3
	s_or_b32 exec_lo, exec_lo, s15
	s_delay_alu instid0(VALU_DEP_1) | instskip(SKIP_1) | instid1(VALU_DEP_1)
	v_dual_max_f32 v162, v162, v162 :: v_dual_max_f32 v161, v161, v161
	s_mov_b32 s14, 0
	v_max_f32_e32 v161, v161, v162
	s_branch .LBB4_5203
.LBB4_5202:                             ;   in Loop: Header=BB4_5018 Depth=3
	s_mov_b32 s14, -1
                                        ; implicit-def: $vgpr161
.LBB4_5203:                             ;   in Loop: Header=BB4_5018 Depth=3
	s_delay_alu instid0(SALU_CYCLE_1)
	s_and_b32 vcc_lo, exec_lo, s14
	s_cbranch_vccz .LBB4_5213
; %bb.5204:                             ;   in Loop: Header=BB4_5018 Depth=3
	s_mov_b32 s14, 0
	s_mov_b32 s35, exec_lo
                                        ; implicit-def: $sgpr15
	v_cmpx_lt_i16_e64 0x7f, v160
	s_xor_b32 s35, exec_lo, s35
	s_cbranch_execnz .LBB4_5589
; %bb.5205:                             ;   in Loop: Header=BB4_5018 Depth=3
	s_or_saveexec_b32 s35, s35
	v_mov_b32_e32 v161, s15
	s_xor_b32 exec_lo, exec_lo, s35
	s_cbranch_execnz .LBB4_5592
.LBB4_5206:                             ;   in Loop: Header=BB4_5018 Depth=3
	s_or_b32 exec_lo, exec_lo, s35
	s_and_saveexec_b32 s15, s14
	s_cbranch_execz .LBB4_5208
.LBB4_5207:                             ;   in Loop: Header=BB4_5018 Depth=3
	v_bfe_u32 v160, v13, 16, 3
	v_bfe_u32 v163, v13, 19, 4
	s_delay_alu instid0(VALU_DEP_2) | instskip(NEXT) | instid1(VALU_DEP_2)
	v_clz_i32_u32_e32 v161, v160
	v_cmp_eq_u32_e32 vcc_lo, 0, v163
	s_delay_alu instid0(VALU_DEP_2) | instskip(NEXT) | instid1(VALU_DEP_1)
	v_min_u32_e32 v161, 32, v161
	v_subrev_nc_u32_e32 v162, 28, v161
	v_sub_nc_u32_e32 v161, 29, v161
	s_delay_alu instid0(VALU_DEP_1) | instskip(NEXT) | instid1(VALU_DEP_1)
	v_dual_cndmask_b32 v161, v163, v161 :: v_dual_lshlrev_b32 v162, v162, v151
	v_and_b32_e32 v162, 7, v162
	v_lshlrev_b32_e32 v151, 24, v151
	s_delay_alu instid0(VALU_DEP_3) | instskip(NEXT) | instid1(VALU_DEP_2)
	v_lshl_add_u32 v161, v161, 23, 0x3b800000
	v_dual_cndmask_b32 v160, v160, v162 :: v_dual_and_b32 v151, 0x80000000, v151
	s_delay_alu instid0(VALU_DEP_1) | instskip(NEXT) | instid1(VALU_DEP_1)
	v_lshlrev_b32_e32 v160, 20, v160
	v_or3_b32 v161, v151, v161, v160
.LBB4_5208:                             ;   in Loop: Header=BB4_5018 Depth=3
	s_or_b32 exec_lo, exec_lo, s15
	v_and_b32_e32 v160, 0xff, v150
	s_mov_b32 s14, 0
	s_mov_b32 s35, exec_lo
                                        ; implicit-def: $sgpr15
	s_delay_alu instid0(VALU_DEP_1)
	v_cmpx_lt_i16_e64 0x7f, v160
	s_xor_b32 s35, exec_lo, s35
	s_cbranch_execnz .LBB4_5593
; %bb.5209:                             ;   in Loop: Header=BB4_5018 Depth=3
	s_or_saveexec_b32 s35, s35
	v_mov_b32_e32 v151, s15
	s_xor_b32 exec_lo, exec_lo, s35
	s_cbranch_execnz .LBB4_5596
.LBB4_5210:                             ;   in Loop: Header=BB4_5018 Depth=3
	s_or_b32 exec_lo, exec_lo, s35
	s_and_saveexec_b32 s15, s14
	s_cbranch_execz .LBB4_5212
.LBB4_5211:                             ;   in Loop: Header=BB4_5018 Depth=3
	v_bfe_u32 v151, v9, 16, 3
	v_bfe_u32 v163, v9, 19, 4
	s_delay_alu instid0(VALU_DEP_2) | instskip(NEXT) | instid1(VALU_DEP_2)
	v_clz_i32_u32_e32 v160, v151
	v_cmp_eq_u32_e32 vcc_lo, 0, v163
	s_delay_alu instid0(VALU_DEP_2) | instskip(NEXT) | instid1(VALU_DEP_1)
	v_min_u32_e32 v160, 32, v160
	v_subrev_nc_u32_e32 v162, 28, v160
	v_sub_nc_u32_e32 v160, 29, v160
	s_delay_alu instid0(VALU_DEP_2) | instskip(SKIP_1) | instid1(VALU_DEP_2)
	v_lshlrev_b32_e32 v162, v162, v150
	v_lshlrev_b32_e32 v150, 24, v150
	v_and_b32_e32 v162, 7, v162
	s_delay_alu instid0(VALU_DEP_2) | instskip(NEXT) | instid1(VALU_DEP_2)
	v_and_b32_e32 v150, 0x80000000, v150
	v_cndmask_b32_e32 v151, v151, v162, vcc_lo
	s_delay_alu instid0(VALU_DEP_1) | instskip(NEXT) | instid1(VALU_DEP_1)
	v_dual_cndmask_b32 v160, v163, v160 :: v_dual_lshlrev_b32 v151, 20, v151
	v_lshl_add_u32 v160, v160, 23, 0x3b800000
	s_delay_alu instid0(VALU_DEP_1)
	v_or3_b32 v151, v150, v160, v151
.LBB4_5212:                             ;   in Loop: Header=BB4_5018 Depth=3
	s_or_b32 exec_lo, exec_lo, s15
	s_delay_alu instid0(VALU_DEP_1) | instskip(NEXT) | instid1(VALU_DEP_1)
	v_dual_max_f32 v150, v151, v151 :: v_dual_max_f32 v151, v161, v161
	v_min_f32_e32 v161, v151, v150
.LBB4_5213:                             ;   in Loop: Header=BB4_5018 Depth=3
	s_delay_alu instid0(VALU_DEP_1) | instskip(NEXT) | instid1(VALU_DEP_1)
	v_and_b32_e32 v150, 0x7f800000, v161
	v_cmp_ne_u32_e32 vcc_lo, 0x7f800000, v150
	v_mov_b32_e32 v150, 0x80
	s_and_saveexec_b32 s15, vcc_lo
	s_cbranch_execz .LBB4_5221
; %bb.5214:                             ;   in Loop: Header=BB4_5018 Depth=3
	v_mov_b32_e32 v150, 0
	s_mov_b32 s35, exec_lo
	v_cmpx_ne_u32_e32 0, v161
	s_cbranch_execz .LBB4_5220
; %bb.5215:                             ;   in Loop: Header=BB4_5018 Depth=3
	v_bfe_u32 v150, v161, 23, 8
	s_delay_alu instid0(VALU_DEP_1) | instskip(SKIP_1) | instid1(VALU_DEP_2)
	v_sub_nc_u32_e32 v160, 0x78, v150
	v_cmp_gt_u32_e32 vcc_lo, 0x79, v150
	v_dual_cndmask_b32 v160, 0, v160 :: v_dual_and_b32 v151, 0x7fffff, v161
	s_delay_alu instid0(VALU_DEP_1) | instskip(SKIP_2) | instid1(VALU_DEP_4)
	v_or_b32_e32 v162, 0x800000, v151
	v_cmp_eq_u32_e32 vcc_lo, 0, v150
	v_add_nc_u32_e32 v150, 0xffffff89, v150
	v_cndmask_b32_e64 v160, v160, 0x77, vcc_lo
	s_delay_alu instid0(VALU_DEP_4) | instskip(NEXT) | instid1(VALU_DEP_3)
	v_cndmask_b32_e32 v151, v162, v151, vcc_lo
	v_cndmask_b32_e64 v150, v150, 0xffffff8a, vcc_lo
	s_delay_alu instid0(VALU_DEP_3) | instskip(NEXT) | instid1(VALU_DEP_3)
	v_lshl_add_u32 v162, 0x100000, v160, -1
	v_lshrrev_b32_e32 v163, v160, v151
	v_lshlrev_b32_e64 v165, v160, 0x80000
	s_delay_alu instid0(VALU_DEP_4) | instskip(NEXT) | instid1(VALU_DEP_4)
	v_add_nc_u32_e32 v160, v160, v150
	v_and_b32_e32 v151, v162, v151
	s_delay_alu instid0(VALU_DEP_4) | instskip(NEXT) | instid1(VALU_DEP_2)
	v_bfe_u32 v164, v163, 20, 1
	v_cmp_eq_u32_e64 s14, v151, v165
	s_delay_alu instid0(VALU_DEP_2) | instskip(NEXT) | instid1(VALU_DEP_1)
	v_add_nc_u32_e32 v162, -1, v164
	v_cndmask_b32_e64 v151, 0, v162, s14
	v_lshrrev_b32_e32 v162, 23, v163
	s_mov_b32 s14, exec_lo
	s_delay_alu instid0(VALU_DEP_2) | instskip(NEXT) | instid1(VALU_DEP_2)
	v_add_nc_u32_e32 v151, v151, v163
	v_xor_b32_e32 v162, 1, v162
	s_delay_alu instid0(VALU_DEP_2) | instskip(NEXT) | instid1(VALU_DEP_1)
	v_and_b32_e32 v150, 0xfffff, v151
	v_add_nc_u32_e32 v151, v150, v163
                                        ; implicit-def: $vgpr150
	s_delay_alu instid0(VALU_DEP_3)
	v_cmpx_ne_u32_e64 v160, v162
	s_xor_b32 s14, exec_lo, s14
; %bb.5216:                             ;   in Loop: Header=BB4_5018 Depth=3
	s_delay_alu instid0(VALU_DEP_2) | instskip(SKIP_2) | instid1(VALU_DEP_2)
	v_cmp_lt_u32_e32 vcc_lo, 0xffffff, v151
	v_sub_nc_u32_e32 v150, v160, v162
	v_cndmask_b32_e64 v160, 0, 1, vcc_lo
	v_add_co_ci_u32_e32 v150, vcc_lo, 0, v150, vcc_lo
	s_delay_alu instid0(VALU_DEP_2)
	v_lshrrev_b32_e32 v151, v160, v151
; %bb.5217:                             ;   in Loop: Header=BB4_5018 Depth=3
	s_and_not1_saveexec_b32 s14, s14
; %bb.5218:                             ;   in Loop: Header=BB4_5018 Depth=3
	s_delay_alu instid0(VALU_DEP_1)
	v_bfe_u32 v150, v151, 23, 1
; %bb.5219:                             ;   in Loop: Header=BB4_5018 Depth=3
	s_or_b32 exec_lo, exec_lo, s14
	v_lshrrev_b32_e32 v151, 20, v151
	s_delay_alu instid0(VALU_DEP_2) | instskip(SKIP_2) | instid1(VALU_DEP_2)
	v_cmp_gt_i32_e32 vcc_lo, 16, v150
	v_min_i32_e32 v160, 15, v150
	v_lshrrev_b32_e32 v161, 24, v161
	v_dual_cndmask_b32 v151, 7, v151 :: v_dual_lshlrev_b32 v160, 3, v160
	s_delay_alu instid0(VALU_DEP_1) | instskip(SKIP_1) | instid1(VALU_DEP_3)
	v_or_b32_e32 v150, v150, v151
	v_and_b32_e32 v162, 7, v151
	v_and_b32_e32 v160, 0xf8, v160
	s_delay_alu instid0(VALU_DEP_3) | instskip(SKIP_1) | instid1(VALU_DEP_1)
	v_cmp_ne_u32_e32 vcc_lo, 0, v150
	v_and_b32_e32 v161, 0x80, v161
	v_or3_b32 v151, v160, v161, v162
	s_delay_alu instid0(VALU_DEP_1)
	v_cndmask_b32_e32 v150, 0, v151, vcc_lo
.LBB4_5220:                             ;   in Loop: Header=BB4_5018 Depth=3
	s_or_b32 exec_lo, exec_lo, s35
.LBB4_5221:                             ;   in Loop: Header=BB4_5018 Depth=3
	s_delay_alu instid0(SALU_CYCLE_1) | instskip(SKIP_3) | instid1(VALU_DEP_2)
	s_or_b32 exec_lo, exec_lo, s15
	v_lshrrev_b32_e32 v160, 24, v13
	v_lshrrev_b32_e32 v151, 24, v9
	s_and_b32 vcc_lo, exec_lo, s34
	v_cmp_lt_i16_e64 s14, 0x7f, v160
	s_cbranch_vccz .LBB4_5231
; %bb.5222:                             ;   in Loop: Header=BB4_5018 Depth=3
	s_mov_b32 s15, 0
                                        ; implicit-def: $sgpr35
	s_delay_alu instid0(VALU_DEP_1) | instskip(NEXT) | instid1(SALU_CYCLE_1)
	s_and_saveexec_b32 vcc_lo, s14
	s_xor_b32 s14, exec_lo, vcc_lo
	s_cbranch_execnz .LBB4_5597
; %bb.5223:                             ;   in Loop: Header=BB4_5018 Depth=3
	s_or_saveexec_b32 s14, s14
	v_mov_b32_e32 v161, s35
	s_xor_b32 exec_lo, exec_lo, s14
	s_cbranch_execnz .LBB4_5600
.LBB4_5224:                             ;   in Loop: Header=BB4_5018 Depth=3
	s_or_b32 exec_lo, exec_lo, s14
	s_and_saveexec_b32 s14, s15
	s_cbranch_execz .LBB4_5226
.LBB4_5225:                             ;   in Loop: Header=BB4_5018 Depth=3
	v_bfe_u32 v161, v13, 24, 3
	v_bfe_u32 v164, v13, 27, 4
	s_delay_alu instid0(VALU_DEP_2) | instskip(NEXT) | instid1(VALU_DEP_2)
	v_clz_i32_u32_e32 v162, v161
	v_cmp_eq_u32_e32 vcc_lo, 0, v164
	s_delay_alu instid0(VALU_DEP_2) | instskip(NEXT) | instid1(VALU_DEP_1)
	v_min_u32_e32 v162, 32, v162
	v_subrev_nc_u32_e32 v163, 28, v162
	v_sub_nc_u32_e32 v162, 29, v162
	s_delay_alu instid0(VALU_DEP_1) | instskip(NEXT) | instid1(VALU_DEP_1)
	v_dual_cndmask_b32 v162, v164, v162 :: v_dual_lshlrev_b32 v163, v163, v160
	v_and_b32_e32 v163, 7, v163
	s_delay_alu instid0(VALU_DEP_2) | instskip(NEXT) | instid1(VALU_DEP_2)
	v_lshl_add_u32 v162, v162, 23, 0x3b800000
	v_cndmask_b32_e32 v161, v161, v163, vcc_lo
	v_and_b32_e32 v163, 0x80000000, v13
	s_delay_alu instid0(VALU_DEP_2) | instskip(NEXT) | instid1(VALU_DEP_1)
	v_lshlrev_b32_e32 v161, 20, v161
	v_or3_b32 v161, v163, v162, v161
.LBB4_5226:                             ;   in Loop: Header=BB4_5018 Depth=3
	s_or_b32 exec_lo, exec_lo, s14
	s_mov_b32 s14, 0
	s_mov_b32 s35, exec_lo
                                        ; implicit-def: $sgpr15
	v_cmpx_lt_i16_e64 0x7f, v151
	s_xor_b32 s35, exec_lo, s35
	s_cbranch_execnz .LBB4_5601
; %bb.5227:                             ;   in Loop: Header=BB4_5018 Depth=3
	s_or_saveexec_b32 s35, s35
	v_mov_b32_e32 v162, s15
	s_xor_b32 exec_lo, exec_lo, s35
	s_cbranch_execnz .LBB4_5604
.LBB4_5228:                             ;   in Loop: Header=BB4_5018 Depth=3
	s_or_b32 exec_lo, exec_lo, s35
	s_and_saveexec_b32 s15, s14
	s_cbranch_execz .LBB4_5230
.LBB4_5229:                             ;   in Loop: Header=BB4_5018 Depth=3
	v_bfe_u32 v162, v9, 24, 3
	v_bfe_u32 v165, v9, 27, 4
	s_delay_alu instid0(VALU_DEP_2) | instskip(NEXT) | instid1(VALU_DEP_2)
	v_clz_i32_u32_e32 v163, v162
	v_cmp_eq_u32_e32 vcc_lo, 0, v165
	s_delay_alu instid0(VALU_DEP_2) | instskip(NEXT) | instid1(VALU_DEP_1)
	v_min_u32_e32 v163, 32, v163
	v_subrev_nc_u32_e32 v164, 28, v163
	v_sub_nc_u32_e32 v163, 29, v163
	s_delay_alu instid0(VALU_DEP_2) | instskip(NEXT) | instid1(VALU_DEP_1)
	v_lshlrev_b32_e32 v164, v164, v151
	v_dual_cndmask_b32 v163, v165, v163 :: v_dual_and_b32 v164, 7, v164
	s_delay_alu instid0(VALU_DEP_1) | instskip(NEXT) | instid1(VALU_DEP_2)
	v_lshl_add_u32 v163, v163, 23, 0x3b800000
	v_cndmask_b32_e32 v162, v162, v164, vcc_lo
	v_and_b32_e32 v164, 0x80000000, v9
	s_delay_alu instid0(VALU_DEP_2) | instskip(NEXT) | instid1(VALU_DEP_1)
	v_lshlrev_b32_e32 v162, 20, v162
	v_or3_b32 v162, v164, v163, v162
.LBB4_5230:                             ;   in Loop: Header=BB4_5018 Depth=3
	s_or_b32 exec_lo, exec_lo, s15
	s_delay_alu instid0(VALU_DEP_1) | instskip(SKIP_1) | instid1(VALU_DEP_1)
	v_dual_max_f32 v162, v162, v162 :: v_dual_max_f32 v161, v161, v161
	s_mov_b32 s14, 0
	v_max_f32_e32 v161, v161, v162
	s_branch .LBB4_5232
.LBB4_5231:                             ;   in Loop: Header=BB4_5018 Depth=3
	s_mov_b32 s14, -1
                                        ; implicit-def: $vgpr161
.LBB4_5232:                             ;   in Loop: Header=BB4_5018 Depth=3
	s_delay_alu instid0(SALU_CYCLE_1)
	s_and_b32 vcc_lo, exec_lo, s14
	s_cbranch_vccz .LBB4_5242
; %bb.5233:                             ;   in Loop: Header=BB4_5018 Depth=3
	s_mov_b32 s14, 0
	s_mov_b32 s35, exec_lo
                                        ; implicit-def: $sgpr15
	v_cmpx_lt_i16_e64 0x7f, v160
	s_xor_b32 s35, exec_lo, s35
	s_cbranch_execnz .LBB4_5605
; %bb.5234:                             ;   in Loop: Header=BB4_5018 Depth=3
	s_or_saveexec_b32 s35, s35
	v_mov_b32_e32 v161, s15
	s_xor_b32 exec_lo, exec_lo, s35
	s_cbranch_execnz .LBB4_5608
.LBB4_5235:                             ;   in Loop: Header=BB4_5018 Depth=3
	s_or_b32 exec_lo, exec_lo, s35
	s_and_saveexec_b32 s15, s14
	s_cbranch_execz .LBB4_5237
.LBB4_5236:                             ;   in Loop: Header=BB4_5018 Depth=3
	v_bfe_u32 v161, v13, 24, 3
	s_delay_alu instid0(VALU_DEP_1) | instskip(NEXT) | instid1(VALU_DEP_1)
	v_clz_i32_u32_e32 v162, v161
	v_min_u32_e32 v162, 32, v162
	s_delay_alu instid0(VALU_DEP_1) | instskip(SKIP_1) | instid1(VALU_DEP_2)
	v_subrev_nc_u32_e32 v163, 28, v162
	v_sub_nc_u32_e32 v162, 29, v162
	v_lshlrev_b32_e32 v160, v163, v160
	v_bfe_u32 v163, v13, 27, 4
	v_and_b32_e32 v13, 0x80000000, v13
	s_delay_alu instid0(VALU_DEP_3) | instskip(NEXT) | instid1(VALU_DEP_3)
	v_and_b32_e32 v160, 7, v160
	v_cmp_eq_u32_e32 vcc_lo, 0, v163
	v_cndmask_b32_e32 v162, v163, v162, vcc_lo
	s_delay_alu instid0(VALU_DEP_3) | instskip(NEXT) | instid1(VALU_DEP_2)
	v_cndmask_b32_e32 v160, v161, v160, vcc_lo
	v_lshl_add_u32 v161, v162, 23, 0x3b800000
	s_delay_alu instid0(VALU_DEP_2) | instskip(NEXT) | instid1(VALU_DEP_1)
	v_lshlrev_b32_e32 v160, 20, v160
	v_or3_b32 v161, v13, v161, v160
.LBB4_5237:                             ;   in Loop: Header=BB4_5018 Depth=3
	s_or_b32 exec_lo, exec_lo, s15
	s_mov_b32 s14, 0
	s_mov_b32 s35, exec_lo
                                        ; implicit-def: $sgpr15
	v_cmpx_lt_i16_e64 0x7f, v151
	s_xor_b32 s35, exec_lo, s35
	s_cbranch_execnz .LBB4_5609
; %bb.5238:                             ;   in Loop: Header=BB4_5018 Depth=3
	s_or_saveexec_b32 s35, s35
	v_mov_b32_e32 v13, s15
	s_xor_b32 exec_lo, exec_lo, s35
	s_cbranch_execnz .LBB4_5612
.LBB4_5239:                             ;   in Loop: Header=BB4_5018 Depth=3
	s_or_b32 exec_lo, exec_lo, s35
	s_and_saveexec_b32 s15, s14
	s_cbranch_execz .LBB4_5241
.LBB4_5240:                             ;   in Loop: Header=BB4_5018 Depth=3
	v_bfe_u32 v13, v9, 24, 3
	s_delay_alu instid0(VALU_DEP_1) | instskip(NEXT) | instid1(VALU_DEP_1)
	v_clz_i32_u32_e32 v160, v13
	v_min_u32_e32 v160, 32, v160
	s_delay_alu instid0(VALU_DEP_1) | instskip(SKIP_1) | instid1(VALU_DEP_2)
	v_subrev_nc_u32_e32 v162, 28, v160
	v_sub_nc_u32_e32 v160, 29, v160
	v_lshlrev_b32_e32 v151, v162, v151
	v_bfe_u32 v162, v9, 27, 4
	v_and_b32_e32 v9, 0x80000000, v9
	s_delay_alu instid0(VALU_DEP_2) | instskip(NEXT) | instid1(VALU_DEP_4)
	v_cmp_eq_u32_e32 vcc_lo, 0, v162
	v_dual_cndmask_b32 v160, v162, v160 :: v_dual_and_b32 v151, 7, v151
	s_delay_alu instid0(VALU_DEP_1) | instskip(NEXT) | instid1(VALU_DEP_2)
	v_cndmask_b32_e32 v13, v13, v151, vcc_lo
	v_lshl_add_u32 v151, v160, 23, 0x3b800000
	s_delay_alu instid0(VALU_DEP_2) | instskip(NEXT) | instid1(VALU_DEP_1)
	v_lshlrev_b32_e32 v13, 20, v13
	v_or3_b32 v13, v9, v151, v13
.LBB4_5241:                             ;   in Loop: Header=BB4_5018 Depth=3
	s_or_b32 exec_lo, exec_lo, s15
	s_delay_alu instid0(VALU_DEP_1) | instskip(SKIP_1) | instid1(VALU_DEP_1)
	v_max_f32_e32 v9, v13, v13
	v_max_f32_e32 v13, v161, v161
	v_min_f32_e32 v161, v13, v9
.LBB4_5242:                             ;   in Loop: Header=BB4_5018 Depth=3
	s_delay_alu instid0(VALU_DEP_1) | instskip(NEXT) | instid1(VALU_DEP_1)
	v_and_b32_e32 v9, 0x7f800000, v161
	v_cmp_ne_u32_e32 vcc_lo, 0x7f800000, v9
	v_mov_b32_e32 v9, 0x8000
	s_and_saveexec_b32 s15, vcc_lo
	s_cbranch_execz .LBB4_5250
; %bb.5243:                             ;   in Loop: Header=BB4_5018 Depth=3
	v_mov_b32_e32 v9, 0
	s_mov_b32 s35, exec_lo
	v_cmpx_ne_u32_e32 0, v161
	s_cbranch_execz .LBB4_5249
; %bb.5244:                             ;   in Loop: Header=BB4_5018 Depth=3
	v_bfe_u32 v9, v161, 23, 8
	v_and_b32_e32 v13, 0x7fffff, v161
	s_delay_alu instid0(VALU_DEP_2) | instskip(SKIP_1) | instid1(VALU_DEP_3)
	v_sub_nc_u32_e32 v151, 0x78, v9
	v_cmp_gt_u32_e32 vcc_lo, 0x79, v9
	v_or_b32_e32 v160, 0x800000, v13
	s_delay_alu instid0(VALU_DEP_3) | instskip(SKIP_2) | instid1(VALU_DEP_3)
	v_cndmask_b32_e32 v151, 0, v151, vcc_lo
	v_cmp_eq_u32_e32 vcc_lo, 0, v9
	v_add_nc_u32_e32 v9, 0xffffff89, v9
	v_cndmask_b32_e64 v151, v151, 0x77, vcc_lo
	v_cndmask_b32_e32 v13, v160, v13, vcc_lo
	s_delay_alu instid0(VALU_DEP_3) | instskip(NEXT) | instid1(VALU_DEP_3)
	v_cndmask_b32_e64 v9, v9, 0xffffff8a, vcc_lo
	v_lshl_add_u32 v160, 0x100000, v151, -1
	s_delay_alu instid0(VALU_DEP_3) | instskip(SKIP_1) | instid1(VALU_DEP_4)
	v_lshrrev_b32_e32 v162, v151, v13
	v_lshlrev_b32_e64 v164, v151, 0x80000
	v_add_nc_u32_e32 v151, v151, v9
	s_delay_alu instid0(VALU_DEP_4) | instskip(NEXT) | instid1(VALU_DEP_4)
	v_and_b32_e32 v13, v160, v13
	v_bfe_u32 v163, v162, 20, 1
	s_delay_alu instid0(VALU_DEP_2) | instskip(NEXT) | instid1(VALU_DEP_2)
	v_cmp_eq_u32_e64 s14, v13, v164
	v_add_nc_u32_e32 v160, -1, v163
	s_delay_alu instid0(VALU_DEP_1) | instskip(SKIP_2) | instid1(VALU_DEP_2)
	v_cndmask_b32_e64 v13, 0, v160, s14
	v_lshrrev_b32_e32 v160, 23, v162
	s_mov_b32 s14, exec_lo
	v_add_nc_u32_e32 v13, v13, v162
	s_delay_alu instid0(VALU_DEP_2) | instskip(NEXT) | instid1(VALU_DEP_2)
	v_xor_b32_e32 v160, 1, v160
	v_and_b32_e32 v9, 0xfffff, v13
	s_delay_alu instid0(VALU_DEP_1) | instskip(NEXT) | instid1(VALU_DEP_3)
	v_add_nc_u32_e32 v13, v9, v162
                                        ; implicit-def: $vgpr9
	v_cmpx_ne_u32_e64 v151, v160
	s_xor_b32 s14, exec_lo, s14
; %bb.5245:                             ;   in Loop: Header=BB4_5018 Depth=3
	s_delay_alu instid0(VALU_DEP_2) | instskip(SKIP_2) | instid1(VALU_DEP_2)
	v_cmp_lt_u32_e32 vcc_lo, 0xffffff, v13
	v_sub_nc_u32_e32 v9, v151, v160
	v_cndmask_b32_e64 v151, 0, 1, vcc_lo
	v_add_co_ci_u32_e32 v9, vcc_lo, 0, v9, vcc_lo
	s_delay_alu instid0(VALU_DEP_2)
	v_lshrrev_b32_e32 v13, v151, v13
; %bb.5246:                             ;   in Loop: Header=BB4_5018 Depth=3
	s_and_not1_saveexec_b32 s14, s14
; %bb.5247:                             ;   in Loop: Header=BB4_5018 Depth=3
	s_delay_alu instid0(VALU_DEP_1)
	v_bfe_u32 v9, v13, 23, 1
; %bb.5248:                             ;   in Loop: Header=BB4_5018 Depth=3
	s_or_b32 exec_lo, exec_lo, s14
	v_lshrrev_b32_e32 v13, 20, v13
	s_delay_alu instid0(VALU_DEP_2) | instskip(SKIP_2) | instid1(VALU_DEP_3)
	v_min_i32_e32 v151, 15, v9
	v_cmp_gt_i32_e32 vcc_lo, 16, v9
	v_lshrrev_b32_e32 v160, 24, v161
	v_lshlrev_b32_e32 v151, 3, v151
	s_delay_alu instid0(VALU_DEP_2) | instskip(NEXT) | instid1(VALU_DEP_2)
	v_dual_cndmask_b32 v13, 7, v13 :: v_dual_and_b32 v160, 0x80, v160
	v_and_b32_e32 v151, 0xf8, v151
	s_delay_alu instid0(VALU_DEP_2) | instskip(SKIP_1) | instid1(VALU_DEP_2)
	v_and_b32_e32 v161, 7, v13
	v_or_b32_e32 v9, v9, v13
	v_or3_b32 v151, v160, v151, v161
	s_delay_alu instid0(VALU_DEP_2) | instskip(NEXT) | instid1(VALU_DEP_2)
	v_cmp_ne_u32_e32 vcc_lo, 0, v9
	v_lshlrev_b32_e32 v13, 8, v151
	s_delay_alu instid0(VALU_DEP_1)
	v_cndmask_b32_e32 v9, 0, v13, vcc_lo
.LBB4_5249:                             ;   in Loop: Header=BB4_5018 Depth=3
	s_or_b32 exec_lo, exec_lo, s35
.LBB4_5250:                             ;   in Loop: Header=BB4_5018 Depth=3
	s_delay_alu instid0(SALU_CYCLE_1) | instskip(SKIP_2) | instid1(VALU_DEP_1)
	s_or_b32 exec_lo, exec_lo, s15
	v_and_b32_e32 v13, 0xff, v14
	s_and_b32 vcc_lo, exec_lo, s34
	v_cmp_lt_i16_e64 s14, 0x7f, v13
	s_cbranch_vccz .LBB4_5260
; %bb.5251:                             ;   in Loop: Header=BB4_5018 Depth=3
	s_mov_b32 s15, 0
                                        ; implicit-def: $sgpr35
	s_delay_alu instid0(VALU_DEP_1) | instskip(NEXT) | instid1(SALU_CYCLE_1)
	s_and_saveexec_b32 vcc_lo, s14
	s_xor_b32 s14, exec_lo, vcc_lo
	s_cbranch_execnz .LBB4_5613
; %bb.5252:                             ;   in Loop: Header=BB4_5018 Depth=3
	s_or_saveexec_b32 s14, s14
	v_mov_b32_e32 v151, s35
	s_xor_b32 exec_lo, exec_lo, s14
	s_cbranch_execnz .LBB4_5616
.LBB4_5253:                             ;   in Loop: Header=BB4_5018 Depth=3
	s_or_b32 exec_lo, exec_lo, s14
	s_and_saveexec_b32 s14, s15
	s_cbranch_execz .LBB4_5255
.LBB4_5254:                             ;   in Loop: Header=BB4_5018 Depth=3
	v_bfe_u32 v162, v14, 3, 4
	v_lshlrev_b32_e32 v163, 24, v14
	s_delay_alu instid0(VALU_DEP_2) | instskip(SKIP_1) | instid1(VALU_DEP_1)
	v_cmp_eq_u32_e32 vcc_lo, 0, v162
	v_and_b32_e32 v151, 7, v14
	v_clz_i32_u32_e32 v160, v151
	s_delay_alu instid0(VALU_DEP_1) | instskip(NEXT) | instid1(VALU_DEP_1)
	v_min_u32_e32 v160, 32, v160
	v_subrev_nc_u32_e32 v161, 28, v160
	v_sub_nc_u32_e32 v160, 29, v160
	s_delay_alu instid0(VALU_DEP_1) | instskip(NEXT) | instid1(VALU_DEP_1)
	v_dual_cndmask_b32 v160, v162, v160 :: v_dual_lshlrev_b32 v161, v161, v14
	v_and_b32_e32 v161, 7, v161
	s_delay_alu instid0(VALU_DEP_2) | instskip(NEXT) | instid1(VALU_DEP_2)
	v_lshl_add_u32 v160, v160, 23, 0x3b800000
	v_cndmask_b32_e32 v151, v151, v161, vcc_lo
	v_and_b32_e32 v161, 0x80000000, v163
	s_delay_alu instid0(VALU_DEP_2) | instskip(NEXT) | instid1(VALU_DEP_1)
	v_lshlrev_b32_e32 v151, 20, v151
	v_or3_b32 v151, v161, v160, v151
.LBB4_5255:                             ;   in Loop: Header=BB4_5018 Depth=3
	s_or_b32 exec_lo, exec_lo, s14
	v_and_b32_e32 v161, 0xff, v10
	s_mov_b32 s14, 0
	s_mov_b32 s35, exec_lo
                                        ; implicit-def: $sgpr15
	s_delay_alu instid0(VALU_DEP_1)
	v_cmpx_lt_i16_e64 0x7f, v161
	s_xor_b32 s35, exec_lo, s35
	s_cbranch_execnz .LBB4_5617
; %bb.5256:                             ;   in Loop: Header=BB4_5018 Depth=3
	s_or_saveexec_b32 s35, s35
	v_mov_b32_e32 v160, s15
	s_xor_b32 exec_lo, exec_lo, s35
	s_cbranch_execnz .LBB4_5620
.LBB4_5257:                             ;   in Loop: Header=BB4_5018 Depth=3
	s_or_b32 exec_lo, exec_lo, s35
	s_and_saveexec_b32 s15, s14
	s_cbranch_execz .LBB4_5259
.LBB4_5258:                             ;   in Loop: Header=BB4_5018 Depth=3
	v_bfe_u32 v163, v10, 3, 4
	v_lshlrev_b32_e32 v164, 24, v10
	s_delay_alu instid0(VALU_DEP_2) | instskip(SKIP_1) | instid1(VALU_DEP_1)
	v_cmp_eq_u32_e32 vcc_lo, 0, v163
	v_and_b32_e32 v160, 7, v10
	v_clz_i32_u32_e32 v161, v160
	s_delay_alu instid0(VALU_DEP_1) | instskip(NEXT) | instid1(VALU_DEP_1)
	v_min_u32_e32 v161, 32, v161
	v_subrev_nc_u32_e32 v162, 28, v161
	v_sub_nc_u32_e32 v161, 29, v161
	s_delay_alu instid0(VALU_DEP_1) | instskip(NEXT) | instid1(VALU_DEP_1)
	v_dual_cndmask_b32 v161, v163, v161 :: v_dual_lshlrev_b32 v162, v162, v10
	v_and_b32_e32 v162, 7, v162
	s_delay_alu instid0(VALU_DEP_2) | instskip(NEXT) | instid1(VALU_DEP_2)
	v_lshl_add_u32 v161, v161, 23, 0x3b800000
	v_cndmask_b32_e32 v160, v160, v162, vcc_lo
	v_and_b32_e32 v162, 0x80000000, v164
	s_delay_alu instid0(VALU_DEP_2) | instskip(NEXT) | instid1(VALU_DEP_1)
	v_lshlrev_b32_e32 v160, 20, v160
	v_or3_b32 v160, v162, v161, v160
.LBB4_5259:                             ;   in Loop: Header=BB4_5018 Depth=3
	s_or_b32 exec_lo, exec_lo, s15
	s_delay_alu instid0(VALU_DEP_1) | instskip(SKIP_1) | instid1(VALU_DEP_1)
	v_dual_max_f32 v160, v160, v160 :: v_dual_max_f32 v151, v151, v151
	s_mov_b32 s14, 0
	v_max_f32_e32 v151, v151, v160
	s_branch .LBB4_5261
.LBB4_5260:                             ;   in Loop: Header=BB4_5018 Depth=3
	s_mov_b32 s14, -1
                                        ; implicit-def: $vgpr151
.LBB4_5261:                             ;   in Loop: Header=BB4_5018 Depth=3
	s_delay_alu instid0(SALU_CYCLE_1)
	s_and_b32 vcc_lo, exec_lo, s14
	s_cbranch_vccz .LBB4_5271
; %bb.5262:                             ;   in Loop: Header=BB4_5018 Depth=3
	s_mov_b32 s14, 0
	s_mov_b32 s35, exec_lo
                                        ; implicit-def: $sgpr15
	v_cmpx_lt_i16_e32 0x7f, v13
	s_xor_b32 s35, exec_lo, s35
	s_cbranch_execnz .LBB4_5621
; %bb.5263:                             ;   in Loop: Header=BB4_5018 Depth=3
	s_or_saveexec_b32 s35, s35
	v_mov_b32_e32 v151, s15
	s_xor_b32 exec_lo, exec_lo, s35
	s_cbranch_execnz .LBB4_5624
.LBB4_5264:                             ;   in Loop: Header=BB4_5018 Depth=3
	s_or_b32 exec_lo, exec_lo, s35
	s_and_saveexec_b32 s15, s14
	s_cbranch_execz .LBB4_5266
.LBB4_5265:                             ;   in Loop: Header=BB4_5018 Depth=3
	v_and_b32_e32 v13, 7, v14
	v_bfe_u32 v161, v14, 3, 4
	s_delay_alu instid0(VALU_DEP_2) | instskip(NEXT) | instid1(VALU_DEP_2)
	v_clz_i32_u32_e32 v151, v13
	v_cmp_eq_u32_e32 vcc_lo, 0, v161
	s_delay_alu instid0(VALU_DEP_2) | instskip(NEXT) | instid1(VALU_DEP_1)
	v_min_u32_e32 v151, 32, v151
	v_subrev_nc_u32_e32 v160, 28, v151
	v_sub_nc_u32_e32 v151, 29, v151
	s_delay_alu instid0(VALU_DEP_1) | instskip(NEXT) | instid1(VALU_DEP_1)
	v_dual_cndmask_b32 v151, v161, v151 :: v_dual_lshlrev_b32 v160, v160, v14
	v_and_b32_e32 v160, 7, v160
	v_lshlrev_b32_e32 v162, 24, v14
	s_delay_alu instid0(VALU_DEP_3) | instskip(NEXT) | instid1(VALU_DEP_2)
	v_lshl_add_u32 v151, v151, 23, 0x3b800000
	v_dual_cndmask_b32 v13, v13, v160 :: v_dual_and_b32 v160, 0x80000000, v162
	s_delay_alu instid0(VALU_DEP_1) | instskip(NEXT) | instid1(VALU_DEP_1)
	v_lshlrev_b32_e32 v13, 20, v13
	v_or3_b32 v151, v160, v151, v13
.LBB4_5266:                             ;   in Loop: Header=BB4_5018 Depth=3
	s_or_b32 exec_lo, exec_lo, s15
	v_and_b32_e32 v160, 0xff, v10
	s_mov_b32 s14, 0
	s_mov_b32 s35, exec_lo
                                        ; implicit-def: $sgpr15
	s_delay_alu instid0(VALU_DEP_1)
	v_cmpx_lt_i16_e64 0x7f, v160
	s_xor_b32 s35, exec_lo, s35
	s_cbranch_execnz .LBB4_5625
; %bb.5267:                             ;   in Loop: Header=BB4_5018 Depth=3
	s_or_saveexec_b32 s35, s35
	v_mov_b32_e32 v13, s15
	s_xor_b32 exec_lo, exec_lo, s35
	s_cbranch_execnz .LBB4_5628
.LBB4_5268:                             ;   in Loop: Header=BB4_5018 Depth=3
	s_or_b32 exec_lo, exec_lo, s35
	s_and_saveexec_b32 s15, s14
	s_cbranch_execz .LBB4_5270
.LBB4_5269:                             ;   in Loop: Header=BB4_5018 Depth=3
	v_bfe_u32 v162, v10, 3, 4
	v_lshlrev_b32_e32 v163, 24, v10
	s_delay_alu instid0(VALU_DEP_2) | instskip(SKIP_1) | instid1(VALU_DEP_1)
	v_cmp_eq_u32_e32 vcc_lo, 0, v162
	v_and_b32_e32 v13, 7, v10
	v_clz_i32_u32_e32 v160, v13
	s_delay_alu instid0(VALU_DEP_1) | instskip(NEXT) | instid1(VALU_DEP_1)
	v_min_u32_e32 v160, 32, v160
	v_subrev_nc_u32_e32 v161, 28, v160
	v_sub_nc_u32_e32 v160, 29, v160
	s_delay_alu instid0(VALU_DEP_1) | instskip(NEXT) | instid1(VALU_DEP_1)
	v_dual_cndmask_b32 v160, v162, v160 :: v_dual_lshlrev_b32 v161, v161, v10
	v_and_b32_e32 v161, 7, v161
	s_delay_alu instid0(VALU_DEP_2) | instskip(NEXT) | instid1(VALU_DEP_2)
	v_lshl_add_u32 v160, v160, 23, 0x3b800000
	v_cndmask_b32_e32 v13, v13, v161, vcc_lo
	v_and_b32_e32 v161, 0x80000000, v163
	s_delay_alu instid0(VALU_DEP_2) | instskip(NEXT) | instid1(VALU_DEP_1)
	v_lshlrev_b32_e32 v13, 20, v13
	v_or3_b32 v13, v161, v160, v13
.LBB4_5270:                             ;   in Loop: Header=BB4_5018 Depth=3
	s_or_b32 exec_lo, exec_lo, s15
	s_delay_alu instid0(VALU_DEP_1) | instskip(SKIP_1) | instid1(VALU_DEP_1)
	v_max_f32_e32 v13, v13, v13
	v_max_f32_e32 v151, v151, v151
	v_min_f32_e32 v151, v151, v13
.LBB4_5271:                             ;   in Loop: Header=BB4_5018 Depth=3
	s_delay_alu instid0(VALU_DEP_1) | instskip(NEXT) | instid1(VALU_DEP_1)
	v_and_b32_e32 v13, 0x7f800000, v151
	v_cmp_ne_u32_e32 vcc_lo, 0x7f800000, v13
	v_mov_b32_e32 v13, 0x80
	s_and_saveexec_b32 s15, vcc_lo
	s_cbranch_execz .LBB4_5279
; %bb.5272:                             ;   in Loop: Header=BB4_5018 Depth=3
	v_mov_b32_e32 v13, 0
	s_mov_b32 s35, exec_lo
	v_cmpx_ne_u32_e32 0, v151
	s_cbranch_execz .LBB4_5278
; %bb.5273:                             ;   in Loop: Header=BB4_5018 Depth=3
	v_bfe_u32 v13, v151, 23, 8
	s_delay_alu instid0(VALU_DEP_1) | instskip(SKIP_1) | instid1(VALU_DEP_2)
	v_sub_nc_u32_e32 v161, 0x78, v13
	v_cmp_gt_u32_e32 vcc_lo, 0x79, v13
	v_dual_cndmask_b32 v161, 0, v161 :: v_dual_and_b32 v160, 0x7fffff, v151
	s_delay_alu instid0(VALU_DEP_1) | instskip(SKIP_2) | instid1(VALU_DEP_4)
	v_or_b32_e32 v162, 0x800000, v160
	v_cmp_eq_u32_e32 vcc_lo, 0, v13
	v_add_nc_u32_e32 v13, 0xffffff89, v13
	v_cndmask_b32_e64 v161, v161, 0x77, vcc_lo
	s_delay_alu instid0(VALU_DEP_4) | instskip(NEXT) | instid1(VALU_DEP_3)
	v_cndmask_b32_e32 v160, v162, v160, vcc_lo
	v_cndmask_b32_e64 v13, v13, 0xffffff8a, vcc_lo
	s_delay_alu instid0(VALU_DEP_3) | instskip(NEXT) | instid1(VALU_DEP_3)
	v_lshl_add_u32 v162, 0x100000, v161, -1
	v_lshrrev_b32_e32 v163, v161, v160
	v_lshlrev_b32_e64 v165, v161, 0x80000
	s_delay_alu instid0(VALU_DEP_4) | instskip(NEXT) | instid1(VALU_DEP_4)
	v_add_nc_u32_e32 v161, v161, v13
	v_and_b32_e32 v160, v162, v160
	s_delay_alu instid0(VALU_DEP_4) | instskip(NEXT) | instid1(VALU_DEP_2)
	v_bfe_u32 v164, v163, 20, 1
	v_cmp_eq_u32_e64 s14, v160, v165
	s_delay_alu instid0(VALU_DEP_2) | instskip(NEXT) | instid1(VALU_DEP_1)
	v_add_nc_u32_e32 v162, -1, v164
	v_cndmask_b32_e64 v160, 0, v162, s14
	v_lshrrev_b32_e32 v162, 23, v163
	s_mov_b32 s14, exec_lo
	s_delay_alu instid0(VALU_DEP_2) | instskip(NEXT) | instid1(VALU_DEP_2)
	v_add_nc_u32_e32 v160, v160, v163
	v_xor_b32_e32 v162, 1, v162
	s_delay_alu instid0(VALU_DEP_2) | instskip(NEXT) | instid1(VALU_DEP_1)
	v_and_b32_e32 v13, 0xfffff, v160
	v_add_nc_u32_e32 v160, v13, v163
                                        ; implicit-def: $vgpr13
	s_delay_alu instid0(VALU_DEP_3)
	v_cmpx_ne_u32_e64 v161, v162
	s_xor_b32 s14, exec_lo, s14
; %bb.5274:                             ;   in Loop: Header=BB4_5018 Depth=3
	s_delay_alu instid0(VALU_DEP_2) | instskip(SKIP_2) | instid1(VALU_DEP_2)
	v_cmp_lt_u32_e32 vcc_lo, 0xffffff, v160
	v_sub_nc_u32_e32 v13, v161, v162
	v_cndmask_b32_e64 v161, 0, 1, vcc_lo
	v_add_co_ci_u32_e32 v13, vcc_lo, 0, v13, vcc_lo
	s_delay_alu instid0(VALU_DEP_2)
	v_lshrrev_b32_e32 v160, v161, v160
; %bb.5275:                             ;   in Loop: Header=BB4_5018 Depth=3
	s_and_not1_saveexec_b32 s14, s14
; %bb.5276:                             ;   in Loop: Header=BB4_5018 Depth=3
	s_delay_alu instid0(VALU_DEP_1)
	v_bfe_u32 v13, v160, 23, 1
; %bb.5277:                             ;   in Loop: Header=BB4_5018 Depth=3
	s_or_b32 exec_lo, exec_lo, s14
	v_lshrrev_b32_e32 v160, 20, v160
	s_delay_alu instid0(VALU_DEP_2) | instskip(SKIP_2) | instid1(VALU_DEP_2)
	v_cmp_gt_i32_e32 vcc_lo, 16, v13
	v_lshrrev_b32_e32 v151, 24, v151
	v_min_i32_e32 v161, 15, v13
	v_dual_cndmask_b32 v160, 7, v160 :: v_dual_and_b32 v151, 0x80, v151
	s_delay_alu instid0(VALU_DEP_2) | instskip(NEXT) | instid1(VALU_DEP_2)
	v_lshlrev_b32_e32 v161, 3, v161
	v_or_b32_e32 v13, v13, v160
	s_delay_alu instid0(VALU_DEP_1) | instskip(SKIP_1) | instid1(VALU_DEP_1)
	v_cmp_ne_u32_e32 vcc_lo, 0, v13
	v_and_b32_e32 v162, 7, v160
	v_or3_b32 v151, v161, v151, v162
	s_delay_alu instid0(VALU_DEP_1)
	v_cndmask_b32_e32 v13, 0, v151, vcc_lo
.LBB4_5278:                             ;   in Loop: Header=BB4_5018 Depth=3
	s_or_b32 exec_lo, exec_lo, s35
.LBB4_5279:                             ;   in Loop: Header=BB4_5018 Depth=3
	s_delay_alu instid0(SALU_CYCLE_1) | instskip(SKIP_3) | instid1(VALU_DEP_2)
	s_or_b32 exec_lo, exec_lo, s15
	v_lshrrev_b16 v160, 8, v14
	v_lshrrev_b16 v151, 8, v10
	s_and_b32 vcc_lo, exec_lo, s34
	v_cmp_lt_i16_e64 s14, 0x7f, v160
	s_cbranch_vccz .LBB4_5289
; %bb.5280:                             ;   in Loop: Header=BB4_5018 Depth=3
	s_mov_b32 s15, 0
                                        ; implicit-def: $sgpr35
	s_delay_alu instid0(VALU_DEP_1) | instskip(NEXT) | instid1(SALU_CYCLE_1)
	s_and_saveexec_b32 vcc_lo, s14
	s_xor_b32 s14, exec_lo, vcc_lo
	s_cbranch_execnz .LBB4_5629
; %bb.5281:                             ;   in Loop: Header=BB4_5018 Depth=3
	s_or_saveexec_b32 s14, s14
	v_mov_b32_e32 v161, s35
	s_xor_b32 exec_lo, exec_lo, s14
	s_cbranch_execnz .LBB4_5632
.LBB4_5282:                             ;   in Loop: Header=BB4_5018 Depth=3
	s_or_b32 exec_lo, exec_lo, s14
	s_and_saveexec_b32 s14, s15
	s_cbranch_execz .LBB4_5284
.LBB4_5283:                             ;   in Loop: Header=BB4_5018 Depth=3
	v_and_b32_e32 v161, 0xffff, v160
	s_delay_alu instid0(VALU_DEP_1) | instskip(NEXT) | instid1(VALU_DEP_1)
	v_and_b32_e32 v162, 7, v161
	v_clz_i32_u32_e32 v163, v162
	s_delay_alu instid0(VALU_DEP_1) | instskip(NEXT) | instid1(VALU_DEP_1)
	v_min_u32_e32 v163, 32, v163
	v_subrev_nc_u32_e32 v164, 28, v163
	v_sub_nc_u32_e32 v163, 29, v163
	s_delay_alu instid0(VALU_DEP_2) | instskip(SKIP_1) | instid1(VALU_DEP_2)
	v_lshlrev_b32_e32 v164, v164, v161
	v_bfe_u32 v161, v161, 3, 4
	v_and_b32_e32 v164, 7, v164
	s_delay_alu instid0(VALU_DEP_2) | instskip(SKIP_1) | instid1(VALU_DEP_3)
	v_cmp_eq_u32_e32 vcc_lo, 0, v161
	v_cndmask_b32_e32 v161, v161, v163, vcc_lo
	v_dual_cndmask_b32 v162, v162, v164 :: v_dual_lshlrev_b32 v165, 16, v14
	s_delay_alu instid0(VALU_DEP_2) | instskip(NEXT) | instid1(VALU_DEP_2)
	v_lshl_add_u32 v161, v161, 23, 0x3b800000
	v_and_b32_e32 v163, 0x80000000, v165
	s_delay_alu instid0(VALU_DEP_3) | instskip(NEXT) | instid1(VALU_DEP_1)
	v_lshlrev_b32_e32 v162, 20, v162
	v_or3_b32 v161, v163, v161, v162
.LBB4_5284:                             ;   in Loop: Header=BB4_5018 Depth=3
	s_or_b32 exec_lo, exec_lo, s14
	s_mov_b32 s14, 0
	s_mov_b32 s35, exec_lo
                                        ; implicit-def: $sgpr15
	v_cmpx_lt_i16_e64 0x7f, v151
	s_xor_b32 s35, exec_lo, s35
	s_cbranch_execnz .LBB4_5633
; %bb.5285:                             ;   in Loop: Header=BB4_5018 Depth=3
	s_or_saveexec_b32 s35, s35
	v_mov_b32_e32 v162, s15
	s_xor_b32 exec_lo, exec_lo, s35
	s_cbranch_execnz .LBB4_5636
.LBB4_5286:                             ;   in Loop: Header=BB4_5018 Depth=3
	s_or_b32 exec_lo, exec_lo, s35
	s_and_saveexec_b32 s15, s14
	s_cbranch_execz .LBB4_5288
.LBB4_5287:                             ;   in Loop: Header=BB4_5018 Depth=3
	v_and_b32_e32 v162, 0xffff, v151
	v_lshlrev_b32_e32 v166, 16, v10
	s_delay_alu instid0(VALU_DEP_2) | instskip(NEXT) | instid1(VALU_DEP_1)
	v_and_b32_e32 v163, 7, v162
	v_clz_i32_u32_e32 v164, v163
	s_delay_alu instid0(VALU_DEP_1) | instskip(NEXT) | instid1(VALU_DEP_1)
	v_min_u32_e32 v164, 32, v164
	v_subrev_nc_u32_e32 v165, 28, v164
	v_sub_nc_u32_e32 v164, 29, v164
	s_delay_alu instid0(VALU_DEP_2) | instskip(SKIP_1) | instid1(VALU_DEP_2)
	v_lshlrev_b32_e32 v165, v165, v162
	v_bfe_u32 v162, v162, 3, 4
	v_and_b32_e32 v165, 7, v165
	s_delay_alu instid0(VALU_DEP_2) | instskip(NEXT) | instid1(VALU_DEP_2)
	v_cmp_eq_u32_e32 vcc_lo, 0, v162
	v_dual_cndmask_b32 v162, v162, v164 :: v_dual_cndmask_b32 v163, v163, v165
	v_and_b32_e32 v164, 0x80000000, v166
	s_delay_alu instid0(VALU_DEP_2) | instskip(NEXT) | instid1(VALU_DEP_3)
	v_lshl_add_u32 v162, v162, 23, 0x3b800000
	v_lshlrev_b32_e32 v163, 20, v163
	s_delay_alu instid0(VALU_DEP_1)
	v_or3_b32 v162, v164, v162, v163
.LBB4_5288:                             ;   in Loop: Header=BB4_5018 Depth=3
	s_or_b32 exec_lo, exec_lo, s15
	s_delay_alu instid0(VALU_DEP_1) | instskip(SKIP_1) | instid1(VALU_DEP_1)
	v_dual_max_f32 v162, v162, v162 :: v_dual_max_f32 v161, v161, v161
	s_mov_b32 s14, 0
	v_max_f32_e32 v161, v161, v162
	s_branch .LBB4_5290
.LBB4_5289:                             ;   in Loop: Header=BB4_5018 Depth=3
	s_mov_b32 s14, -1
                                        ; implicit-def: $vgpr161
.LBB4_5290:                             ;   in Loop: Header=BB4_5018 Depth=3
	s_delay_alu instid0(SALU_CYCLE_1)
	s_and_b32 vcc_lo, exec_lo, s14
	s_cbranch_vccz .LBB4_5300
; %bb.5291:                             ;   in Loop: Header=BB4_5018 Depth=3
	s_mov_b32 s14, 0
	s_mov_b32 s35, exec_lo
                                        ; implicit-def: $sgpr15
	v_cmpx_lt_i16_e64 0x7f, v160
	s_xor_b32 s35, exec_lo, s35
	s_cbranch_execnz .LBB4_5637
; %bb.5292:                             ;   in Loop: Header=BB4_5018 Depth=3
	s_or_saveexec_b32 s35, s35
	v_mov_b32_e32 v161, s15
	s_xor_b32 exec_lo, exec_lo, s35
	s_cbranch_execnz .LBB4_5640
.LBB4_5293:                             ;   in Loop: Header=BB4_5018 Depth=3
	s_or_b32 exec_lo, exec_lo, s35
	s_and_saveexec_b32 s15, s14
	s_cbranch_execz .LBB4_5295
.LBB4_5294:                             ;   in Loop: Header=BB4_5018 Depth=3
	v_and_b32_e32 v160, 0xffff, v160
	v_lshlrev_b32_e32 v164, 16, v14
	s_delay_alu instid0(VALU_DEP_2) | instskip(NEXT) | instid1(VALU_DEP_1)
	v_and_b32_e32 v161, 7, v160
	v_clz_i32_u32_e32 v162, v161
	s_delay_alu instid0(VALU_DEP_1) | instskip(NEXT) | instid1(VALU_DEP_1)
	v_min_u32_e32 v162, 32, v162
	v_subrev_nc_u32_e32 v163, 28, v162
	v_sub_nc_u32_e32 v162, 29, v162
	s_delay_alu instid0(VALU_DEP_2) | instskip(SKIP_1) | instid1(VALU_DEP_2)
	v_lshlrev_b32_e32 v163, v163, v160
	v_bfe_u32 v160, v160, 3, 4
	v_and_b32_e32 v163, 7, v163
	s_delay_alu instid0(VALU_DEP_2) | instskip(NEXT) | instid1(VALU_DEP_2)
	v_cmp_eq_u32_e32 vcc_lo, 0, v160
	v_dual_cndmask_b32 v160, v160, v162 :: v_dual_cndmask_b32 v161, v161, v163
	v_and_b32_e32 v162, 0x80000000, v164
	s_delay_alu instid0(VALU_DEP_2) | instskip(NEXT) | instid1(VALU_DEP_3)
	v_lshl_add_u32 v160, v160, 23, 0x3b800000
	v_lshlrev_b32_e32 v161, 20, v161
	s_delay_alu instid0(VALU_DEP_1)
	v_or3_b32 v161, v162, v160, v161
.LBB4_5295:                             ;   in Loop: Header=BB4_5018 Depth=3
	s_or_b32 exec_lo, exec_lo, s15
	s_mov_b32 s14, 0
	s_mov_b32 s35, exec_lo
                                        ; implicit-def: $sgpr15
	v_cmpx_lt_i16_e64 0x7f, v151
	s_xor_b32 s35, exec_lo, s35
	s_cbranch_execnz .LBB4_5641
; %bb.5296:                             ;   in Loop: Header=BB4_5018 Depth=3
	s_or_saveexec_b32 s35, s35
	v_mov_b32_e32 v160, s15
	s_xor_b32 exec_lo, exec_lo, s35
	s_cbranch_execnz .LBB4_5644
.LBB4_5297:                             ;   in Loop: Header=BB4_5018 Depth=3
	s_or_b32 exec_lo, exec_lo, s35
	s_and_saveexec_b32 s15, s14
	s_cbranch_execz .LBB4_5299
.LBB4_5298:                             ;   in Loop: Header=BB4_5018 Depth=3
	v_and_b32_e32 v151, 0xffff, v151
	v_lshlrev_b32_e32 v164, 16, v10
	s_delay_alu instid0(VALU_DEP_2) | instskip(NEXT) | instid1(VALU_DEP_1)
	v_and_b32_e32 v160, 7, v151
	v_clz_i32_u32_e32 v162, v160
	s_delay_alu instid0(VALU_DEP_1) | instskip(NEXT) | instid1(VALU_DEP_1)
	v_min_u32_e32 v162, 32, v162
	v_subrev_nc_u32_e32 v163, 28, v162
	v_sub_nc_u32_e32 v162, 29, v162
	s_delay_alu instid0(VALU_DEP_2) | instskip(SKIP_1) | instid1(VALU_DEP_2)
	v_lshlrev_b32_e32 v163, v163, v151
	v_bfe_u32 v151, v151, 3, 4
	v_and_b32_e32 v163, 7, v163
	s_delay_alu instid0(VALU_DEP_2) | instskip(NEXT) | instid1(VALU_DEP_2)
	v_cmp_eq_u32_e32 vcc_lo, 0, v151
	v_dual_cndmask_b32 v151, v151, v162 :: v_dual_cndmask_b32 v160, v160, v163
	v_and_b32_e32 v162, 0x80000000, v164
	s_delay_alu instid0(VALU_DEP_2) | instskip(NEXT) | instid1(VALU_DEP_3)
	v_lshl_add_u32 v151, v151, 23, 0x3b800000
	v_lshlrev_b32_e32 v160, 20, v160
	s_delay_alu instid0(VALU_DEP_1)
	v_or3_b32 v160, v162, v151, v160
.LBB4_5299:                             ;   in Loop: Header=BB4_5018 Depth=3
	s_or_b32 exec_lo, exec_lo, s15
	s_delay_alu instid0(VALU_DEP_1) | instskip(NEXT) | instid1(VALU_DEP_1)
	v_dual_max_f32 v151, v160, v160 :: v_dual_max_f32 v160, v161, v161
	v_min_f32_e32 v161, v160, v151
.LBB4_5300:                             ;   in Loop: Header=BB4_5018 Depth=3
	s_delay_alu instid0(VALU_DEP_1) | instskip(NEXT) | instid1(VALU_DEP_1)
	v_and_b32_e32 v151, 0x7f800000, v161
	v_cmp_ne_u32_e32 vcc_lo, 0x7f800000, v151
	v_mov_b32_e32 v151, 0x80
	s_and_saveexec_b32 s15, vcc_lo
	s_cbranch_execz .LBB4_5308
; %bb.5301:                             ;   in Loop: Header=BB4_5018 Depth=3
	v_mov_b32_e32 v151, 0
	s_mov_b32 s35, exec_lo
	v_cmpx_ne_u32_e32 0, v161
	s_cbranch_execz .LBB4_5307
; %bb.5302:                             ;   in Loop: Header=BB4_5018 Depth=3
	v_bfe_u32 v151, v161, 23, 8
	v_and_b32_e32 v160, 0x7fffff, v161
	s_delay_alu instid0(VALU_DEP_2) | instskip(SKIP_1) | instid1(VALU_DEP_3)
	v_sub_nc_u32_e32 v162, 0x78, v151
	v_cmp_gt_u32_e32 vcc_lo, 0x79, v151
	v_or_b32_e32 v163, 0x800000, v160
	s_delay_alu instid0(VALU_DEP_3) | instskip(SKIP_2) | instid1(VALU_DEP_3)
	v_cndmask_b32_e32 v162, 0, v162, vcc_lo
	v_cmp_eq_u32_e32 vcc_lo, 0, v151
	v_add_nc_u32_e32 v151, 0xffffff89, v151
	v_cndmask_b32_e64 v162, v162, 0x77, vcc_lo
	v_cndmask_b32_e32 v160, v163, v160, vcc_lo
	s_delay_alu instid0(VALU_DEP_3) | instskip(NEXT) | instid1(VALU_DEP_3)
	v_cndmask_b32_e64 v151, v151, 0xffffff8a, vcc_lo
	v_lshl_add_u32 v163, 0x100000, v162, -1
	s_delay_alu instid0(VALU_DEP_3) | instskip(SKIP_1) | instid1(VALU_DEP_4)
	v_lshrrev_b32_e32 v164, v162, v160
	v_lshlrev_b32_e64 v166, v162, 0x80000
	v_add_nc_u32_e32 v162, v162, v151
	s_delay_alu instid0(VALU_DEP_4) | instskip(NEXT) | instid1(VALU_DEP_4)
	v_and_b32_e32 v160, v163, v160
	v_bfe_u32 v165, v164, 20, 1
	s_delay_alu instid0(VALU_DEP_2) | instskip(NEXT) | instid1(VALU_DEP_2)
	v_cmp_eq_u32_e64 s14, v160, v166
	v_add_nc_u32_e32 v163, -1, v165
	s_delay_alu instid0(VALU_DEP_1) | instskip(SKIP_2) | instid1(VALU_DEP_2)
	v_cndmask_b32_e64 v160, 0, v163, s14
	v_lshrrev_b32_e32 v163, 23, v164
	s_mov_b32 s14, exec_lo
	v_add_nc_u32_e32 v160, v160, v164
	s_delay_alu instid0(VALU_DEP_2) | instskip(NEXT) | instid1(VALU_DEP_2)
	v_xor_b32_e32 v163, 1, v163
	v_and_b32_e32 v151, 0xfffff, v160
	s_delay_alu instid0(VALU_DEP_1) | instskip(NEXT) | instid1(VALU_DEP_3)
	v_add_nc_u32_e32 v160, v151, v164
                                        ; implicit-def: $vgpr151
	v_cmpx_ne_u32_e64 v162, v163
	s_xor_b32 s14, exec_lo, s14
; %bb.5303:                             ;   in Loop: Header=BB4_5018 Depth=3
	s_delay_alu instid0(VALU_DEP_2) | instskip(SKIP_2) | instid1(VALU_DEP_2)
	v_cmp_lt_u32_e32 vcc_lo, 0xffffff, v160
	v_sub_nc_u32_e32 v151, v162, v163
	v_cndmask_b32_e64 v162, 0, 1, vcc_lo
	v_add_co_ci_u32_e32 v151, vcc_lo, 0, v151, vcc_lo
	s_delay_alu instid0(VALU_DEP_2)
	v_lshrrev_b32_e32 v160, v162, v160
; %bb.5304:                             ;   in Loop: Header=BB4_5018 Depth=3
	s_and_not1_saveexec_b32 s14, s14
; %bb.5305:                             ;   in Loop: Header=BB4_5018 Depth=3
	s_delay_alu instid0(VALU_DEP_1)
	v_bfe_u32 v151, v160, 23, 1
; %bb.5306:                             ;   in Loop: Header=BB4_5018 Depth=3
	s_or_b32 exec_lo, exec_lo, s14
	v_lshrrev_b32_e32 v160, 20, v160
	s_delay_alu instid0(VALU_DEP_2) | instskip(SKIP_2) | instid1(VALU_DEP_2)
	v_cmp_gt_i32_e32 vcc_lo, 16, v151
	v_lshrrev_b32_e32 v161, 24, v161
	v_min_i32_e32 v162, 15, v151
	v_dual_cndmask_b32 v160, 7, v160 :: v_dual_and_b32 v161, 0x80, v161
	s_delay_alu instid0(VALU_DEP_1) | instskip(SKIP_1) | instid1(VALU_DEP_2)
	v_or_b32_e32 v151, v151, v160
	v_and_b32_e32 v163, 7, v160
	v_cmp_ne_u32_e32 vcc_lo, 0, v151
	v_lshlrev_b32_e32 v162, 3, v162
	s_delay_alu instid0(VALU_DEP_1) | instskip(NEXT) | instid1(VALU_DEP_1)
	v_or3_b32 v160, v162, v161, v163
	v_cndmask_b32_e32 v151, 0, v160, vcc_lo
.LBB4_5307:                             ;   in Loop: Header=BB4_5018 Depth=3
	s_or_b32 exec_lo, exec_lo, s35
.LBB4_5308:                             ;   in Loop: Header=BB4_5018 Depth=3
	s_delay_alu instid0(SALU_CYCLE_1) | instskip(SKIP_3) | instid1(VALU_DEP_2)
	s_or_b32 exec_lo, exec_lo, s15
	v_lshrrev_b32_e32 v161, 16, v14
	v_lshrrev_b32_e32 v160, 16, v10
	s_and_b32 vcc_lo, exec_lo, s34
	v_and_b32_e32 v162, 0xff, v161
	s_delay_alu instid0(VALU_DEP_1)
	v_cmp_lt_i16_e64 s14, 0x7f, v162
	s_cbranch_vccz .LBB4_5318
; %bb.5309:                             ;   in Loop: Header=BB4_5018 Depth=3
	s_mov_b32 s15, 0
                                        ; implicit-def: $sgpr35
	s_delay_alu instid0(VALU_DEP_1) | instskip(NEXT) | instid1(SALU_CYCLE_1)
	s_and_saveexec_b32 vcc_lo, s14
	s_xor_b32 s14, exec_lo, vcc_lo
	s_cbranch_execnz .LBB4_5645
; %bb.5310:                             ;   in Loop: Header=BB4_5018 Depth=3
	s_or_saveexec_b32 s14, s14
	v_mov_b32_e32 v163, s35
	s_xor_b32 exec_lo, exec_lo, s14
	s_cbranch_execnz .LBB4_5648
.LBB4_5311:                             ;   in Loop: Header=BB4_5018 Depth=3
	s_or_b32 exec_lo, exec_lo, s14
	s_and_saveexec_b32 s14, s15
	s_cbranch_execz .LBB4_5313
.LBB4_5312:                             ;   in Loop: Header=BB4_5018 Depth=3
	v_bfe_u32 v163, v14, 16, 3
	v_bfe_u32 v166, v14, 19, 4
	v_lshlrev_b32_e32 v167, 24, v161
	s_delay_alu instid0(VALU_DEP_3) | instskip(NEXT) | instid1(VALU_DEP_3)
	v_clz_i32_u32_e32 v164, v163
	v_cmp_eq_u32_e32 vcc_lo, 0, v166
	s_delay_alu instid0(VALU_DEP_2) | instskip(NEXT) | instid1(VALU_DEP_1)
	v_min_u32_e32 v164, 32, v164
	v_subrev_nc_u32_e32 v165, 28, v164
	v_sub_nc_u32_e32 v164, 29, v164
	s_delay_alu instid0(VALU_DEP_1) | instskip(NEXT) | instid1(VALU_DEP_1)
	v_dual_cndmask_b32 v164, v166, v164 :: v_dual_lshlrev_b32 v165, v165, v161
	v_and_b32_e32 v165, 7, v165
	s_delay_alu instid0(VALU_DEP_2) | instskip(NEXT) | instid1(VALU_DEP_2)
	v_lshl_add_u32 v164, v164, 23, 0x3b800000
	v_cndmask_b32_e32 v163, v163, v165, vcc_lo
	v_and_b32_e32 v165, 0x80000000, v167
	s_delay_alu instid0(VALU_DEP_2) | instskip(NEXT) | instid1(VALU_DEP_1)
	v_lshlrev_b32_e32 v163, 20, v163
	v_or3_b32 v163, v165, v164, v163
.LBB4_5313:                             ;   in Loop: Header=BB4_5018 Depth=3
	s_or_b32 exec_lo, exec_lo, s14
	v_and_b32_e32 v165, 0xff, v160
	s_mov_b32 s14, 0
	s_mov_b32 s35, exec_lo
                                        ; implicit-def: $sgpr15
	s_delay_alu instid0(VALU_DEP_1)
	v_cmpx_lt_i16_e64 0x7f, v165
	s_xor_b32 s35, exec_lo, s35
	s_cbranch_execnz .LBB4_5649
; %bb.5314:                             ;   in Loop: Header=BB4_5018 Depth=3
	s_or_saveexec_b32 s35, s35
	v_mov_b32_e32 v164, s15
	s_xor_b32 exec_lo, exec_lo, s35
	s_cbranch_execnz .LBB4_5652
.LBB4_5315:                             ;   in Loop: Header=BB4_5018 Depth=3
	s_or_b32 exec_lo, exec_lo, s35
	s_and_saveexec_b32 s15, s14
	s_cbranch_execz .LBB4_5317
.LBB4_5316:                             ;   in Loop: Header=BB4_5018 Depth=3
	v_bfe_u32 v164, v10, 16, 3
	v_bfe_u32 v167, v10, 19, 4
	v_lshlrev_b32_e32 v176, 24, v160
	s_delay_alu instid0(VALU_DEP_3) | instskip(NEXT) | instid1(VALU_DEP_3)
	v_clz_i32_u32_e32 v165, v164
	v_cmp_eq_u32_e32 vcc_lo, 0, v167
	s_delay_alu instid0(VALU_DEP_2) | instskip(NEXT) | instid1(VALU_DEP_1)
	v_min_u32_e32 v165, 32, v165
	v_subrev_nc_u32_e32 v166, 28, v165
	v_sub_nc_u32_e32 v165, 29, v165
	s_delay_alu instid0(VALU_DEP_1) | instskip(NEXT) | instid1(VALU_DEP_1)
	v_dual_cndmask_b32 v165, v167, v165 :: v_dual_lshlrev_b32 v166, v166, v160
	v_and_b32_e32 v166, 7, v166
	s_delay_alu instid0(VALU_DEP_2) | instskip(NEXT) | instid1(VALU_DEP_2)
	v_lshl_add_u32 v165, v165, 23, 0x3b800000
	v_cndmask_b32_e32 v164, v164, v166, vcc_lo
	v_and_b32_e32 v166, 0x80000000, v176
	s_delay_alu instid0(VALU_DEP_2) | instskip(NEXT) | instid1(VALU_DEP_1)
	v_lshlrev_b32_e32 v164, 20, v164
	v_or3_b32 v164, v166, v165, v164
.LBB4_5317:                             ;   in Loop: Header=BB4_5018 Depth=3
	s_or_b32 exec_lo, exec_lo, s15
	s_delay_alu instid0(VALU_DEP_1) | instskip(SKIP_1) | instid1(VALU_DEP_1)
	v_dual_max_f32 v164, v164, v164 :: v_dual_max_f32 v163, v163, v163
	s_mov_b32 s14, 0
	v_max_f32_e32 v163, v163, v164
	s_branch .LBB4_5319
.LBB4_5318:                             ;   in Loop: Header=BB4_5018 Depth=3
	s_mov_b32 s14, -1
                                        ; implicit-def: $vgpr163
.LBB4_5319:                             ;   in Loop: Header=BB4_5018 Depth=3
	s_delay_alu instid0(SALU_CYCLE_1)
	s_and_b32 vcc_lo, exec_lo, s14
	s_cbranch_vccz .LBB4_5329
; %bb.5320:                             ;   in Loop: Header=BB4_5018 Depth=3
	s_mov_b32 s14, 0
	s_mov_b32 s35, exec_lo
                                        ; implicit-def: $sgpr15
	v_cmpx_lt_i16_e64 0x7f, v162
	s_xor_b32 s35, exec_lo, s35
	s_cbranch_execnz .LBB4_5653
; %bb.5321:                             ;   in Loop: Header=BB4_5018 Depth=3
	s_or_saveexec_b32 s35, s35
	v_mov_b32_e32 v163, s15
	s_xor_b32 exec_lo, exec_lo, s35
	s_cbranch_execnz .LBB4_5656
.LBB4_5322:                             ;   in Loop: Header=BB4_5018 Depth=3
	s_or_b32 exec_lo, exec_lo, s35
	s_and_saveexec_b32 s15, s14
	s_cbranch_execz .LBB4_5324
.LBB4_5323:                             ;   in Loop: Header=BB4_5018 Depth=3
	v_bfe_u32 v162, v14, 16, 3
	v_bfe_u32 v165, v14, 19, 4
	s_delay_alu instid0(VALU_DEP_2) | instskip(NEXT) | instid1(VALU_DEP_2)
	v_clz_i32_u32_e32 v163, v162
	v_cmp_eq_u32_e32 vcc_lo, 0, v165
	s_delay_alu instid0(VALU_DEP_2) | instskip(NEXT) | instid1(VALU_DEP_1)
	v_min_u32_e32 v163, 32, v163
	v_subrev_nc_u32_e32 v164, 28, v163
	v_sub_nc_u32_e32 v163, 29, v163
	s_delay_alu instid0(VALU_DEP_1) | instskip(NEXT) | instid1(VALU_DEP_1)
	v_dual_cndmask_b32 v163, v165, v163 :: v_dual_lshlrev_b32 v164, v164, v161
	v_and_b32_e32 v164, 7, v164
	v_lshlrev_b32_e32 v161, 24, v161
	s_delay_alu instid0(VALU_DEP_3) | instskip(NEXT) | instid1(VALU_DEP_2)
	v_lshl_add_u32 v163, v163, 23, 0x3b800000
	v_dual_cndmask_b32 v162, v162, v164 :: v_dual_and_b32 v161, 0x80000000, v161
	s_delay_alu instid0(VALU_DEP_1) | instskip(NEXT) | instid1(VALU_DEP_1)
	v_lshlrev_b32_e32 v162, 20, v162
	v_or3_b32 v163, v161, v163, v162
.LBB4_5324:                             ;   in Loop: Header=BB4_5018 Depth=3
	s_or_b32 exec_lo, exec_lo, s15
	v_and_b32_e32 v162, 0xff, v160
	s_mov_b32 s14, 0
	s_mov_b32 s35, exec_lo
                                        ; implicit-def: $sgpr15
	s_delay_alu instid0(VALU_DEP_1)
	v_cmpx_lt_i16_e64 0x7f, v162
	s_xor_b32 s35, exec_lo, s35
	s_cbranch_execnz .LBB4_5657
; %bb.5325:                             ;   in Loop: Header=BB4_5018 Depth=3
	s_or_saveexec_b32 s35, s35
	v_mov_b32_e32 v161, s15
	s_xor_b32 exec_lo, exec_lo, s35
	s_cbranch_execnz .LBB4_5660
.LBB4_5326:                             ;   in Loop: Header=BB4_5018 Depth=3
	s_or_b32 exec_lo, exec_lo, s35
	s_and_saveexec_b32 s15, s14
	s_cbranch_execz .LBB4_5328
.LBB4_5327:                             ;   in Loop: Header=BB4_5018 Depth=3
	v_bfe_u32 v161, v10, 16, 3
	v_bfe_u32 v165, v10, 19, 4
	s_delay_alu instid0(VALU_DEP_2) | instskip(NEXT) | instid1(VALU_DEP_2)
	v_clz_i32_u32_e32 v162, v161
	v_cmp_eq_u32_e32 vcc_lo, 0, v165
	s_delay_alu instid0(VALU_DEP_2) | instskip(NEXT) | instid1(VALU_DEP_1)
	v_min_u32_e32 v162, 32, v162
	v_subrev_nc_u32_e32 v164, 28, v162
	v_sub_nc_u32_e32 v162, 29, v162
	s_delay_alu instid0(VALU_DEP_2) | instskip(SKIP_1) | instid1(VALU_DEP_2)
	v_lshlrev_b32_e32 v164, v164, v160
	v_lshlrev_b32_e32 v160, 24, v160
	v_and_b32_e32 v164, 7, v164
	s_delay_alu instid0(VALU_DEP_2) | instskip(NEXT) | instid1(VALU_DEP_2)
	v_and_b32_e32 v160, 0x80000000, v160
	v_cndmask_b32_e32 v161, v161, v164, vcc_lo
	s_delay_alu instid0(VALU_DEP_1) | instskip(NEXT) | instid1(VALU_DEP_1)
	v_dual_cndmask_b32 v162, v165, v162 :: v_dual_lshlrev_b32 v161, 20, v161
	v_lshl_add_u32 v162, v162, 23, 0x3b800000
	s_delay_alu instid0(VALU_DEP_1)
	v_or3_b32 v161, v160, v162, v161
.LBB4_5328:                             ;   in Loop: Header=BB4_5018 Depth=3
	s_or_b32 exec_lo, exec_lo, s15
	s_delay_alu instid0(VALU_DEP_1) | instskip(NEXT) | instid1(VALU_DEP_1)
	v_dual_max_f32 v160, v161, v161 :: v_dual_max_f32 v161, v163, v163
	v_min_f32_e32 v163, v161, v160
.LBB4_5329:                             ;   in Loop: Header=BB4_5018 Depth=3
	s_delay_alu instid0(VALU_DEP_1) | instskip(NEXT) | instid1(VALU_DEP_1)
	v_and_b32_e32 v160, 0x7f800000, v163
	v_cmp_ne_u32_e32 vcc_lo, 0x7f800000, v160
	v_mov_b32_e32 v160, 0x80
	s_and_saveexec_b32 s15, vcc_lo
	s_cbranch_execz .LBB4_5337
; %bb.5330:                             ;   in Loop: Header=BB4_5018 Depth=3
	v_mov_b32_e32 v160, 0
	s_mov_b32 s35, exec_lo
	v_cmpx_ne_u32_e32 0, v163
	s_cbranch_execz .LBB4_5336
; %bb.5331:                             ;   in Loop: Header=BB4_5018 Depth=3
	v_bfe_u32 v160, v163, 23, 8
	s_delay_alu instid0(VALU_DEP_1) | instskip(SKIP_1) | instid1(VALU_DEP_2)
	v_sub_nc_u32_e32 v162, 0x78, v160
	v_cmp_gt_u32_e32 vcc_lo, 0x79, v160
	v_dual_cndmask_b32 v162, 0, v162 :: v_dual_and_b32 v161, 0x7fffff, v163
	s_delay_alu instid0(VALU_DEP_1) | instskip(SKIP_2) | instid1(VALU_DEP_4)
	v_or_b32_e32 v164, 0x800000, v161
	v_cmp_eq_u32_e32 vcc_lo, 0, v160
	v_add_nc_u32_e32 v160, 0xffffff89, v160
	v_cndmask_b32_e64 v162, v162, 0x77, vcc_lo
	s_delay_alu instid0(VALU_DEP_4) | instskip(NEXT) | instid1(VALU_DEP_3)
	v_cndmask_b32_e32 v161, v164, v161, vcc_lo
	v_cndmask_b32_e64 v160, v160, 0xffffff8a, vcc_lo
	s_delay_alu instid0(VALU_DEP_3) | instskip(NEXT) | instid1(VALU_DEP_3)
	v_lshl_add_u32 v164, 0x100000, v162, -1
	v_lshrrev_b32_e32 v165, v162, v161
	v_lshlrev_b32_e64 v167, v162, 0x80000
	s_delay_alu instid0(VALU_DEP_4) | instskip(NEXT) | instid1(VALU_DEP_4)
	v_add_nc_u32_e32 v162, v162, v160
	v_and_b32_e32 v161, v164, v161
	s_delay_alu instid0(VALU_DEP_4) | instskip(NEXT) | instid1(VALU_DEP_2)
	v_bfe_u32 v166, v165, 20, 1
	v_cmp_eq_u32_e64 s14, v161, v167
	s_delay_alu instid0(VALU_DEP_2) | instskip(NEXT) | instid1(VALU_DEP_1)
	v_add_nc_u32_e32 v164, -1, v166
	v_cndmask_b32_e64 v161, 0, v164, s14
	v_lshrrev_b32_e32 v164, 23, v165
	s_mov_b32 s14, exec_lo
	s_delay_alu instid0(VALU_DEP_2) | instskip(NEXT) | instid1(VALU_DEP_2)
	v_add_nc_u32_e32 v161, v161, v165
	v_xor_b32_e32 v164, 1, v164
	s_delay_alu instid0(VALU_DEP_2) | instskip(NEXT) | instid1(VALU_DEP_1)
	v_and_b32_e32 v160, 0xfffff, v161
	v_add_nc_u32_e32 v161, v160, v165
                                        ; implicit-def: $vgpr160
	s_delay_alu instid0(VALU_DEP_3)
	v_cmpx_ne_u32_e64 v162, v164
	s_xor_b32 s14, exec_lo, s14
; %bb.5332:                             ;   in Loop: Header=BB4_5018 Depth=3
	s_delay_alu instid0(VALU_DEP_2) | instskip(SKIP_2) | instid1(VALU_DEP_2)
	v_cmp_lt_u32_e32 vcc_lo, 0xffffff, v161
	v_sub_nc_u32_e32 v160, v162, v164
	v_cndmask_b32_e64 v162, 0, 1, vcc_lo
	v_add_co_ci_u32_e32 v160, vcc_lo, 0, v160, vcc_lo
	s_delay_alu instid0(VALU_DEP_2)
	v_lshrrev_b32_e32 v161, v162, v161
; %bb.5333:                             ;   in Loop: Header=BB4_5018 Depth=3
	s_and_not1_saveexec_b32 s14, s14
; %bb.5334:                             ;   in Loop: Header=BB4_5018 Depth=3
	s_delay_alu instid0(VALU_DEP_1)
	v_bfe_u32 v160, v161, 23, 1
; %bb.5335:                             ;   in Loop: Header=BB4_5018 Depth=3
	s_or_b32 exec_lo, exec_lo, s14
	v_lshrrev_b32_e32 v161, 20, v161
	s_delay_alu instid0(VALU_DEP_2) | instskip(SKIP_2) | instid1(VALU_DEP_2)
	v_cmp_gt_i32_e32 vcc_lo, 16, v160
	v_lshrrev_b32_e32 v162, 24, v163
	v_min_i32_e32 v163, 15, v160
	v_dual_cndmask_b32 v161, 7, v161 :: v_dual_and_b32 v162, 0x80, v162
	s_delay_alu instid0(VALU_DEP_1) | instskip(SKIP_1) | instid1(VALU_DEP_2)
	v_or_b32_e32 v160, v160, v161
	v_and_b32_e32 v164, 7, v161
	v_cmp_ne_u32_e32 vcc_lo, 0, v160
	v_lshlrev_b32_e32 v163, 3, v163
	s_delay_alu instid0(VALU_DEP_1) | instskip(NEXT) | instid1(VALU_DEP_1)
	v_or3_b32 v161, v163, v162, v164
	v_cndmask_b32_e32 v160, 0, v161, vcc_lo
.LBB4_5336:                             ;   in Loop: Header=BB4_5018 Depth=3
	s_or_b32 exec_lo, exec_lo, s35
.LBB4_5337:                             ;   in Loop: Header=BB4_5018 Depth=3
	s_delay_alu instid0(SALU_CYCLE_1) | instskip(SKIP_3) | instid1(VALU_DEP_2)
	s_or_b32 exec_lo, exec_lo, s15
	v_lshrrev_b32_e32 v162, 24, v14
	v_lshrrev_b32_e32 v161, 24, v10
	s_and_b32 vcc_lo, exec_lo, s34
	v_cmp_lt_i16_e64 s14, 0x7f, v162
	s_cbranch_vccz .LBB4_5347
; %bb.5338:                             ;   in Loop: Header=BB4_5018 Depth=3
	s_mov_b32 s15, 0
                                        ; implicit-def: $sgpr35
	s_delay_alu instid0(VALU_DEP_1) | instskip(NEXT) | instid1(SALU_CYCLE_1)
	s_and_saveexec_b32 vcc_lo, s14
	s_xor_b32 s14, exec_lo, vcc_lo
	s_cbranch_execnz .LBB4_5661
; %bb.5339:                             ;   in Loop: Header=BB4_5018 Depth=3
	s_or_saveexec_b32 s14, s14
	v_mov_b32_e32 v163, s35
	s_xor_b32 exec_lo, exec_lo, s14
	s_cbranch_execnz .LBB4_5664
.LBB4_5340:                             ;   in Loop: Header=BB4_5018 Depth=3
	s_or_b32 exec_lo, exec_lo, s14
	s_and_saveexec_b32 s14, s15
	s_cbranch_execz .LBB4_5342
.LBB4_5341:                             ;   in Loop: Header=BB4_5018 Depth=3
	v_bfe_u32 v163, v14, 24, 3
	v_bfe_u32 v166, v14, 27, 4
	s_delay_alu instid0(VALU_DEP_2) | instskip(NEXT) | instid1(VALU_DEP_2)
	v_clz_i32_u32_e32 v164, v163
	v_cmp_eq_u32_e32 vcc_lo, 0, v166
	s_delay_alu instid0(VALU_DEP_2) | instskip(NEXT) | instid1(VALU_DEP_1)
	v_min_u32_e32 v164, 32, v164
	v_subrev_nc_u32_e32 v165, 28, v164
	v_sub_nc_u32_e32 v164, 29, v164
	s_delay_alu instid0(VALU_DEP_1) | instskip(NEXT) | instid1(VALU_DEP_1)
	v_dual_cndmask_b32 v164, v166, v164 :: v_dual_lshlrev_b32 v165, v165, v162
	v_and_b32_e32 v165, 7, v165
	s_delay_alu instid0(VALU_DEP_2) | instskip(NEXT) | instid1(VALU_DEP_2)
	v_lshl_add_u32 v164, v164, 23, 0x3b800000
	v_cndmask_b32_e32 v163, v163, v165, vcc_lo
	v_and_b32_e32 v165, 0x80000000, v14
	s_delay_alu instid0(VALU_DEP_2) | instskip(NEXT) | instid1(VALU_DEP_1)
	v_lshlrev_b32_e32 v163, 20, v163
	v_or3_b32 v163, v165, v164, v163
.LBB4_5342:                             ;   in Loop: Header=BB4_5018 Depth=3
	s_or_b32 exec_lo, exec_lo, s14
	s_mov_b32 s14, 0
	s_mov_b32 s35, exec_lo
                                        ; implicit-def: $sgpr15
	v_cmpx_lt_i16_e64 0x7f, v161
	s_xor_b32 s35, exec_lo, s35
	s_cbranch_execnz .LBB4_5665
; %bb.5343:                             ;   in Loop: Header=BB4_5018 Depth=3
	s_or_saveexec_b32 s35, s35
	v_mov_b32_e32 v164, s15
	s_xor_b32 exec_lo, exec_lo, s35
	s_cbranch_execnz .LBB4_5668
.LBB4_5344:                             ;   in Loop: Header=BB4_5018 Depth=3
	s_or_b32 exec_lo, exec_lo, s35
	s_and_saveexec_b32 s15, s14
	s_cbranch_execz .LBB4_5346
.LBB4_5345:                             ;   in Loop: Header=BB4_5018 Depth=3
	v_bfe_u32 v164, v10, 24, 3
	v_bfe_u32 v167, v10, 27, 4
	s_delay_alu instid0(VALU_DEP_2) | instskip(NEXT) | instid1(VALU_DEP_2)
	v_clz_i32_u32_e32 v165, v164
	v_cmp_eq_u32_e32 vcc_lo, 0, v167
	s_delay_alu instid0(VALU_DEP_2) | instskip(NEXT) | instid1(VALU_DEP_1)
	v_min_u32_e32 v165, 32, v165
	v_subrev_nc_u32_e32 v166, 28, v165
	v_sub_nc_u32_e32 v165, 29, v165
	s_delay_alu instid0(VALU_DEP_2) | instskip(NEXT) | instid1(VALU_DEP_1)
	v_lshlrev_b32_e32 v166, v166, v161
	v_dual_cndmask_b32 v165, v167, v165 :: v_dual_and_b32 v166, 7, v166
	s_delay_alu instid0(VALU_DEP_1) | instskip(NEXT) | instid1(VALU_DEP_2)
	v_lshl_add_u32 v165, v165, 23, 0x3b800000
	v_cndmask_b32_e32 v164, v164, v166, vcc_lo
	v_and_b32_e32 v166, 0x80000000, v10
	s_delay_alu instid0(VALU_DEP_2) | instskip(NEXT) | instid1(VALU_DEP_1)
	v_lshlrev_b32_e32 v164, 20, v164
	v_or3_b32 v164, v166, v165, v164
.LBB4_5346:                             ;   in Loop: Header=BB4_5018 Depth=3
	s_or_b32 exec_lo, exec_lo, s15
	s_delay_alu instid0(VALU_DEP_1) | instskip(SKIP_1) | instid1(VALU_DEP_1)
	v_dual_max_f32 v164, v164, v164 :: v_dual_max_f32 v163, v163, v163
	s_mov_b32 s14, 0
	v_max_f32_e32 v163, v163, v164
	s_branch .LBB4_5348
.LBB4_5347:                             ;   in Loop: Header=BB4_5018 Depth=3
	s_mov_b32 s14, -1
                                        ; implicit-def: $vgpr163
.LBB4_5348:                             ;   in Loop: Header=BB4_5018 Depth=3
	s_delay_alu instid0(SALU_CYCLE_1)
	s_and_b32 vcc_lo, exec_lo, s14
	s_cbranch_vccz .LBB4_5358
; %bb.5349:                             ;   in Loop: Header=BB4_5018 Depth=3
	s_mov_b32 s14, 0
	s_mov_b32 s35, exec_lo
                                        ; implicit-def: $sgpr15
	v_cmpx_lt_i16_e64 0x7f, v162
	s_xor_b32 s35, exec_lo, s35
	s_cbranch_execnz .LBB4_5669
; %bb.5350:                             ;   in Loop: Header=BB4_5018 Depth=3
	s_or_saveexec_b32 s35, s35
	v_mov_b32_e32 v163, s15
	s_xor_b32 exec_lo, exec_lo, s35
	s_cbranch_execnz .LBB4_5672
.LBB4_5351:                             ;   in Loop: Header=BB4_5018 Depth=3
	s_or_b32 exec_lo, exec_lo, s35
	s_and_saveexec_b32 s15, s14
	s_cbranch_execz .LBB4_5353
.LBB4_5352:                             ;   in Loop: Header=BB4_5018 Depth=3
	v_bfe_u32 v163, v14, 24, 3
	s_delay_alu instid0(VALU_DEP_1) | instskip(NEXT) | instid1(VALU_DEP_1)
	v_clz_i32_u32_e32 v164, v163
	v_min_u32_e32 v164, 32, v164
	s_delay_alu instid0(VALU_DEP_1) | instskip(SKIP_1) | instid1(VALU_DEP_2)
	v_subrev_nc_u32_e32 v165, 28, v164
	v_sub_nc_u32_e32 v164, 29, v164
	v_lshlrev_b32_e32 v162, v165, v162
	v_bfe_u32 v165, v14, 27, 4
	v_and_b32_e32 v14, 0x80000000, v14
	s_delay_alu instid0(VALU_DEP_3) | instskip(NEXT) | instid1(VALU_DEP_3)
	v_and_b32_e32 v162, 7, v162
	v_cmp_eq_u32_e32 vcc_lo, 0, v165
	v_cndmask_b32_e32 v164, v165, v164, vcc_lo
	s_delay_alu instid0(VALU_DEP_3) | instskip(NEXT) | instid1(VALU_DEP_2)
	v_cndmask_b32_e32 v162, v163, v162, vcc_lo
	v_lshl_add_u32 v163, v164, 23, 0x3b800000
	s_delay_alu instid0(VALU_DEP_2) | instskip(NEXT) | instid1(VALU_DEP_1)
	v_lshlrev_b32_e32 v162, 20, v162
	v_or3_b32 v163, v14, v163, v162
.LBB4_5353:                             ;   in Loop: Header=BB4_5018 Depth=3
	s_or_b32 exec_lo, exec_lo, s15
	s_mov_b32 s14, 0
	s_mov_b32 s35, exec_lo
                                        ; implicit-def: $sgpr15
	v_cmpx_lt_i16_e64 0x7f, v161
	s_xor_b32 s35, exec_lo, s35
	s_cbranch_execnz .LBB4_5673
; %bb.5354:                             ;   in Loop: Header=BB4_5018 Depth=3
	s_or_saveexec_b32 s35, s35
	v_mov_b32_e32 v14, s15
	s_xor_b32 exec_lo, exec_lo, s35
	s_cbranch_execnz .LBB4_5676
.LBB4_5355:                             ;   in Loop: Header=BB4_5018 Depth=3
	s_or_b32 exec_lo, exec_lo, s35
	s_and_saveexec_b32 s15, s14
	s_cbranch_execz .LBB4_5357
.LBB4_5356:                             ;   in Loop: Header=BB4_5018 Depth=3
	v_bfe_u32 v14, v10, 24, 3
	s_delay_alu instid0(VALU_DEP_1) | instskip(NEXT) | instid1(VALU_DEP_1)
	v_clz_i32_u32_e32 v162, v14
	v_min_u32_e32 v162, 32, v162
	s_delay_alu instid0(VALU_DEP_1) | instskip(SKIP_1) | instid1(VALU_DEP_2)
	v_subrev_nc_u32_e32 v164, 28, v162
	v_sub_nc_u32_e32 v162, 29, v162
	v_lshlrev_b32_e32 v161, v164, v161
	v_bfe_u32 v164, v10, 27, 4
	v_and_b32_e32 v10, 0x80000000, v10
	s_delay_alu instid0(VALU_DEP_2) | instskip(NEXT) | instid1(VALU_DEP_4)
	v_cmp_eq_u32_e32 vcc_lo, 0, v164
	v_dual_cndmask_b32 v162, v164, v162 :: v_dual_and_b32 v161, 7, v161
	s_delay_alu instid0(VALU_DEP_1) | instskip(NEXT) | instid1(VALU_DEP_2)
	v_cndmask_b32_e32 v14, v14, v161, vcc_lo
	v_lshl_add_u32 v161, v162, 23, 0x3b800000
	s_delay_alu instid0(VALU_DEP_2) | instskip(NEXT) | instid1(VALU_DEP_1)
	v_lshlrev_b32_e32 v14, 20, v14
	v_or3_b32 v14, v10, v161, v14
.LBB4_5357:                             ;   in Loop: Header=BB4_5018 Depth=3
	s_or_b32 exec_lo, exec_lo, s15
	s_delay_alu instid0(VALU_DEP_1) | instskip(SKIP_1) | instid1(VALU_DEP_1)
	v_max_f32_e32 v10, v14, v14
	v_max_f32_e32 v14, v163, v163
	v_min_f32_e32 v163, v14, v10
.LBB4_5358:                             ;   in Loop: Header=BB4_5018 Depth=3
	s_delay_alu instid0(VALU_DEP_1) | instskip(NEXT) | instid1(VALU_DEP_1)
	v_and_b32_e32 v10, 0x7f800000, v163
	v_cmp_ne_u32_e32 vcc_lo, 0x7f800000, v10
	v_mov_b32_e32 v10, 0x80
	s_and_saveexec_b32 s15, vcc_lo
	s_cbranch_execz .LBB4_5366
; %bb.5359:                             ;   in Loop: Header=BB4_5018 Depth=3
	v_mov_b32_e32 v10, 0
	s_mov_b32 s35, exec_lo
	v_cmpx_ne_u32_e32 0, v163
	s_cbranch_execz .LBB4_5365
; %bb.5360:                             ;   in Loop: Header=BB4_5018 Depth=3
	v_bfe_u32 v10, v163, 23, 8
	s_delay_alu instid0(VALU_DEP_1) | instskip(SKIP_1) | instid1(VALU_DEP_2)
	v_sub_nc_u32_e32 v161, 0x78, v10
	v_cmp_gt_u32_e32 vcc_lo, 0x79, v10
	v_dual_cndmask_b32 v161, 0, v161 :: v_dual_and_b32 v14, 0x7fffff, v163
	s_delay_alu instid0(VALU_DEP_1) | instskip(SKIP_2) | instid1(VALU_DEP_4)
	v_or_b32_e32 v162, 0x800000, v14
	v_cmp_eq_u32_e32 vcc_lo, 0, v10
	v_add_nc_u32_e32 v10, 0xffffff89, v10
	v_cndmask_b32_e64 v161, v161, 0x77, vcc_lo
	s_delay_alu instid0(VALU_DEP_4) | instskip(NEXT) | instid1(VALU_DEP_3)
	v_cndmask_b32_e32 v14, v162, v14, vcc_lo
	v_cndmask_b32_e64 v10, v10, 0xffffff8a, vcc_lo
	s_delay_alu instid0(VALU_DEP_3) | instskip(NEXT) | instid1(VALU_DEP_3)
	v_lshl_add_u32 v162, 0x100000, v161, -1
	v_lshrrev_b32_e32 v164, v161, v14
	v_lshlrev_b32_e64 v166, v161, 0x80000
	s_delay_alu instid0(VALU_DEP_4) | instskip(NEXT) | instid1(VALU_DEP_4)
	v_add_nc_u32_e32 v161, v161, v10
	v_and_b32_e32 v14, v162, v14
	s_delay_alu instid0(VALU_DEP_4) | instskip(NEXT) | instid1(VALU_DEP_2)
	v_bfe_u32 v165, v164, 20, 1
	v_cmp_eq_u32_e64 s14, v14, v166
	s_delay_alu instid0(VALU_DEP_2) | instskip(NEXT) | instid1(VALU_DEP_1)
	v_add_nc_u32_e32 v162, -1, v165
	v_cndmask_b32_e64 v14, 0, v162, s14
	v_lshrrev_b32_e32 v162, 23, v164
	s_mov_b32 s14, exec_lo
	s_delay_alu instid0(VALU_DEP_2) | instskip(NEXT) | instid1(VALU_DEP_2)
	v_add_nc_u32_e32 v14, v14, v164
	v_xor_b32_e32 v162, 1, v162
	s_delay_alu instid0(VALU_DEP_2) | instskip(NEXT) | instid1(VALU_DEP_1)
	v_and_b32_e32 v10, 0xfffff, v14
	v_add_nc_u32_e32 v14, v10, v164
                                        ; implicit-def: $vgpr10
	s_delay_alu instid0(VALU_DEP_3)
	v_cmpx_ne_u32_e64 v161, v162
	s_xor_b32 s14, exec_lo, s14
; %bb.5361:                             ;   in Loop: Header=BB4_5018 Depth=3
	s_delay_alu instid0(VALU_DEP_2) | instskip(SKIP_2) | instid1(VALU_DEP_2)
	v_cmp_lt_u32_e32 vcc_lo, 0xffffff, v14
	v_sub_nc_u32_e32 v10, v161, v162
	v_cndmask_b32_e64 v161, 0, 1, vcc_lo
	v_add_co_ci_u32_e32 v10, vcc_lo, 0, v10, vcc_lo
	s_delay_alu instid0(VALU_DEP_2)
	v_lshrrev_b32_e32 v14, v161, v14
; %bb.5362:                             ;   in Loop: Header=BB4_5018 Depth=3
	s_and_not1_saveexec_b32 s14, s14
; %bb.5363:                             ;   in Loop: Header=BB4_5018 Depth=3
	s_delay_alu instid0(VALU_DEP_1)
	v_bfe_u32 v10, v14, 23, 1
; %bb.5364:                             ;   in Loop: Header=BB4_5018 Depth=3
	s_or_b32 exec_lo, exec_lo, s14
	v_lshrrev_b32_e32 v14, 20, v14
	s_delay_alu instid0(VALU_DEP_2) | instskip(SKIP_2) | instid1(VALU_DEP_2)
	v_cmp_gt_i32_e32 vcc_lo, 16, v10
	v_lshrrev_b32_e32 v161, 24, v163
	v_min_i32_e32 v162, 15, v10
	v_dual_cndmask_b32 v14, 7, v14 :: v_dual_and_b32 v161, 0x80, v161
	s_delay_alu instid0(VALU_DEP_2) | instskip(NEXT) | instid1(VALU_DEP_2)
	v_lshlrev_b32_e32 v162, 3, v162
	v_and_b32_e32 v163, 7, v14
	v_or_b32_e32 v10, v10, v14
	s_delay_alu instid0(VALU_DEP_2) | instskip(NEXT) | instid1(VALU_DEP_2)
	v_or3_b32 v14, v162, v161, v163
	v_cmp_ne_u32_e32 vcc_lo, 0, v10
	s_delay_alu instid0(VALU_DEP_2)
	v_cndmask_b32_e32 v10, 0, v14, vcc_lo
.LBB4_5365:                             ;   in Loop: Header=BB4_5018 Depth=3
	s_or_b32 exec_lo, exec_lo, s35
.LBB4_5366:                             ;   in Loop: Header=BB4_5018 Depth=3
	s_delay_alu instid0(SALU_CYCLE_1) | instskip(SKIP_2) | instid1(VALU_DEP_1)
	s_or_b32 exec_lo, exec_lo, s15
	v_and_b32_e32 v14, 0xff, v15
	s_and_b32 vcc_lo, exec_lo, s34
	v_cmp_lt_i16_e64 s14, 0x7f, v14
	s_cbranch_vccz .LBB4_5376
; %bb.5367:                             ;   in Loop: Header=BB4_5018 Depth=3
	s_mov_b32 s15, 0
                                        ; implicit-def: $sgpr35
	s_delay_alu instid0(VALU_DEP_1) | instskip(NEXT) | instid1(SALU_CYCLE_1)
	s_and_saveexec_b32 vcc_lo, s14
	s_xor_b32 s14, exec_lo, vcc_lo
	s_cbranch_execnz .LBB4_5677
; %bb.5368:                             ;   in Loop: Header=BB4_5018 Depth=3
	s_or_saveexec_b32 s14, s14
	v_mov_b32_e32 v161, s35
	s_xor_b32 exec_lo, exec_lo, s14
	s_cbranch_execnz .LBB4_5680
.LBB4_5369:                             ;   in Loop: Header=BB4_5018 Depth=3
	s_or_b32 exec_lo, exec_lo, s14
	s_and_saveexec_b32 s14, s15
	s_cbranch_execz .LBB4_5371
.LBB4_5370:                             ;   in Loop: Header=BB4_5018 Depth=3
	v_bfe_u32 v164, v15, 3, 4
	v_lshlrev_b32_e32 v165, 24, v15
	s_delay_alu instid0(VALU_DEP_2) | instskip(SKIP_1) | instid1(VALU_DEP_1)
	v_cmp_eq_u32_e32 vcc_lo, 0, v164
	v_and_b32_e32 v161, 7, v15
	v_clz_i32_u32_e32 v162, v161
	s_delay_alu instid0(VALU_DEP_1) | instskip(NEXT) | instid1(VALU_DEP_1)
	v_min_u32_e32 v162, 32, v162
	v_subrev_nc_u32_e32 v163, 28, v162
	v_sub_nc_u32_e32 v162, 29, v162
	s_delay_alu instid0(VALU_DEP_1) | instskip(NEXT) | instid1(VALU_DEP_1)
	v_dual_cndmask_b32 v162, v164, v162 :: v_dual_lshlrev_b32 v163, v163, v15
	v_and_b32_e32 v163, 7, v163
	s_delay_alu instid0(VALU_DEP_2) | instskip(NEXT) | instid1(VALU_DEP_2)
	v_lshl_add_u32 v162, v162, 23, 0x3b800000
	v_cndmask_b32_e32 v161, v161, v163, vcc_lo
	v_and_b32_e32 v163, 0x80000000, v165
	s_delay_alu instid0(VALU_DEP_2) | instskip(NEXT) | instid1(VALU_DEP_1)
	v_lshlrev_b32_e32 v161, 20, v161
	v_or3_b32 v161, v163, v162, v161
.LBB4_5371:                             ;   in Loop: Header=BB4_5018 Depth=3
	s_or_b32 exec_lo, exec_lo, s14
	v_and_b32_e32 v163, 0xff, v11
	s_mov_b32 s14, 0
	s_mov_b32 s35, exec_lo
                                        ; implicit-def: $sgpr15
	s_delay_alu instid0(VALU_DEP_1)
	v_cmpx_lt_i16_e64 0x7f, v163
	s_xor_b32 s35, exec_lo, s35
	s_cbranch_execnz .LBB4_5681
; %bb.5372:                             ;   in Loop: Header=BB4_5018 Depth=3
	s_or_saveexec_b32 s35, s35
	v_mov_b32_e32 v162, s15
	s_xor_b32 exec_lo, exec_lo, s35
	s_cbranch_execnz .LBB4_5684
.LBB4_5373:                             ;   in Loop: Header=BB4_5018 Depth=3
	s_or_b32 exec_lo, exec_lo, s35
	s_and_saveexec_b32 s15, s14
	s_cbranch_execz .LBB4_5375
.LBB4_5374:                             ;   in Loop: Header=BB4_5018 Depth=3
	v_and_b32_e32 v162, 7, v11
	v_bfe_u32 v165, v11, 3, 4
	v_lshlrev_b32_e32 v166, 24, v11
	s_delay_alu instid0(VALU_DEP_3) | instskip(NEXT) | instid1(VALU_DEP_3)
	v_clz_i32_u32_e32 v163, v162
	v_cmp_eq_u32_e32 vcc_lo, 0, v165
	s_delay_alu instid0(VALU_DEP_2) | instskip(NEXT) | instid1(VALU_DEP_1)
	v_min_u32_e32 v163, 32, v163
	v_subrev_nc_u32_e32 v164, 28, v163
	v_sub_nc_u32_e32 v163, 29, v163
	s_delay_alu instid0(VALU_DEP_2) | instskip(NEXT) | instid1(VALU_DEP_1)
	v_lshlrev_b32_e32 v164, v164, v11
	v_dual_cndmask_b32 v163, v165, v163 :: v_dual_and_b32 v164, 7, v164
	s_delay_alu instid0(VALU_DEP_1) | instskip(NEXT) | instid1(VALU_DEP_2)
	v_lshl_add_u32 v163, v163, 23, 0x3b800000
	v_cndmask_b32_e32 v162, v162, v164, vcc_lo
	v_and_b32_e32 v164, 0x80000000, v166
	s_delay_alu instid0(VALU_DEP_2) | instskip(NEXT) | instid1(VALU_DEP_1)
	v_lshlrev_b32_e32 v162, 20, v162
	v_or3_b32 v162, v164, v163, v162
.LBB4_5375:                             ;   in Loop: Header=BB4_5018 Depth=3
	s_or_b32 exec_lo, exec_lo, s15
	s_delay_alu instid0(VALU_DEP_1) | instskip(SKIP_1) | instid1(VALU_DEP_1)
	v_dual_max_f32 v162, v162, v162 :: v_dual_max_f32 v161, v161, v161
	s_mov_b32 s14, 0
	v_max_f32_e32 v161, v161, v162
	s_branch .LBB4_5377
.LBB4_5376:                             ;   in Loop: Header=BB4_5018 Depth=3
	s_mov_b32 s14, -1
                                        ; implicit-def: $vgpr161
.LBB4_5377:                             ;   in Loop: Header=BB4_5018 Depth=3
	s_delay_alu instid0(SALU_CYCLE_1)
	s_and_b32 vcc_lo, exec_lo, s14
	s_cbranch_vccz .LBB4_5387
; %bb.5378:                             ;   in Loop: Header=BB4_5018 Depth=3
	s_mov_b32 s14, 0
	s_mov_b32 s35, exec_lo
                                        ; implicit-def: $sgpr15
	v_cmpx_lt_i16_e32 0x7f, v14
	s_xor_b32 s35, exec_lo, s35
	s_cbranch_execnz .LBB4_5685
; %bb.5379:                             ;   in Loop: Header=BB4_5018 Depth=3
	s_or_saveexec_b32 s35, s35
	v_mov_b32_e32 v161, s15
	s_xor_b32 exec_lo, exec_lo, s35
	s_cbranch_execnz .LBB4_5688
.LBB4_5380:                             ;   in Loop: Header=BB4_5018 Depth=3
	s_or_b32 exec_lo, exec_lo, s35
	s_and_saveexec_b32 s15, s14
	s_cbranch_execz .LBB4_5382
.LBB4_5381:                             ;   in Loop: Header=BB4_5018 Depth=3
	v_bfe_u32 v163, v15, 3, 4
	v_lshlrev_b32_e32 v164, 24, v15
	s_delay_alu instid0(VALU_DEP_2) | instskip(SKIP_1) | instid1(VALU_DEP_1)
	v_cmp_eq_u32_e32 vcc_lo, 0, v163
	v_and_b32_e32 v14, 7, v15
	v_clz_i32_u32_e32 v161, v14
	s_delay_alu instid0(VALU_DEP_1) | instskip(NEXT) | instid1(VALU_DEP_1)
	v_min_u32_e32 v161, 32, v161
	v_subrev_nc_u32_e32 v162, 28, v161
	v_sub_nc_u32_e32 v161, 29, v161
	s_delay_alu instid0(VALU_DEP_1) | instskip(NEXT) | instid1(VALU_DEP_1)
	v_dual_cndmask_b32 v161, v163, v161 :: v_dual_lshlrev_b32 v162, v162, v15
	v_and_b32_e32 v162, 7, v162
	s_delay_alu instid0(VALU_DEP_2) | instskip(NEXT) | instid1(VALU_DEP_2)
	v_lshl_add_u32 v161, v161, 23, 0x3b800000
	v_cndmask_b32_e32 v14, v14, v162, vcc_lo
	v_and_b32_e32 v162, 0x80000000, v164
	s_delay_alu instid0(VALU_DEP_2) | instskip(NEXT) | instid1(VALU_DEP_1)
	v_lshlrev_b32_e32 v14, 20, v14
	v_or3_b32 v161, v162, v161, v14
.LBB4_5382:                             ;   in Loop: Header=BB4_5018 Depth=3
	s_or_b32 exec_lo, exec_lo, s15
	v_and_b32_e32 v162, 0xff, v11
	s_mov_b32 s14, 0
	s_mov_b32 s35, exec_lo
                                        ; implicit-def: $sgpr15
	s_delay_alu instid0(VALU_DEP_1)
	v_cmpx_lt_i16_e64 0x7f, v162
	s_xor_b32 s35, exec_lo, s35
	s_cbranch_execnz .LBB4_5689
; %bb.5383:                             ;   in Loop: Header=BB4_5018 Depth=3
	s_or_saveexec_b32 s35, s35
	v_mov_b32_e32 v14, s15
	s_xor_b32 exec_lo, exec_lo, s35
	s_cbranch_execnz .LBB4_5692
.LBB4_5384:                             ;   in Loop: Header=BB4_5018 Depth=3
	s_or_b32 exec_lo, exec_lo, s35
	s_and_saveexec_b32 s15, s14
	s_cbranch_execz .LBB4_5386
.LBB4_5385:                             ;   in Loop: Header=BB4_5018 Depth=3
	v_and_b32_e32 v14, 7, v11
	v_bfe_u32 v164, v11, 3, 4
	v_lshlrev_b32_e32 v165, 24, v11
	s_delay_alu instid0(VALU_DEP_3) | instskip(NEXT) | instid1(VALU_DEP_3)
	v_clz_i32_u32_e32 v162, v14
	v_cmp_eq_u32_e32 vcc_lo, 0, v164
	s_delay_alu instid0(VALU_DEP_2) | instskip(NEXT) | instid1(VALU_DEP_1)
	v_min_u32_e32 v162, 32, v162
	v_subrev_nc_u32_e32 v163, 28, v162
	v_sub_nc_u32_e32 v162, 29, v162
	s_delay_alu instid0(VALU_DEP_1) | instskip(NEXT) | instid1(VALU_DEP_1)
	v_dual_cndmask_b32 v162, v164, v162 :: v_dual_lshlrev_b32 v163, v163, v11
	v_and_b32_e32 v163, 7, v163
	s_delay_alu instid0(VALU_DEP_2) | instskip(NEXT) | instid1(VALU_DEP_2)
	v_lshl_add_u32 v162, v162, 23, 0x3b800000
	v_dual_cndmask_b32 v14, v14, v163 :: v_dual_and_b32 v163, 0x80000000, v165
	s_delay_alu instid0(VALU_DEP_1) | instskip(NEXT) | instid1(VALU_DEP_1)
	v_lshlrev_b32_e32 v14, 20, v14
	v_or3_b32 v14, v163, v162, v14
.LBB4_5386:                             ;   in Loop: Header=BB4_5018 Depth=3
	s_or_b32 exec_lo, exec_lo, s15
	s_delay_alu instid0(VALU_DEP_1) | instskip(NEXT) | instid1(VALU_DEP_1)
	v_dual_max_f32 v14, v14, v14 :: v_dual_max_f32 v161, v161, v161
	v_min_f32_e32 v161, v161, v14
.LBB4_5387:                             ;   in Loop: Header=BB4_5018 Depth=3
	s_delay_alu instid0(VALU_DEP_1) | instskip(NEXT) | instid1(VALU_DEP_1)
	v_and_b32_e32 v14, 0x7f800000, v161
	v_cmp_ne_u32_e32 vcc_lo, 0x7f800000, v14
	v_mov_b32_e32 v14, 0x80
	s_and_saveexec_b32 s15, vcc_lo
	s_cbranch_execz .LBB4_5395
; %bb.5388:                             ;   in Loop: Header=BB4_5018 Depth=3
	v_mov_b32_e32 v14, 0
	s_mov_b32 s35, exec_lo
	v_cmpx_ne_u32_e32 0, v161
	s_cbranch_execz .LBB4_5394
; %bb.5389:                             ;   in Loop: Header=BB4_5018 Depth=3
	v_bfe_u32 v14, v161, 23, 8
	s_delay_alu instid0(VALU_DEP_1) | instskip(SKIP_1) | instid1(VALU_DEP_2)
	v_sub_nc_u32_e32 v163, 0x78, v14
	v_cmp_gt_u32_e32 vcc_lo, 0x79, v14
	v_dual_cndmask_b32 v163, 0, v163 :: v_dual_and_b32 v162, 0x7fffff, v161
	s_delay_alu instid0(VALU_DEP_1) | instskip(SKIP_2) | instid1(VALU_DEP_4)
	v_or_b32_e32 v164, 0x800000, v162
	v_cmp_eq_u32_e32 vcc_lo, 0, v14
	v_add_nc_u32_e32 v14, 0xffffff89, v14
	v_cndmask_b32_e64 v163, v163, 0x77, vcc_lo
	s_delay_alu instid0(VALU_DEP_4) | instskip(NEXT) | instid1(VALU_DEP_3)
	v_cndmask_b32_e32 v162, v164, v162, vcc_lo
	v_cndmask_b32_e64 v14, v14, 0xffffff8a, vcc_lo
	s_delay_alu instid0(VALU_DEP_3) | instskip(NEXT) | instid1(VALU_DEP_3)
	v_lshl_add_u32 v164, 0x100000, v163, -1
	v_lshrrev_b32_e32 v165, v163, v162
	v_lshlrev_b32_e64 v167, v163, 0x80000
	s_delay_alu instid0(VALU_DEP_4) | instskip(NEXT) | instid1(VALU_DEP_4)
	v_add_nc_u32_e32 v163, v163, v14
	v_and_b32_e32 v162, v164, v162
	s_delay_alu instid0(VALU_DEP_4) | instskip(NEXT) | instid1(VALU_DEP_2)
	v_bfe_u32 v166, v165, 20, 1
	v_cmp_eq_u32_e64 s14, v162, v167
	s_delay_alu instid0(VALU_DEP_2) | instskip(NEXT) | instid1(VALU_DEP_1)
	v_add_nc_u32_e32 v164, -1, v166
	v_cndmask_b32_e64 v162, 0, v164, s14
	v_lshrrev_b32_e32 v164, 23, v165
	s_mov_b32 s14, exec_lo
	s_delay_alu instid0(VALU_DEP_2) | instskip(NEXT) | instid1(VALU_DEP_2)
	v_add_nc_u32_e32 v162, v162, v165
	v_xor_b32_e32 v164, 1, v164
	s_delay_alu instid0(VALU_DEP_2) | instskip(NEXT) | instid1(VALU_DEP_1)
	v_and_b32_e32 v14, 0xfffff, v162
	v_add_nc_u32_e32 v162, v14, v165
                                        ; implicit-def: $vgpr14
	s_delay_alu instid0(VALU_DEP_3)
	v_cmpx_ne_u32_e64 v163, v164
	s_xor_b32 s14, exec_lo, s14
; %bb.5390:                             ;   in Loop: Header=BB4_5018 Depth=3
	s_delay_alu instid0(VALU_DEP_2) | instskip(SKIP_2) | instid1(VALU_DEP_2)
	v_cmp_lt_u32_e32 vcc_lo, 0xffffff, v162
	v_sub_nc_u32_e32 v14, v163, v164
	v_cndmask_b32_e64 v163, 0, 1, vcc_lo
	v_add_co_ci_u32_e32 v14, vcc_lo, 0, v14, vcc_lo
	s_delay_alu instid0(VALU_DEP_2)
	v_lshrrev_b32_e32 v162, v163, v162
; %bb.5391:                             ;   in Loop: Header=BB4_5018 Depth=3
	s_and_not1_saveexec_b32 s14, s14
; %bb.5392:                             ;   in Loop: Header=BB4_5018 Depth=3
	s_delay_alu instid0(VALU_DEP_1)
	v_bfe_u32 v14, v162, 23, 1
; %bb.5393:                             ;   in Loop: Header=BB4_5018 Depth=3
	s_or_b32 exec_lo, exec_lo, s14
	v_lshrrev_b32_e32 v162, 20, v162
	s_delay_alu instid0(VALU_DEP_2) | instskip(SKIP_2) | instid1(VALU_DEP_2)
	v_cmp_gt_i32_e32 vcc_lo, 16, v14
	v_lshrrev_b32_e32 v161, 24, v161
	v_min_i32_e32 v163, 15, v14
	v_dual_cndmask_b32 v162, 7, v162 :: v_dual_and_b32 v161, 0x80, v161
	s_delay_alu instid0(VALU_DEP_1) | instskip(SKIP_1) | instid1(VALU_DEP_2)
	v_or_b32_e32 v14, v14, v162
	v_and_b32_e32 v164, 7, v162
	v_cmp_ne_u32_e32 vcc_lo, 0, v14
	v_lshlrev_b32_e32 v163, 3, v163
	s_delay_alu instid0(VALU_DEP_1) | instskip(NEXT) | instid1(VALU_DEP_1)
	v_or3_b32 v161, v163, v161, v164
	v_cndmask_b32_e32 v14, 0, v161, vcc_lo
.LBB4_5394:                             ;   in Loop: Header=BB4_5018 Depth=3
	s_or_b32 exec_lo, exec_lo, s35
.LBB4_5395:                             ;   in Loop: Header=BB4_5018 Depth=3
	s_delay_alu instid0(SALU_CYCLE_1) | instskip(SKIP_3) | instid1(VALU_DEP_2)
	s_or_b32 exec_lo, exec_lo, s15
	v_lshrrev_b16 v162, 8, v15
	v_lshrrev_b16 v161, 8, v11
	s_and_b32 vcc_lo, exec_lo, s34
	v_cmp_lt_i16_e64 s14, 0x7f, v162
	s_cbranch_vccz .LBB4_5405
; %bb.5396:                             ;   in Loop: Header=BB4_5018 Depth=3
	s_mov_b32 s15, 0
                                        ; implicit-def: $sgpr35
	s_delay_alu instid0(VALU_DEP_1) | instskip(NEXT) | instid1(SALU_CYCLE_1)
	s_and_saveexec_b32 vcc_lo, s14
	s_xor_b32 s14, exec_lo, vcc_lo
	s_cbranch_execnz .LBB4_5693
; %bb.5397:                             ;   in Loop: Header=BB4_5018 Depth=3
	s_or_saveexec_b32 s14, s14
	v_mov_b32_e32 v163, s35
	s_xor_b32 exec_lo, exec_lo, s14
	s_cbranch_execnz .LBB4_5696
.LBB4_5398:                             ;   in Loop: Header=BB4_5018 Depth=3
	s_or_b32 exec_lo, exec_lo, s14
	s_and_saveexec_b32 s14, s15
	s_cbranch_execz .LBB4_5400
.LBB4_5399:                             ;   in Loop: Header=BB4_5018 Depth=3
	v_and_b32_e32 v163, 0xffff, v162
	s_delay_alu instid0(VALU_DEP_1) | instskip(NEXT) | instid1(VALU_DEP_1)
	v_and_b32_e32 v164, 7, v163
	v_clz_i32_u32_e32 v165, v164
	s_delay_alu instid0(VALU_DEP_1) | instskip(NEXT) | instid1(VALU_DEP_1)
	v_min_u32_e32 v165, 32, v165
	v_subrev_nc_u32_e32 v166, 28, v165
	v_sub_nc_u32_e32 v165, 29, v165
	s_delay_alu instid0(VALU_DEP_2) | instskip(SKIP_1) | instid1(VALU_DEP_2)
	v_lshlrev_b32_e32 v166, v166, v163
	v_bfe_u32 v163, v163, 3, 4
	v_and_b32_e32 v166, 7, v166
	s_delay_alu instid0(VALU_DEP_2) | instskip(SKIP_1) | instid1(VALU_DEP_3)
	v_cmp_eq_u32_e32 vcc_lo, 0, v163
	v_cndmask_b32_e32 v163, v163, v165, vcc_lo
	v_dual_cndmask_b32 v164, v164, v166 :: v_dual_lshlrev_b32 v167, 16, v15
	s_delay_alu instid0(VALU_DEP_2) | instskip(NEXT) | instid1(VALU_DEP_2)
	v_lshl_add_u32 v163, v163, 23, 0x3b800000
	v_and_b32_e32 v165, 0x80000000, v167
	s_delay_alu instid0(VALU_DEP_3) | instskip(NEXT) | instid1(VALU_DEP_1)
	v_lshlrev_b32_e32 v164, 20, v164
	v_or3_b32 v163, v165, v163, v164
.LBB4_5400:                             ;   in Loop: Header=BB4_5018 Depth=3
	s_or_b32 exec_lo, exec_lo, s14
	s_mov_b32 s14, 0
	s_mov_b32 s35, exec_lo
                                        ; implicit-def: $sgpr15
	v_cmpx_lt_i16_e64 0x7f, v161
	s_xor_b32 s35, exec_lo, s35
	s_cbranch_execnz .LBB4_5697
; %bb.5401:                             ;   in Loop: Header=BB4_5018 Depth=3
	s_or_saveexec_b32 s35, s35
	v_mov_b32_e32 v164, s15
	s_xor_b32 exec_lo, exec_lo, s35
	s_cbranch_execnz .LBB4_5700
.LBB4_5402:                             ;   in Loop: Header=BB4_5018 Depth=3
	s_or_b32 exec_lo, exec_lo, s35
	s_and_saveexec_b32 s15, s14
	s_cbranch_execz .LBB4_5404
.LBB4_5403:                             ;   in Loop: Header=BB4_5018 Depth=3
	v_and_b32_e32 v164, 0xffff, v161
	v_lshlrev_b32_e32 v176, 16, v11
	s_delay_alu instid0(VALU_DEP_2) | instskip(NEXT) | instid1(VALU_DEP_1)
	v_and_b32_e32 v165, 7, v164
	v_clz_i32_u32_e32 v166, v165
	s_delay_alu instid0(VALU_DEP_1) | instskip(NEXT) | instid1(VALU_DEP_1)
	v_min_u32_e32 v166, 32, v166
	v_subrev_nc_u32_e32 v167, 28, v166
	v_sub_nc_u32_e32 v166, 29, v166
	s_delay_alu instid0(VALU_DEP_2) | instskip(SKIP_1) | instid1(VALU_DEP_2)
	v_lshlrev_b32_e32 v167, v167, v164
	v_bfe_u32 v164, v164, 3, 4
	v_and_b32_e32 v167, 7, v167
	s_delay_alu instid0(VALU_DEP_2) | instskip(NEXT) | instid1(VALU_DEP_2)
	v_cmp_eq_u32_e32 vcc_lo, 0, v164
	v_dual_cndmask_b32 v164, v164, v166 :: v_dual_cndmask_b32 v165, v165, v167
	v_and_b32_e32 v166, 0x80000000, v176
	s_delay_alu instid0(VALU_DEP_2) | instskip(NEXT) | instid1(VALU_DEP_3)
	v_lshl_add_u32 v164, v164, 23, 0x3b800000
	v_lshlrev_b32_e32 v165, 20, v165
	s_delay_alu instid0(VALU_DEP_1)
	v_or3_b32 v164, v166, v164, v165
.LBB4_5404:                             ;   in Loop: Header=BB4_5018 Depth=3
	s_or_b32 exec_lo, exec_lo, s15
	s_delay_alu instid0(VALU_DEP_1) | instskip(SKIP_1) | instid1(VALU_DEP_1)
	v_dual_max_f32 v164, v164, v164 :: v_dual_max_f32 v163, v163, v163
	s_mov_b32 s14, 0
	v_max_f32_e32 v163, v163, v164
	s_branch .LBB4_5406
.LBB4_5405:                             ;   in Loop: Header=BB4_5018 Depth=3
	s_mov_b32 s14, -1
                                        ; implicit-def: $vgpr163
.LBB4_5406:                             ;   in Loop: Header=BB4_5018 Depth=3
	s_delay_alu instid0(SALU_CYCLE_1)
	s_and_b32 vcc_lo, exec_lo, s14
	s_cbranch_vccz .LBB4_5416
; %bb.5407:                             ;   in Loop: Header=BB4_5018 Depth=3
	s_mov_b32 s14, 0
	s_mov_b32 s35, exec_lo
                                        ; implicit-def: $sgpr15
	v_cmpx_lt_i16_e64 0x7f, v162
	s_xor_b32 s35, exec_lo, s35
	s_cbranch_execnz .LBB4_5701
; %bb.5408:                             ;   in Loop: Header=BB4_5018 Depth=3
	s_or_saveexec_b32 s35, s35
	v_mov_b32_e32 v163, s15
	s_xor_b32 exec_lo, exec_lo, s35
	s_cbranch_execnz .LBB4_5704
.LBB4_5409:                             ;   in Loop: Header=BB4_5018 Depth=3
	s_or_b32 exec_lo, exec_lo, s35
	s_and_saveexec_b32 s15, s14
	s_cbranch_execz .LBB4_5411
.LBB4_5410:                             ;   in Loop: Header=BB4_5018 Depth=3
	v_and_b32_e32 v162, 0xffff, v162
	v_lshlrev_b32_e32 v166, 16, v15
	s_delay_alu instid0(VALU_DEP_2) | instskip(NEXT) | instid1(VALU_DEP_1)
	v_and_b32_e32 v163, 7, v162
	v_clz_i32_u32_e32 v164, v163
	s_delay_alu instid0(VALU_DEP_1) | instskip(NEXT) | instid1(VALU_DEP_1)
	v_min_u32_e32 v164, 32, v164
	v_subrev_nc_u32_e32 v165, 28, v164
	v_sub_nc_u32_e32 v164, 29, v164
	s_delay_alu instid0(VALU_DEP_2) | instskip(SKIP_1) | instid1(VALU_DEP_2)
	v_lshlrev_b32_e32 v165, v165, v162
	v_bfe_u32 v162, v162, 3, 4
	v_and_b32_e32 v165, 7, v165
	s_delay_alu instid0(VALU_DEP_2) | instskip(NEXT) | instid1(VALU_DEP_2)
	v_cmp_eq_u32_e32 vcc_lo, 0, v162
	v_dual_cndmask_b32 v162, v162, v164 :: v_dual_cndmask_b32 v163, v163, v165
	v_and_b32_e32 v164, 0x80000000, v166
	s_delay_alu instid0(VALU_DEP_2) | instskip(NEXT) | instid1(VALU_DEP_3)
	v_lshl_add_u32 v162, v162, 23, 0x3b800000
	v_lshlrev_b32_e32 v163, 20, v163
	s_delay_alu instid0(VALU_DEP_1)
	v_or3_b32 v163, v164, v162, v163
.LBB4_5411:                             ;   in Loop: Header=BB4_5018 Depth=3
	s_or_b32 exec_lo, exec_lo, s15
	s_mov_b32 s14, 0
	s_mov_b32 s35, exec_lo
                                        ; implicit-def: $sgpr15
	v_cmpx_lt_i16_e64 0x7f, v161
	s_xor_b32 s35, exec_lo, s35
	s_cbranch_execnz .LBB4_5705
; %bb.5412:                             ;   in Loop: Header=BB4_5018 Depth=3
	s_or_saveexec_b32 s35, s35
	v_mov_b32_e32 v162, s15
	s_xor_b32 exec_lo, exec_lo, s35
	s_cbranch_execnz .LBB4_5708
.LBB4_5413:                             ;   in Loop: Header=BB4_5018 Depth=3
	s_or_b32 exec_lo, exec_lo, s35
	s_and_saveexec_b32 s15, s14
	s_cbranch_execz .LBB4_5415
.LBB4_5414:                             ;   in Loop: Header=BB4_5018 Depth=3
	v_and_b32_e32 v161, 0xffff, v161
	v_lshlrev_b32_e32 v166, 16, v11
	s_delay_alu instid0(VALU_DEP_2) | instskip(NEXT) | instid1(VALU_DEP_1)
	v_and_b32_e32 v162, 7, v161
	v_clz_i32_u32_e32 v164, v162
	s_delay_alu instid0(VALU_DEP_1) | instskip(NEXT) | instid1(VALU_DEP_1)
	v_min_u32_e32 v164, 32, v164
	v_subrev_nc_u32_e32 v165, 28, v164
	v_sub_nc_u32_e32 v164, 29, v164
	s_delay_alu instid0(VALU_DEP_2) | instskip(SKIP_1) | instid1(VALU_DEP_2)
	v_lshlrev_b32_e32 v165, v165, v161
	v_bfe_u32 v161, v161, 3, 4
	v_and_b32_e32 v165, 7, v165
	s_delay_alu instid0(VALU_DEP_2) | instskip(NEXT) | instid1(VALU_DEP_2)
	v_cmp_eq_u32_e32 vcc_lo, 0, v161
	v_dual_cndmask_b32 v161, v161, v164 :: v_dual_cndmask_b32 v162, v162, v165
	v_and_b32_e32 v164, 0x80000000, v166
	s_delay_alu instid0(VALU_DEP_2) | instskip(NEXT) | instid1(VALU_DEP_3)
	v_lshl_add_u32 v161, v161, 23, 0x3b800000
	v_lshlrev_b32_e32 v162, 20, v162
	s_delay_alu instid0(VALU_DEP_1)
	v_or3_b32 v162, v164, v161, v162
.LBB4_5415:                             ;   in Loop: Header=BB4_5018 Depth=3
	s_or_b32 exec_lo, exec_lo, s15
	s_delay_alu instid0(VALU_DEP_1) | instskip(NEXT) | instid1(VALU_DEP_1)
	v_dual_max_f32 v161, v162, v162 :: v_dual_max_f32 v162, v163, v163
	v_min_f32_e32 v163, v162, v161
.LBB4_5416:                             ;   in Loop: Header=BB4_5018 Depth=3
	s_delay_alu instid0(VALU_DEP_1) | instskip(NEXT) | instid1(VALU_DEP_1)
	v_and_b32_e32 v161, 0x7f800000, v163
	v_cmp_ne_u32_e32 vcc_lo, 0x7f800000, v161
	v_mov_b32_e32 v161, 0x80
	s_and_saveexec_b32 s15, vcc_lo
	s_cbranch_execz .LBB4_5424
; %bb.5417:                             ;   in Loop: Header=BB4_5018 Depth=3
	v_mov_b32_e32 v161, 0
	s_mov_b32 s35, exec_lo
	v_cmpx_ne_u32_e32 0, v163
	s_cbranch_execz .LBB4_5423
; %bb.5418:                             ;   in Loop: Header=BB4_5018 Depth=3
	v_bfe_u32 v161, v163, 23, 8
	v_and_b32_e32 v162, 0x7fffff, v163
	s_delay_alu instid0(VALU_DEP_2) | instskip(SKIP_1) | instid1(VALU_DEP_3)
	v_sub_nc_u32_e32 v164, 0x78, v161
	v_cmp_gt_u32_e32 vcc_lo, 0x79, v161
	v_or_b32_e32 v165, 0x800000, v162
	s_delay_alu instid0(VALU_DEP_3) | instskip(SKIP_2) | instid1(VALU_DEP_3)
	v_cndmask_b32_e32 v164, 0, v164, vcc_lo
	v_cmp_eq_u32_e32 vcc_lo, 0, v161
	v_add_nc_u32_e32 v161, 0xffffff89, v161
	v_cndmask_b32_e64 v164, v164, 0x77, vcc_lo
	v_cndmask_b32_e32 v162, v165, v162, vcc_lo
	s_delay_alu instid0(VALU_DEP_3) | instskip(NEXT) | instid1(VALU_DEP_3)
	v_cndmask_b32_e64 v161, v161, 0xffffff8a, vcc_lo
	v_lshl_add_u32 v165, 0x100000, v164, -1
	s_delay_alu instid0(VALU_DEP_3) | instskip(SKIP_1) | instid1(VALU_DEP_4)
	v_lshrrev_b32_e32 v166, v164, v162
	v_lshlrev_b32_e64 v176, v164, 0x80000
	v_add_nc_u32_e32 v164, v164, v161
	s_delay_alu instid0(VALU_DEP_4) | instskip(NEXT) | instid1(VALU_DEP_4)
	v_and_b32_e32 v162, v165, v162
	v_bfe_u32 v167, v166, 20, 1
	s_delay_alu instid0(VALU_DEP_2) | instskip(NEXT) | instid1(VALU_DEP_2)
	v_cmp_eq_u32_e64 s14, v162, v176
	v_add_nc_u32_e32 v165, -1, v167
	s_delay_alu instid0(VALU_DEP_1) | instskip(SKIP_2) | instid1(VALU_DEP_2)
	v_cndmask_b32_e64 v162, 0, v165, s14
	v_lshrrev_b32_e32 v165, 23, v166
	s_mov_b32 s14, exec_lo
	v_add_nc_u32_e32 v162, v162, v166
	s_delay_alu instid0(VALU_DEP_2) | instskip(NEXT) | instid1(VALU_DEP_2)
	v_xor_b32_e32 v165, 1, v165
	v_and_b32_e32 v161, 0xfffff, v162
	s_delay_alu instid0(VALU_DEP_1) | instskip(NEXT) | instid1(VALU_DEP_3)
	v_add_nc_u32_e32 v162, v161, v166
                                        ; implicit-def: $vgpr161
	v_cmpx_ne_u32_e64 v164, v165
	s_xor_b32 s14, exec_lo, s14
; %bb.5419:                             ;   in Loop: Header=BB4_5018 Depth=3
	s_delay_alu instid0(VALU_DEP_2) | instskip(SKIP_2) | instid1(VALU_DEP_2)
	v_cmp_lt_u32_e32 vcc_lo, 0xffffff, v162
	v_sub_nc_u32_e32 v161, v164, v165
	v_cndmask_b32_e64 v164, 0, 1, vcc_lo
	v_add_co_ci_u32_e32 v161, vcc_lo, 0, v161, vcc_lo
	s_delay_alu instid0(VALU_DEP_2)
	v_lshrrev_b32_e32 v162, v164, v162
; %bb.5420:                             ;   in Loop: Header=BB4_5018 Depth=3
	s_and_not1_saveexec_b32 s14, s14
; %bb.5421:                             ;   in Loop: Header=BB4_5018 Depth=3
	s_delay_alu instid0(VALU_DEP_1)
	v_bfe_u32 v161, v162, 23, 1
; %bb.5422:                             ;   in Loop: Header=BB4_5018 Depth=3
	s_or_b32 exec_lo, exec_lo, s14
	v_lshrrev_b32_e32 v162, 20, v162
	s_delay_alu instid0(VALU_DEP_2) | instskip(SKIP_2) | instid1(VALU_DEP_2)
	v_cmp_gt_i32_e32 vcc_lo, 16, v161
	v_lshrrev_b32_e32 v163, 24, v163
	v_min_i32_e32 v164, 15, v161
	v_dual_cndmask_b32 v162, 7, v162 :: v_dual_and_b32 v163, 0x80, v163
	s_delay_alu instid0(VALU_DEP_1) | instskip(SKIP_1) | instid1(VALU_DEP_2)
	v_or_b32_e32 v161, v161, v162
	v_and_b32_e32 v165, 7, v162
	v_cmp_ne_u32_e32 vcc_lo, 0, v161
	v_lshlrev_b32_e32 v164, 3, v164
	s_delay_alu instid0(VALU_DEP_1) | instskip(NEXT) | instid1(VALU_DEP_1)
	v_or3_b32 v162, v164, v163, v165
	v_cndmask_b32_e32 v161, 0, v162, vcc_lo
.LBB4_5423:                             ;   in Loop: Header=BB4_5018 Depth=3
	s_or_b32 exec_lo, exec_lo, s35
.LBB4_5424:                             ;   in Loop: Header=BB4_5018 Depth=3
	s_delay_alu instid0(SALU_CYCLE_1) | instskip(SKIP_3) | instid1(VALU_DEP_2)
	s_or_b32 exec_lo, exec_lo, s15
	v_lshrrev_b32_e32 v163, 16, v15
	v_lshrrev_b32_e32 v162, 16, v11
	s_and_b32 vcc_lo, exec_lo, s34
	v_and_b32_e32 v164, 0xff, v163
	s_delay_alu instid0(VALU_DEP_1)
	v_cmp_lt_i16_e64 s14, 0x7f, v164
	s_cbranch_vccz .LBB4_5434
; %bb.5425:                             ;   in Loop: Header=BB4_5018 Depth=3
	s_mov_b32 s15, 0
                                        ; implicit-def: $sgpr35
	s_delay_alu instid0(VALU_DEP_1) | instskip(NEXT) | instid1(SALU_CYCLE_1)
	s_and_saveexec_b32 vcc_lo, s14
	s_xor_b32 s14, exec_lo, vcc_lo
	s_cbranch_execnz .LBB4_5709
; %bb.5426:                             ;   in Loop: Header=BB4_5018 Depth=3
	s_or_saveexec_b32 s14, s14
	v_mov_b32_e32 v165, s35
	s_xor_b32 exec_lo, exec_lo, s14
	s_cbranch_execnz .LBB4_5712
.LBB4_5427:                             ;   in Loop: Header=BB4_5018 Depth=3
	s_or_b32 exec_lo, exec_lo, s14
	s_and_saveexec_b32 s14, s15
	s_cbranch_execz .LBB4_5429
.LBB4_5428:                             ;   in Loop: Header=BB4_5018 Depth=3
	v_bfe_u32 v165, v15, 16, 3
	v_bfe_u32 v176, v15, 19, 4
	v_lshlrev_b32_e32 v177, 24, v163
	s_delay_alu instid0(VALU_DEP_3) | instskip(NEXT) | instid1(VALU_DEP_3)
	v_clz_i32_u32_e32 v166, v165
	v_cmp_eq_u32_e32 vcc_lo, 0, v176
	s_delay_alu instid0(VALU_DEP_2) | instskip(NEXT) | instid1(VALU_DEP_1)
	v_min_u32_e32 v166, 32, v166
	v_subrev_nc_u32_e32 v167, 28, v166
	v_sub_nc_u32_e32 v166, 29, v166
	s_delay_alu instid0(VALU_DEP_1) | instskip(NEXT) | instid1(VALU_DEP_1)
	v_dual_cndmask_b32 v166, v176, v166 :: v_dual_lshlrev_b32 v167, v167, v163
	v_and_b32_e32 v167, 7, v167
	s_delay_alu instid0(VALU_DEP_2) | instskip(NEXT) | instid1(VALU_DEP_2)
	v_lshl_add_u32 v166, v166, 23, 0x3b800000
	v_cndmask_b32_e32 v165, v165, v167, vcc_lo
	v_and_b32_e32 v167, 0x80000000, v177
	s_delay_alu instid0(VALU_DEP_2) | instskip(NEXT) | instid1(VALU_DEP_1)
	v_lshlrev_b32_e32 v165, 20, v165
	v_or3_b32 v165, v167, v166, v165
.LBB4_5429:                             ;   in Loop: Header=BB4_5018 Depth=3
	s_or_b32 exec_lo, exec_lo, s14
	v_and_b32_e32 v167, 0xff, v162
	s_mov_b32 s14, 0
	s_mov_b32 s35, exec_lo
                                        ; implicit-def: $sgpr15
	s_delay_alu instid0(VALU_DEP_1)
	v_cmpx_lt_i16_e64 0x7f, v167
	s_xor_b32 s35, exec_lo, s35
	s_cbranch_execnz .LBB4_5713
; %bb.5430:                             ;   in Loop: Header=BB4_5018 Depth=3
	s_or_saveexec_b32 s35, s35
	v_mov_b32_e32 v166, s15
	s_xor_b32 exec_lo, exec_lo, s35
	s_cbranch_execnz .LBB4_5716
.LBB4_5431:                             ;   in Loop: Header=BB4_5018 Depth=3
	s_or_b32 exec_lo, exec_lo, s35
	s_and_saveexec_b32 s15, s14
	s_cbranch_execz .LBB4_5433
.LBB4_5432:                             ;   in Loop: Header=BB4_5018 Depth=3
	v_bfe_u32 v166, v11, 16, 3
	v_bfe_u32 v177, v11, 19, 4
	v_lshlrev_b32_e32 v178, 24, v162
	s_delay_alu instid0(VALU_DEP_3) | instskip(NEXT) | instid1(VALU_DEP_3)
	v_clz_i32_u32_e32 v167, v166
	v_cmp_eq_u32_e32 vcc_lo, 0, v177
	s_delay_alu instid0(VALU_DEP_2) | instskip(NEXT) | instid1(VALU_DEP_1)
	v_min_u32_e32 v167, 32, v167
	v_subrev_nc_u32_e32 v176, 28, v167
	v_sub_nc_u32_e32 v167, 29, v167
	s_delay_alu instid0(VALU_DEP_1) | instskip(NEXT) | instid1(VALU_DEP_1)
	v_dual_cndmask_b32 v167, v177, v167 :: v_dual_lshlrev_b32 v176, v176, v162
	v_and_b32_e32 v176, 7, v176
	s_delay_alu instid0(VALU_DEP_2) | instskip(NEXT) | instid1(VALU_DEP_2)
	v_lshl_add_u32 v167, v167, 23, 0x3b800000
	v_cndmask_b32_e32 v166, v166, v176, vcc_lo
	v_and_b32_e32 v176, 0x80000000, v178
	s_delay_alu instid0(VALU_DEP_2) | instskip(NEXT) | instid1(VALU_DEP_1)
	v_lshlrev_b32_e32 v166, 20, v166
	v_or3_b32 v166, v176, v167, v166
.LBB4_5433:                             ;   in Loop: Header=BB4_5018 Depth=3
	s_or_b32 exec_lo, exec_lo, s15
	s_delay_alu instid0(VALU_DEP_1) | instskip(SKIP_1) | instid1(VALU_DEP_1)
	v_dual_max_f32 v166, v166, v166 :: v_dual_max_f32 v165, v165, v165
	s_mov_b32 s14, 0
	v_max_f32_e32 v165, v165, v166
	s_branch .LBB4_5435
.LBB4_5434:                             ;   in Loop: Header=BB4_5018 Depth=3
	s_mov_b32 s14, -1
                                        ; implicit-def: $vgpr165
.LBB4_5435:                             ;   in Loop: Header=BB4_5018 Depth=3
	s_delay_alu instid0(SALU_CYCLE_1)
	s_and_b32 vcc_lo, exec_lo, s14
	s_cbranch_vccz .LBB4_5445
; %bb.5436:                             ;   in Loop: Header=BB4_5018 Depth=3
	s_mov_b32 s14, 0
	s_mov_b32 s35, exec_lo
                                        ; implicit-def: $sgpr15
	v_cmpx_lt_i16_e64 0x7f, v164
	s_xor_b32 s35, exec_lo, s35
	s_cbranch_execnz .LBB4_5717
; %bb.5437:                             ;   in Loop: Header=BB4_5018 Depth=3
	s_or_saveexec_b32 s35, s35
	v_mov_b32_e32 v165, s15
	s_xor_b32 exec_lo, exec_lo, s35
	s_cbranch_execnz .LBB4_5720
.LBB4_5438:                             ;   in Loop: Header=BB4_5018 Depth=3
	s_or_b32 exec_lo, exec_lo, s35
	s_and_saveexec_b32 s15, s14
	s_cbranch_execz .LBB4_5440
.LBB4_5439:                             ;   in Loop: Header=BB4_5018 Depth=3
	v_bfe_u32 v164, v15, 16, 3
	v_bfe_u32 v167, v15, 19, 4
	s_delay_alu instid0(VALU_DEP_2) | instskip(NEXT) | instid1(VALU_DEP_2)
	v_clz_i32_u32_e32 v165, v164
	v_cmp_eq_u32_e32 vcc_lo, 0, v167
	s_delay_alu instid0(VALU_DEP_2) | instskip(NEXT) | instid1(VALU_DEP_1)
	v_min_u32_e32 v165, 32, v165
	v_subrev_nc_u32_e32 v166, 28, v165
	v_sub_nc_u32_e32 v165, 29, v165
	s_delay_alu instid0(VALU_DEP_1) | instskip(NEXT) | instid1(VALU_DEP_1)
	v_dual_cndmask_b32 v165, v167, v165 :: v_dual_lshlrev_b32 v166, v166, v163
	v_and_b32_e32 v166, 7, v166
	v_lshlrev_b32_e32 v163, 24, v163
	s_delay_alu instid0(VALU_DEP_3) | instskip(NEXT) | instid1(VALU_DEP_2)
	v_lshl_add_u32 v165, v165, 23, 0x3b800000
	v_dual_cndmask_b32 v164, v164, v166 :: v_dual_and_b32 v163, 0x80000000, v163
	s_delay_alu instid0(VALU_DEP_1) | instskip(NEXT) | instid1(VALU_DEP_1)
	v_lshlrev_b32_e32 v164, 20, v164
	v_or3_b32 v165, v163, v165, v164
.LBB4_5440:                             ;   in Loop: Header=BB4_5018 Depth=3
	s_or_b32 exec_lo, exec_lo, s15
	v_and_b32_e32 v164, 0xff, v162
	s_mov_b32 s14, 0
	s_mov_b32 s35, exec_lo
                                        ; implicit-def: $sgpr15
	s_delay_alu instid0(VALU_DEP_1)
	v_cmpx_lt_i16_e64 0x7f, v164
	s_xor_b32 s35, exec_lo, s35
	s_cbranch_execnz .LBB4_5721
; %bb.5441:                             ;   in Loop: Header=BB4_5018 Depth=3
	s_or_saveexec_b32 s35, s35
	v_mov_b32_e32 v163, s15
	s_xor_b32 exec_lo, exec_lo, s35
	s_cbranch_execnz .LBB4_5724
.LBB4_5442:                             ;   in Loop: Header=BB4_5018 Depth=3
	s_or_b32 exec_lo, exec_lo, s35
	s_and_saveexec_b32 s15, s14
	s_cbranch_execz .LBB4_5444
.LBB4_5443:                             ;   in Loop: Header=BB4_5018 Depth=3
	v_bfe_u32 v163, v11, 16, 3
	v_bfe_u32 v167, v11, 19, 4
	s_delay_alu instid0(VALU_DEP_2) | instskip(NEXT) | instid1(VALU_DEP_2)
	v_clz_i32_u32_e32 v164, v163
	v_cmp_eq_u32_e32 vcc_lo, 0, v167
	s_delay_alu instid0(VALU_DEP_2) | instskip(NEXT) | instid1(VALU_DEP_1)
	v_min_u32_e32 v164, 32, v164
	v_subrev_nc_u32_e32 v166, 28, v164
	v_sub_nc_u32_e32 v164, 29, v164
	s_delay_alu instid0(VALU_DEP_2) | instskip(SKIP_1) | instid1(VALU_DEP_2)
	v_lshlrev_b32_e32 v166, v166, v162
	v_lshlrev_b32_e32 v162, 24, v162
	v_and_b32_e32 v166, 7, v166
	s_delay_alu instid0(VALU_DEP_2) | instskip(NEXT) | instid1(VALU_DEP_2)
	v_and_b32_e32 v162, 0x80000000, v162
	v_cndmask_b32_e32 v163, v163, v166, vcc_lo
	s_delay_alu instid0(VALU_DEP_1) | instskip(NEXT) | instid1(VALU_DEP_1)
	v_dual_cndmask_b32 v164, v167, v164 :: v_dual_lshlrev_b32 v163, 20, v163
	v_lshl_add_u32 v164, v164, 23, 0x3b800000
	s_delay_alu instid0(VALU_DEP_1)
	v_or3_b32 v163, v162, v164, v163
.LBB4_5444:                             ;   in Loop: Header=BB4_5018 Depth=3
	s_or_b32 exec_lo, exec_lo, s15
	s_delay_alu instid0(VALU_DEP_1) | instskip(NEXT) | instid1(VALU_DEP_1)
	v_dual_max_f32 v162, v163, v163 :: v_dual_max_f32 v163, v165, v165
	v_min_f32_e32 v165, v163, v162
.LBB4_5445:                             ;   in Loop: Header=BB4_5018 Depth=3
	s_delay_alu instid0(VALU_DEP_1) | instskip(NEXT) | instid1(VALU_DEP_1)
	v_and_b32_e32 v162, 0x7f800000, v165
	v_cmp_ne_u32_e32 vcc_lo, 0x7f800000, v162
	v_mov_b32_e32 v162, 0x80
	s_and_saveexec_b32 s15, vcc_lo
	s_cbranch_execz .LBB4_5453
; %bb.5446:                             ;   in Loop: Header=BB4_5018 Depth=3
	v_mov_b32_e32 v162, 0
	s_mov_b32 s35, exec_lo
	v_cmpx_ne_u32_e32 0, v165
	s_cbranch_execz .LBB4_5452
; %bb.5447:                             ;   in Loop: Header=BB4_5018 Depth=3
	v_bfe_u32 v162, v165, 23, 8
	s_delay_alu instid0(VALU_DEP_1) | instskip(SKIP_1) | instid1(VALU_DEP_2)
	v_sub_nc_u32_e32 v164, 0x78, v162
	v_cmp_gt_u32_e32 vcc_lo, 0x79, v162
	v_dual_cndmask_b32 v164, 0, v164 :: v_dual_and_b32 v163, 0x7fffff, v165
	s_delay_alu instid0(VALU_DEP_1) | instskip(SKIP_2) | instid1(VALU_DEP_4)
	v_or_b32_e32 v166, 0x800000, v163
	v_cmp_eq_u32_e32 vcc_lo, 0, v162
	v_add_nc_u32_e32 v162, 0xffffff89, v162
	v_cndmask_b32_e64 v164, v164, 0x77, vcc_lo
	s_delay_alu instid0(VALU_DEP_4) | instskip(NEXT) | instid1(VALU_DEP_3)
	v_cndmask_b32_e32 v163, v166, v163, vcc_lo
	v_cndmask_b32_e64 v162, v162, 0xffffff8a, vcc_lo
	s_delay_alu instid0(VALU_DEP_3) | instskip(NEXT) | instid1(VALU_DEP_3)
	v_lshl_add_u32 v166, 0x100000, v164, -1
	v_lshrrev_b32_e32 v167, v164, v163
	v_lshlrev_b32_e64 v177, v164, 0x80000
	s_delay_alu instid0(VALU_DEP_4) | instskip(NEXT) | instid1(VALU_DEP_4)
	v_add_nc_u32_e32 v164, v164, v162
	v_and_b32_e32 v163, v166, v163
	s_delay_alu instid0(VALU_DEP_4) | instskip(NEXT) | instid1(VALU_DEP_2)
	v_bfe_u32 v176, v167, 20, 1
	v_cmp_eq_u32_e64 s14, v163, v177
	s_delay_alu instid0(VALU_DEP_2) | instskip(NEXT) | instid1(VALU_DEP_1)
	v_add_nc_u32_e32 v166, -1, v176
	v_cndmask_b32_e64 v163, 0, v166, s14
	v_lshrrev_b32_e32 v166, 23, v167
	s_mov_b32 s14, exec_lo
	s_delay_alu instid0(VALU_DEP_2) | instskip(NEXT) | instid1(VALU_DEP_2)
	v_add_nc_u32_e32 v163, v163, v167
	v_xor_b32_e32 v166, 1, v166
	s_delay_alu instid0(VALU_DEP_2) | instskip(NEXT) | instid1(VALU_DEP_1)
	v_and_b32_e32 v162, 0xfffff, v163
	v_add_nc_u32_e32 v163, v162, v167
                                        ; implicit-def: $vgpr162
	s_delay_alu instid0(VALU_DEP_3)
	v_cmpx_ne_u32_e64 v164, v166
	s_xor_b32 s14, exec_lo, s14
; %bb.5448:                             ;   in Loop: Header=BB4_5018 Depth=3
	s_delay_alu instid0(VALU_DEP_2) | instskip(SKIP_2) | instid1(VALU_DEP_2)
	v_cmp_lt_u32_e32 vcc_lo, 0xffffff, v163
	v_sub_nc_u32_e32 v162, v164, v166
	v_cndmask_b32_e64 v164, 0, 1, vcc_lo
	v_add_co_ci_u32_e32 v162, vcc_lo, 0, v162, vcc_lo
	s_delay_alu instid0(VALU_DEP_2)
	v_lshrrev_b32_e32 v163, v164, v163
; %bb.5449:                             ;   in Loop: Header=BB4_5018 Depth=3
	s_and_not1_saveexec_b32 s14, s14
; %bb.5450:                             ;   in Loop: Header=BB4_5018 Depth=3
	s_delay_alu instid0(VALU_DEP_1)
	v_bfe_u32 v162, v163, 23, 1
; %bb.5451:                             ;   in Loop: Header=BB4_5018 Depth=3
	s_or_b32 exec_lo, exec_lo, s14
	v_lshrrev_b32_e32 v163, 20, v163
	s_delay_alu instid0(VALU_DEP_2) | instskip(SKIP_2) | instid1(VALU_DEP_2)
	v_cmp_gt_i32_e32 vcc_lo, 16, v162
	v_min_i32_e32 v164, 15, v162
	v_lshrrev_b32_e32 v165, 24, v165
	v_dual_cndmask_b32 v163, 7, v163 :: v_dual_lshlrev_b32 v164, 3, v164
	s_delay_alu instid0(VALU_DEP_1) | instskip(SKIP_1) | instid1(VALU_DEP_3)
	v_or_b32_e32 v162, v162, v163
	v_and_b32_e32 v166, 7, v163
	v_and_b32_e32 v164, 0xf8, v164
	s_delay_alu instid0(VALU_DEP_3) | instskip(SKIP_1) | instid1(VALU_DEP_1)
	v_cmp_ne_u32_e32 vcc_lo, 0, v162
	v_and_b32_e32 v165, 0x80, v165
	v_or3_b32 v163, v164, v165, v166
	s_delay_alu instid0(VALU_DEP_1)
	v_cndmask_b32_e32 v162, 0, v163, vcc_lo
.LBB4_5452:                             ;   in Loop: Header=BB4_5018 Depth=3
	s_or_b32 exec_lo, exec_lo, s35
.LBB4_5453:                             ;   in Loop: Header=BB4_5018 Depth=3
	s_delay_alu instid0(SALU_CYCLE_1) | instskip(SKIP_3) | instid1(VALU_DEP_2)
	s_or_b32 exec_lo, exec_lo, s15
	v_lshrrev_b32_e32 v164, 24, v15
	v_lshrrev_b32_e32 v163, 24, v11
	s_and_b32 vcc_lo, exec_lo, s34
	v_cmp_lt_i16_e64 s14, 0x7f, v164
	s_cbranch_vccz .LBB4_5463
; %bb.5454:                             ;   in Loop: Header=BB4_5018 Depth=3
	s_mov_b32 s15, 0
                                        ; implicit-def: $sgpr35
	s_delay_alu instid0(VALU_DEP_1) | instskip(NEXT) | instid1(SALU_CYCLE_1)
	s_and_saveexec_b32 vcc_lo, s14
	s_xor_b32 s14, exec_lo, vcc_lo
	s_cbranch_execnz .LBB4_5725
; %bb.5455:                             ;   in Loop: Header=BB4_5018 Depth=3
	s_or_saveexec_b32 s14, s14
	v_mov_b32_e32 v165, s35
	s_xor_b32 exec_lo, exec_lo, s14
	s_cbranch_execnz .LBB4_5728
.LBB4_5456:                             ;   in Loop: Header=BB4_5018 Depth=3
	s_or_b32 exec_lo, exec_lo, s14
	s_and_saveexec_b32 s14, s15
	s_cbranch_execz .LBB4_5458
.LBB4_5457:                             ;   in Loop: Header=BB4_5018 Depth=3
	v_bfe_u32 v165, v15, 24, 3
	v_bfe_u32 v176, v15, 27, 4
	s_delay_alu instid0(VALU_DEP_2) | instskip(NEXT) | instid1(VALU_DEP_2)
	v_clz_i32_u32_e32 v166, v165
	v_cmp_eq_u32_e32 vcc_lo, 0, v176
	s_delay_alu instid0(VALU_DEP_2) | instskip(NEXT) | instid1(VALU_DEP_1)
	v_min_u32_e32 v166, 32, v166
	v_subrev_nc_u32_e32 v167, 28, v166
	v_sub_nc_u32_e32 v166, 29, v166
	s_delay_alu instid0(VALU_DEP_1) | instskip(NEXT) | instid1(VALU_DEP_1)
	v_dual_cndmask_b32 v166, v176, v166 :: v_dual_lshlrev_b32 v167, v167, v164
	v_and_b32_e32 v167, 7, v167
	s_delay_alu instid0(VALU_DEP_2) | instskip(NEXT) | instid1(VALU_DEP_2)
	v_lshl_add_u32 v166, v166, 23, 0x3b800000
	v_cndmask_b32_e32 v165, v165, v167, vcc_lo
	v_and_b32_e32 v167, 0x80000000, v15
	s_delay_alu instid0(VALU_DEP_2) | instskip(NEXT) | instid1(VALU_DEP_1)
	v_lshlrev_b32_e32 v165, 20, v165
	v_or3_b32 v165, v167, v166, v165
.LBB4_5458:                             ;   in Loop: Header=BB4_5018 Depth=3
	s_or_b32 exec_lo, exec_lo, s14
	s_mov_b32 s14, 0
	s_mov_b32 s35, exec_lo
                                        ; implicit-def: $sgpr15
	v_cmpx_lt_i16_e64 0x7f, v163
	s_xor_b32 s35, exec_lo, s35
	s_cbranch_execnz .LBB4_5729
; %bb.5459:                             ;   in Loop: Header=BB4_5018 Depth=3
	s_or_saveexec_b32 s35, s35
	v_mov_b32_e32 v166, s15
	s_xor_b32 exec_lo, exec_lo, s35
	s_cbranch_execnz .LBB4_5732
.LBB4_5460:                             ;   in Loop: Header=BB4_5018 Depth=3
	s_or_b32 exec_lo, exec_lo, s35
	s_and_saveexec_b32 s15, s14
	s_cbranch_execz .LBB4_5462
.LBB4_5461:                             ;   in Loop: Header=BB4_5018 Depth=3
	v_bfe_u32 v166, v11, 24, 3
	v_bfe_u32 v177, v11, 27, 4
	s_delay_alu instid0(VALU_DEP_2) | instskip(NEXT) | instid1(VALU_DEP_2)
	v_clz_i32_u32_e32 v167, v166
	v_cmp_eq_u32_e32 vcc_lo, 0, v177
	s_delay_alu instid0(VALU_DEP_2) | instskip(NEXT) | instid1(VALU_DEP_1)
	v_min_u32_e32 v167, 32, v167
	v_subrev_nc_u32_e32 v176, 28, v167
	v_sub_nc_u32_e32 v167, 29, v167
	s_delay_alu instid0(VALU_DEP_2) | instskip(NEXT) | instid1(VALU_DEP_1)
	v_lshlrev_b32_e32 v176, v176, v163
	v_dual_cndmask_b32 v167, v177, v167 :: v_dual_and_b32 v176, 7, v176
	s_delay_alu instid0(VALU_DEP_1) | instskip(NEXT) | instid1(VALU_DEP_2)
	v_lshl_add_u32 v167, v167, 23, 0x3b800000
	v_cndmask_b32_e32 v166, v166, v176, vcc_lo
	v_and_b32_e32 v176, 0x80000000, v11
	s_delay_alu instid0(VALU_DEP_2) | instskip(NEXT) | instid1(VALU_DEP_1)
	v_lshlrev_b32_e32 v166, 20, v166
	v_or3_b32 v166, v176, v167, v166
.LBB4_5462:                             ;   in Loop: Header=BB4_5018 Depth=3
	s_or_b32 exec_lo, exec_lo, s15
	s_delay_alu instid0(VALU_DEP_1) | instskip(SKIP_1) | instid1(VALU_DEP_1)
	v_dual_max_f32 v166, v166, v166 :: v_dual_max_f32 v165, v165, v165
	s_mov_b32 s14, 0
	v_max_f32_e32 v165, v165, v166
	s_branch .LBB4_5464
.LBB4_5463:                             ;   in Loop: Header=BB4_5018 Depth=3
	s_mov_b32 s14, -1
                                        ; implicit-def: $vgpr165
.LBB4_5464:                             ;   in Loop: Header=BB4_5018 Depth=3
	s_delay_alu instid0(SALU_CYCLE_1)
	s_and_b32 vcc_lo, exec_lo, s14
	s_cbranch_vccz .LBB4_5474
; %bb.5465:                             ;   in Loop: Header=BB4_5018 Depth=3
	s_mov_b32 s14, 0
	s_mov_b32 s35, exec_lo
                                        ; implicit-def: $sgpr15
	v_cmpx_lt_i16_e64 0x7f, v164
	s_xor_b32 s35, exec_lo, s35
	s_cbranch_execnz .LBB4_5733
; %bb.5466:                             ;   in Loop: Header=BB4_5018 Depth=3
	s_or_saveexec_b32 s35, s35
	v_mov_b32_e32 v165, s15
	s_xor_b32 exec_lo, exec_lo, s35
	s_cbranch_execnz .LBB4_5736
.LBB4_5467:                             ;   in Loop: Header=BB4_5018 Depth=3
	s_or_b32 exec_lo, exec_lo, s35
	s_and_saveexec_b32 s15, s14
	s_cbranch_execz .LBB4_5469
.LBB4_5468:                             ;   in Loop: Header=BB4_5018 Depth=3
	v_bfe_u32 v165, v15, 24, 3
	s_delay_alu instid0(VALU_DEP_1) | instskip(NEXT) | instid1(VALU_DEP_1)
	v_clz_i32_u32_e32 v166, v165
	v_min_u32_e32 v166, 32, v166
	s_delay_alu instid0(VALU_DEP_1) | instskip(SKIP_1) | instid1(VALU_DEP_2)
	v_subrev_nc_u32_e32 v167, 28, v166
	v_sub_nc_u32_e32 v166, 29, v166
	v_lshlrev_b32_e32 v164, v167, v164
	v_bfe_u32 v167, v15, 27, 4
	v_and_b32_e32 v15, 0x80000000, v15
	s_delay_alu instid0(VALU_DEP_3) | instskip(NEXT) | instid1(VALU_DEP_3)
	v_and_b32_e32 v164, 7, v164
	v_cmp_eq_u32_e32 vcc_lo, 0, v167
	v_cndmask_b32_e32 v166, v167, v166, vcc_lo
	s_delay_alu instid0(VALU_DEP_3) | instskip(NEXT) | instid1(VALU_DEP_2)
	v_cndmask_b32_e32 v164, v165, v164, vcc_lo
	v_lshl_add_u32 v165, v166, 23, 0x3b800000
	s_delay_alu instid0(VALU_DEP_2) | instskip(NEXT) | instid1(VALU_DEP_1)
	v_lshlrev_b32_e32 v164, 20, v164
	v_or3_b32 v165, v15, v165, v164
.LBB4_5469:                             ;   in Loop: Header=BB4_5018 Depth=3
	s_or_b32 exec_lo, exec_lo, s15
	s_mov_b32 s14, 0
	s_mov_b32 s35, exec_lo
                                        ; implicit-def: $sgpr15
	v_cmpx_lt_i16_e64 0x7f, v163
	s_xor_b32 s35, exec_lo, s35
	s_cbranch_execnz .LBB4_5737
; %bb.5470:                             ;   in Loop: Header=BB4_5018 Depth=3
	s_or_saveexec_b32 s35, s35
	v_mov_b32_e32 v15, s15
	s_xor_b32 exec_lo, exec_lo, s35
	s_cbranch_execnz .LBB4_5740
.LBB4_5471:                             ;   in Loop: Header=BB4_5018 Depth=3
	s_or_b32 exec_lo, exec_lo, s35
	s_and_saveexec_b32 s15, s14
	s_cbranch_execz .LBB4_5473
.LBB4_5472:                             ;   in Loop: Header=BB4_5018 Depth=3
	v_bfe_u32 v15, v11, 24, 3
	s_delay_alu instid0(VALU_DEP_1) | instskip(NEXT) | instid1(VALU_DEP_1)
	v_clz_i32_u32_e32 v164, v15
	v_min_u32_e32 v164, 32, v164
	s_delay_alu instid0(VALU_DEP_1) | instskip(SKIP_1) | instid1(VALU_DEP_2)
	v_subrev_nc_u32_e32 v166, 28, v164
	v_sub_nc_u32_e32 v164, 29, v164
	v_lshlrev_b32_e32 v163, v166, v163
	v_bfe_u32 v166, v11, 27, 4
	v_and_b32_e32 v11, 0x80000000, v11
	s_delay_alu instid0(VALU_DEP_2) | instskip(NEXT) | instid1(VALU_DEP_4)
	v_cmp_eq_u32_e32 vcc_lo, 0, v166
	v_dual_cndmask_b32 v164, v166, v164 :: v_dual_and_b32 v163, 7, v163
	s_delay_alu instid0(VALU_DEP_1) | instskip(NEXT) | instid1(VALU_DEP_2)
	v_cndmask_b32_e32 v15, v15, v163, vcc_lo
	v_lshl_add_u32 v163, v164, 23, 0x3b800000
	s_delay_alu instid0(VALU_DEP_2) | instskip(NEXT) | instid1(VALU_DEP_1)
	v_lshlrev_b32_e32 v15, 20, v15
	v_or3_b32 v15, v11, v163, v15
.LBB4_5473:                             ;   in Loop: Header=BB4_5018 Depth=3
	s_or_b32 exec_lo, exec_lo, s15
	s_delay_alu instid0(VALU_DEP_1) | instskip(SKIP_1) | instid1(VALU_DEP_1)
	v_max_f32_e32 v11, v15, v15
	v_max_f32_e32 v15, v165, v165
	v_min_f32_e32 v165, v15, v11
.LBB4_5474:                             ;   in Loop: Header=BB4_5018 Depth=3
	s_delay_alu instid0(VALU_DEP_1) | instskip(NEXT) | instid1(VALU_DEP_1)
	v_and_b32_e32 v11, 0x7f800000, v165
	v_cmp_ne_u32_e32 vcc_lo, 0x7f800000, v11
	v_mov_b32_e32 v11, 0x8000
	s_and_saveexec_b32 s15, vcc_lo
	s_cbranch_execz .LBB4_5482
; %bb.5475:                             ;   in Loop: Header=BB4_5018 Depth=3
	v_mov_b32_e32 v11, 0
	s_mov_b32 s35, exec_lo
	v_cmpx_ne_u32_e32 0, v165
	s_cbranch_execz .LBB4_5481
; %bb.5476:                             ;   in Loop: Header=BB4_5018 Depth=3
	v_bfe_u32 v11, v165, 23, 8
	v_and_b32_e32 v15, 0x7fffff, v165
	s_delay_alu instid0(VALU_DEP_2) | instskip(SKIP_1) | instid1(VALU_DEP_3)
	v_sub_nc_u32_e32 v163, 0x78, v11
	v_cmp_gt_u32_e32 vcc_lo, 0x79, v11
	v_or_b32_e32 v164, 0x800000, v15
	s_delay_alu instid0(VALU_DEP_3) | instskip(SKIP_2) | instid1(VALU_DEP_3)
	v_cndmask_b32_e32 v163, 0, v163, vcc_lo
	v_cmp_eq_u32_e32 vcc_lo, 0, v11
	v_add_nc_u32_e32 v11, 0xffffff89, v11
	v_cndmask_b32_e64 v163, v163, 0x77, vcc_lo
	v_cndmask_b32_e32 v15, v164, v15, vcc_lo
	s_delay_alu instid0(VALU_DEP_3) | instskip(NEXT) | instid1(VALU_DEP_3)
	v_cndmask_b32_e64 v11, v11, 0xffffff8a, vcc_lo
	v_lshl_add_u32 v164, 0x100000, v163, -1
	s_delay_alu instid0(VALU_DEP_3) | instskip(SKIP_1) | instid1(VALU_DEP_4)
	v_lshrrev_b32_e32 v166, v163, v15
	v_lshlrev_b32_e64 v176, v163, 0x80000
	v_add_nc_u32_e32 v163, v163, v11
	s_delay_alu instid0(VALU_DEP_4) | instskip(NEXT) | instid1(VALU_DEP_4)
	v_and_b32_e32 v15, v164, v15
	v_bfe_u32 v167, v166, 20, 1
	s_delay_alu instid0(VALU_DEP_2) | instskip(NEXT) | instid1(VALU_DEP_2)
	v_cmp_eq_u32_e64 s14, v15, v176
	v_add_nc_u32_e32 v164, -1, v167
	s_delay_alu instid0(VALU_DEP_1) | instskip(SKIP_2) | instid1(VALU_DEP_2)
	v_cndmask_b32_e64 v15, 0, v164, s14
	v_lshrrev_b32_e32 v164, 23, v166
	s_mov_b32 s14, exec_lo
	v_add_nc_u32_e32 v15, v15, v166
	s_delay_alu instid0(VALU_DEP_2) | instskip(NEXT) | instid1(VALU_DEP_2)
	v_xor_b32_e32 v164, 1, v164
	v_and_b32_e32 v11, 0xfffff, v15
	s_delay_alu instid0(VALU_DEP_1) | instskip(NEXT) | instid1(VALU_DEP_3)
	v_add_nc_u32_e32 v15, v11, v166
                                        ; implicit-def: $vgpr11
	v_cmpx_ne_u32_e64 v163, v164
	s_xor_b32 s14, exec_lo, s14
; %bb.5477:                             ;   in Loop: Header=BB4_5018 Depth=3
	s_delay_alu instid0(VALU_DEP_2) | instskip(SKIP_2) | instid1(VALU_DEP_2)
	v_cmp_lt_u32_e32 vcc_lo, 0xffffff, v15
	v_sub_nc_u32_e32 v11, v163, v164
	v_cndmask_b32_e64 v163, 0, 1, vcc_lo
	v_add_co_ci_u32_e32 v11, vcc_lo, 0, v11, vcc_lo
	s_delay_alu instid0(VALU_DEP_2)
	v_lshrrev_b32_e32 v15, v163, v15
; %bb.5478:                             ;   in Loop: Header=BB4_5018 Depth=3
	s_and_not1_saveexec_b32 s14, s14
; %bb.5479:                             ;   in Loop: Header=BB4_5018 Depth=3
	s_delay_alu instid0(VALU_DEP_1)
	v_bfe_u32 v11, v15, 23, 1
; %bb.5480:                             ;   in Loop: Header=BB4_5018 Depth=3
	s_or_b32 exec_lo, exec_lo, s14
	v_lshrrev_b32_e32 v15, 20, v15
	s_delay_alu instid0(VALU_DEP_2) | instskip(SKIP_2) | instid1(VALU_DEP_3)
	v_min_i32_e32 v163, 15, v11
	v_cmp_gt_i32_e32 vcc_lo, 16, v11
	v_lshrrev_b32_e32 v164, 24, v165
	v_lshlrev_b32_e32 v163, 3, v163
	s_delay_alu instid0(VALU_DEP_2) | instskip(NEXT) | instid1(VALU_DEP_2)
	v_dual_cndmask_b32 v15, 7, v15 :: v_dual_and_b32 v164, 0x80, v164
	v_and_b32_e32 v163, 0xf8, v163
	s_delay_alu instid0(VALU_DEP_2) | instskip(SKIP_1) | instid1(VALU_DEP_2)
	v_and_b32_e32 v165, 7, v15
	v_or_b32_e32 v11, v11, v15
	v_or3_b32 v163, v164, v163, v165
	s_delay_alu instid0(VALU_DEP_2) | instskip(NEXT) | instid1(VALU_DEP_2)
	v_cmp_ne_u32_e32 vcc_lo, 0, v11
	v_lshlrev_b32_e32 v15, 8, v163
	s_delay_alu instid0(VALU_DEP_1)
	v_cndmask_b32_e32 v11, 0, v15, vcc_lo
.LBB4_5481:                             ;   in Loop: Header=BB4_5018 Depth=3
	s_or_b32 exec_lo, exec_lo, s35
.LBB4_5482:                             ;   in Loop: Header=BB4_5018 Depth=3
	s_delay_alu instid0(SALU_CYCLE_1)
	s_or_b32 exec_lo, exec_lo, s15
	v_lshlrev_b32_e32 v15, 8, v149
	v_and_b32_e32 v85, 0xff, v85
	v_or_b32_e32 v9, v9, v150
	v_lshlrev_b32_e32 v84, 8, v84
	v_lshlrev_b32_e32 v149, 8, v151
	v_perm_b32 v12, v15, v12, 0xc0c0500
	v_lshlrev_b32_e32 v15, 16, v85
	v_and_b32_e32 v85, 0xff, v160
	v_lshlrev_b32_e32 v150, 8, v161
	v_lshlrev_b32_e32 v8, 24, v8
	v_perm_b32 v83, v84, v83, 0xc0c0500
	v_lshlrev_b32_e32 v10, 24, v10
	v_lshlrev_b32_e32 v84, 16, v85
	v_perm_b32 v13, v149, v13, 0xc0c0500
	v_perm_b32 v14, v150, v14, 0xc0c0500
	v_or_b32_e32 v11, v11, v162
	v_lshl_or_b32 v9, v9, 16, v12
	v_or3_b32 v8, v8, v15, v83
	v_or3_b32 v10, v10, v84, v13
	s_mov_b64 s[14:15], 0
	v_lshl_or_b32 v11, v11, 16, v14
	s_mov_b32 s35, -1
.LBB4_5483:                             ;   Parent Loop BB4_51 Depth=1
                                        ;     Parent Loop BB4_3484 Depth=2
                                        ;       Parent Loop BB4_5018 Depth=3
                                        ; =>      This Inner Loop Header: Depth=4
	s_cmp_eq_u32 s14, 0
	v_cndmask_b32_e64 v14, 0, 1, s35
	s_cselect_b32 vcc_lo, -1, 0
	s_cmp_eq_u32 s14, 1
	s_mov_b32 s35, 0
	s_cselect_b32 s14, -1, 0
	s_delay_alu instid0(SALU_CYCLE_1) | instskip(SKIP_1) | instid1(VALU_DEP_2)
	v_cndmask_b32_e64 v12, v16, v18, s14
	v_cndmask_b32_e64 v13, v17, v19, s14
	v_add_co_u32 v15, s15, 0x200, v12
	s_delay_alu instid0(VALU_DEP_1) | instskip(SKIP_1) | instid1(VALU_DEP_3)
	v_add_co_ci_u32_e64 v83, s15, 0, v13, s15
	v_cmp_ne_u32_e64 s15, 1, v14
	v_cndmask_b32_e64 v18, v18, v15, s14
	v_cndmask_b32_e32 v16, v16, v15, vcc_lo
	s_delay_alu instid0(VALU_DEP_4)
	v_cndmask_b32_e64 v19, v19, v83, s14
	v_cndmask_b32_e32 v17, v17, v83, vcc_lo
	s_and_b32 vcc_lo, exec_lo, s15
	s_mov_b64 s[14:15], 1
	global_store_b128 v[12:13], v[8:11], off glc slc dlc
	s_cbranch_vccz .LBB4_5483
; %bb.5484:                             ;   in Loop: Header=BB4_5018 Depth=3
	v_add_co_u32 v20, vcc_lo, v20, v117
	v_add_co_ci_u32_e32 v21, vcc_lo, v21, v118, vcc_lo
	v_add_co_u32 v22, vcc_lo, v22, v117
	v_sub_nc_u32_e32 v82, v82, v101
	v_add_co_ci_u32_e32 v23, vcc_lo, v23, v118, vcc_lo
	v_add_co_u32 v16, vcc_lo, v16, v103
	v_add_co_ci_u32_e32 v17, vcc_lo, v17, v115, vcc_lo
	s_delay_alu instid0(VALU_DEP_4) | instskip(SKIP_1) | instid1(VALU_DEP_1)
	v_cmp_gt_i32_e32 vcc_lo, 16, v82
	v_add_co_u32 v18, s14, v18, v103
	v_add_co_ci_u32_e64 v19, s14, v19, v115, s14
	v_sub_nc_u32_e32 v81, v81, v97
	s_or_b32 s31, vcc_lo, s31
	s_delay_alu instid0(SALU_CYCLE_1)
	s_and_not1_b32 exec_lo, exec_lo, s31
	s_cbranch_execnz .LBB4_5018
	s_branch .LBB4_5741
.LBB4_5485:                             ;   in Loop: Header=BB4_5018 Depth=3
	s_mov_b32 s15, -1
	s_mov_b32 s36, exec_lo
                                        ; implicit-def: $sgpr35
	v_cmpx_eq_u16_e32 0x80, v83
; %bb.5486:                             ;   in Loop: Header=BB4_5018 Depth=3
	s_mov_b32 s35, 0x7f800001
	s_xor_b32 s15, exec_lo, -1
; %bb.5487:                             ;   in Loop: Header=BB4_5018 Depth=3
	s_or_b32 exec_lo, exec_lo, s36
	s_delay_alu instid0(SALU_CYCLE_1)
	s_and_b32 s15, s15, exec_lo
	s_or_saveexec_b32 s14, s14
	v_mov_b32_e32 v84, s35
	s_xor_b32 exec_lo, exec_lo, s14
	s_cbranch_execz .LBB4_5021
.LBB4_5488:                             ;   in Loop: Header=BB4_5018 Depth=3
	v_cmp_ne_u16_e32 vcc_lo, 0, v83
	v_mov_b32_e32 v84, 0
	s_and_not1_b32 s15, s15, exec_lo
	s_and_b32 vcc_lo, vcc_lo, exec_lo
	s_delay_alu instid0(SALU_CYCLE_1)
	s_or_b32 s15, s15, vcc_lo
	s_or_b32 exec_lo, exec_lo, s14
	s_and_saveexec_b32 s14, s15
	s_cbranch_execnz .LBB4_5022
	s_branch .LBB4_5023
.LBB4_5489:                             ;   in Loop: Header=BB4_5018 Depth=3
	s_mov_b32 s14, -1
	s_mov_b32 s36, exec_lo
                                        ; implicit-def: $sgpr15
	v_cmpx_eq_u16_e64 0x80, v149
; %bb.5490:                             ;   in Loop: Header=BB4_5018 Depth=3
	s_mov_b32 s15, 0x7f800001
	s_xor_b32 s14, exec_lo, -1
; %bb.5491:                             ;   in Loop: Header=BB4_5018 Depth=3
	s_or_b32 exec_lo, exec_lo, s36
	s_delay_alu instid0(SALU_CYCLE_1)
	s_and_b32 s14, s14, exec_lo
                                        ; implicit-def: $vgpr149
	s_or_saveexec_b32 s35, s35
	v_mov_b32_e32 v85, s15
	s_xor_b32 exec_lo, exec_lo, s35
	s_cbranch_execz .LBB4_5025
.LBB4_5492:                             ;   in Loop: Header=BB4_5018 Depth=3
	v_cmp_ne_u16_e64 vcc_lo, 0, v149
	v_mov_b32_e32 v85, 0
	s_and_not1_b32 s14, s14, exec_lo
	s_delay_alu instid0(VALU_DEP_2) | instskip(NEXT) | instid1(SALU_CYCLE_1)
	s_and_b32 s15, vcc_lo, exec_lo
	s_or_b32 s14, s14, s15
	s_or_b32 exec_lo, exec_lo, s35
	s_and_saveexec_b32 s15, s14
	s_cbranch_execnz .LBB4_5026
	s_branch .LBB4_5027
.LBB4_5493:                             ;   in Loop: Header=BB4_5018 Depth=3
	s_mov_b32 s14, -1
	s_mov_b32 s36, exec_lo
                                        ; implicit-def: $sgpr15
	v_cmpx_eq_u16_e32 0x80, v83
; %bb.5494:                             ;   in Loop: Header=BB4_5018 Depth=3
	s_mov_b32 s15, 0x7f800001
	s_xor_b32 s14, exec_lo, -1
; %bb.5495:                             ;   in Loop: Header=BB4_5018 Depth=3
	s_or_b32 exec_lo, exec_lo, s36
	s_delay_alu instid0(SALU_CYCLE_1)
	s_and_b32 s14, s14, exec_lo
                                        ; implicit-def: $vgpr83
	s_or_saveexec_b32 s35, s35
	v_mov_b32_e32 v84, s15
	s_xor_b32 exec_lo, exec_lo, s35
	s_cbranch_execz .LBB4_5032
.LBB4_5496:                             ;   in Loop: Header=BB4_5018 Depth=3
	v_cmp_ne_u16_e32 vcc_lo, 0, v83
	v_mov_b32_e32 v84, 0
	s_and_not1_b32 s14, s14, exec_lo
	s_and_b32 s15, vcc_lo, exec_lo
	s_delay_alu instid0(SALU_CYCLE_1)
	s_or_b32 s14, s14, s15
	s_or_b32 exec_lo, exec_lo, s35
	s_and_saveexec_b32 s15, s14
	s_cbranch_execnz .LBB4_5033
	s_branch .LBB4_5034
.LBB4_5497:                             ;   in Loop: Header=BB4_5018 Depth=3
	s_mov_b32 s14, -1
	s_mov_b32 s36, exec_lo
                                        ; implicit-def: $sgpr15
	v_cmpx_eq_u16_e32 0x80, v85
; %bb.5498:                             ;   in Loop: Header=BB4_5018 Depth=3
	s_mov_b32 s15, 0x7f800001
	s_xor_b32 s14, exec_lo, -1
; %bb.5499:                             ;   in Loop: Header=BB4_5018 Depth=3
	s_or_b32 exec_lo, exec_lo, s36
	s_delay_alu instid0(SALU_CYCLE_1)
	s_and_b32 s14, s14, exec_lo
                                        ; implicit-def: $vgpr85
	s_or_saveexec_b32 s35, s35
	v_mov_b32_e32 v83, s15
	s_xor_b32 exec_lo, exec_lo, s35
	s_cbranch_execz .LBB4_5036
.LBB4_5500:                             ;   in Loop: Header=BB4_5018 Depth=3
	v_cmp_ne_u16_e32 vcc_lo, 0, v85
	v_mov_b32_e32 v83, 0
	s_and_not1_b32 s14, s14, exec_lo
	s_and_b32 s15, vcc_lo, exec_lo
	s_delay_alu instid0(SALU_CYCLE_1)
	s_or_b32 s14, s14, s15
	s_or_b32 exec_lo, exec_lo, s35
	s_and_saveexec_b32 s15, s14
	s_cbranch_execnz .LBB4_5037
	s_branch .LBB4_5038
.LBB4_5501:                             ;   in Loop: Header=BB4_5018 Depth=3
	s_mov_b32 s15, -1
	s_mov_b32 s36, exec_lo
                                        ; implicit-def: $sgpr35
	v_cmpx_eq_u16_e32 0x80, v85
; %bb.5502:                             ;   in Loop: Header=BB4_5018 Depth=3
	s_mov_b32 s35, 0x7f800001
	s_xor_b32 s15, exec_lo, -1
; %bb.5503:                             ;   in Loop: Header=BB4_5018 Depth=3
	s_or_b32 exec_lo, exec_lo, s36
	s_delay_alu instid0(SALU_CYCLE_1)
	s_and_b32 s15, s15, exec_lo
	s_or_saveexec_b32 s14, s14
	v_mov_b32_e32 v149, s35
	s_xor_b32 exec_lo, exec_lo, s14
	s_cbranch_execz .LBB4_5050
.LBB4_5504:                             ;   in Loop: Header=BB4_5018 Depth=3
	v_cmp_ne_u16_e32 vcc_lo, 0, v85
	v_mov_b32_e32 v149, 0
	s_and_not1_b32 s15, s15, exec_lo
	s_and_b32 vcc_lo, vcc_lo, exec_lo
	s_delay_alu instid0(SALU_CYCLE_1)
	s_or_b32 s15, s15, vcc_lo
	s_or_b32 exec_lo, exec_lo, s14
	s_and_saveexec_b32 s14, s15
	s_cbranch_execnz .LBB4_5051
	s_branch .LBB4_5052
.LBB4_5505:                             ;   in Loop: Header=BB4_5018 Depth=3
	s_mov_b32 s14, -1
	s_mov_b32 s36, exec_lo
                                        ; implicit-def: $sgpr15
	v_cmpx_eq_u16_e32 0x80, v84
; %bb.5506:                             ;   in Loop: Header=BB4_5018 Depth=3
	s_mov_b32 s15, 0x7f800001
	s_xor_b32 s14, exec_lo, -1
; %bb.5507:                             ;   in Loop: Header=BB4_5018 Depth=3
	s_or_b32 exec_lo, exec_lo, s36
	s_delay_alu instid0(SALU_CYCLE_1)
	s_and_b32 s14, s14, exec_lo
	s_or_saveexec_b32 s35, s35
	v_mov_b32_e32 v150, s15
	s_xor_b32 exec_lo, exec_lo, s35
	s_cbranch_execz .LBB4_5054
.LBB4_5508:                             ;   in Loop: Header=BB4_5018 Depth=3
	v_cmp_ne_u16_e32 vcc_lo, 0, v84
	v_mov_b32_e32 v150, 0
	s_and_not1_b32 s14, s14, exec_lo
	s_and_b32 s15, vcc_lo, exec_lo
	s_delay_alu instid0(SALU_CYCLE_1)
	s_or_b32 s14, s14, s15
	s_or_b32 exec_lo, exec_lo, s35
	s_and_saveexec_b32 s15, s14
	s_cbranch_execnz .LBB4_5055
	s_branch .LBB4_5056
.LBB4_5509:                             ;   in Loop: Header=BB4_5018 Depth=3
	s_mov_b32 s14, -1
	s_mov_b32 s36, exec_lo
                                        ; implicit-def: $sgpr15
	v_cmpx_eq_u16_e32 0x80, v85
; %bb.5510:                             ;   in Loop: Header=BB4_5018 Depth=3
	s_mov_b32 s15, 0x7f800001
	s_xor_b32 s14, exec_lo, -1
; %bb.5511:                             ;   in Loop: Header=BB4_5018 Depth=3
	s_or_b32 exec_lo, exec_lo, s36
	s_delay_alu instid0(SALU_CYCLE_1)
	s_and_b32 s14, s14, exec_lo
	s_or_saveexec_b32 s35, s35
	v_mov_b32_e32 v149, s15
	s_xor_b32 exec_lo, exec_lo, s35
	s_cbranch_execz .LBB4_5061
.LBB4_5512:                             ;   in Loop: Header=BB4_5018 Depth=3
	v_cmp_ne_u16_e32 vcc_lo, 0, v85
	v_mov_b32_e32 v149, 0
	s_and_not1_b32 s14, s14, exec_lo
	s_and_b32 s15, vcc_lo, exec_lo
	s_delay_alu instid0(SALU_CYCLE_1)
	s_or_b32 s14, s14, s15
	s_or_b32 exec_lo, exec_lo, s35
	s_and_saveexec_b32 s15, s14
	s_cbranch_execnz .LBB4_5062
	s_branch .LBB4_5063
.LBB4_5513:                             ;   in Loop: Header=BB4_5018 Depth=3
	s_mov_b32 s14, -1
	s_mov_b32 s36, exec_lo
                                        ; implicit-def: $sgpr15
	v_cmpx_eq_u16_e32 0x80, v84
; %bb.5514:                             ;   in Loop: Header=BB4_5018 Depth=3
	s_mov_b32 s15, 0x7f800001
	s_xor_b32 s14, exec_lo, -1
; %bb.5515:                             ;   in Loop: Header=BB4_5018 Depth=3
	s_or_b32 exec_lo, exec_lo, s36
	s_delay_alu instid0(SALU_CYCLE_1)
	s_and_b32 s14, s14, exec_lo
	s_or_saveexec_b32 s35, s35
	v_mov_b32_e32 v85, s15
	s_xor_b32 exec_lo, exec_lo, s35
	s_cbranch_execz .LBB4_5065
.LBB4_5516:                             ;   in Loop: Header=BB4_5018 Depth=3
	v_cmp_ne_u16_e32 vcc_lo, 0, v84
	v_mov_b32_e32 v85, 0
	s_and_not1_b32 s14, s14, exec_lo
	s_and_b32 s15, vcc_lo, exec_lo
	s_delay_alu instid0(SALU_CYCLE_1)
	s_or_b32 s14, s14, s15
	s_or_b32 exec_lo, exec_lo, s35
	s_and_saveexec_b32 s15, s14
	s_cbranch_execnz .LBB4_5066
	s_branch .LBB4_5067
.LBB4_5517:                             ;   in Loop: Header=BB4_5018 Depth=3
	s_mov_b32 s15, -1
	s_mov_b32 s36, exec_lo
                                        ; implicit-def: $sgpr35
	v_cmpx_eq_u16_e64 0x80, v150
; %bb.5518:                             ;   in Loop: Header=BB4_5018 Depth=3
	s_mov_b32 s35, 0x7f800001
	s_xor_b32 s15, exec_lo, -1
; %bb.5519:                             ;   in Loop: Header=BB4_5018 Depth=3
	s_or_b32 exec_lo, exec_lo, s36
	s_delay_alu instid0(SALU_CYCLE_1)
	s_and_b32 s15, s15, exec_lo
	s_or_saveexec_b32 s14, s14
	v_mov_b32_e32 v151, s35
	s_xor_b32 exec_lo, exec_lo, s14
	s_cbranch_execz .LBB4_5079
.LBB4_5520:                             ;   in Loop: Header=BB4_5018 Depth=3
	v_cmp_ne_u16_e64 vcc_lo, 0, v150
	v_mov_b32_e32 v151, 0
	s_and_not1_b32 s15, s15, exec_lo
	s_delay_alu instid0(VALU_DEP_2) | instskip(NEXT) | instid1(SALU_CYCLE_1)
	s_and_b32 vcc_lo, vcc_lo, exec_lo
	s_or_b32 s15, s15, vcc_lo
	s_or_b32 exec_lo, exec_lo, s14
	s_and_saveexec_b32 s14, s15
	s_cbranch_execnz .LBB4_5080
	s_branch .LBB4_5081
.LBB4_5521:                             ;   in Loop: Header=BB4_5018 Depth=3
	s_mov_b32 s14, -1
	s_mov_b32 s36, exec_lo
                                        ; implicit-def: $sgpr15
	v_cmpx_eq_u16_e64 0x80, v161
; %bb.5522:                             ;   in Loop: Header=BB4_5018 Depth=3
	s_mov_b32 s15, 0x7f800001
	s_xor_b32 s14, exec_lo, -1
; %bb.5523:                             ;   in Loop: Header=BB4_5018 Depth=3
	s_or_b32 exec_lo, exec_lo, s36
	s_delay_alu instid0(SALU_CYCLE_1)
	s_and_b32 s14, s14, exec_lo
                                        ; implicit-def: $vgpr161
	s_or_saveexec_b32 s35, s35
	v_mov_b32_e32 v160, s15
	s_xor_b32 exec_lo, exec_lo, s35
	s_cbranch_execz .LBB4_5083
.LBB4_5524:                             ;   in Loop: Header=BB4_5018 Depth=3
	v_cmp_ne_u16_e64 vcc_lo, 0, v161
	v_mov_b32_e32 v160, 0
	s_and_not1_b32 s14, s14, exec_lo
	s_delay_alu instid0(VALU_DEP_2) | instskip(NEXT) | instid1(SALU_CYCLE_1)
	s_and_b32 s15, vcc_lo, exec_lo
	s_or_b32 s14, s14, s15
	s_or_b32 exec_lo, exec_lo, s35
	s_and_saveexec_b32 s15, s14
	s_cbranch_execnz .LBB4_5084
	s_branch .LBB4_5085
.LBB4_5525:                             ;   in Loop: Header=BB4_5018 Depth=3
	s_mov_b32 s14, -1
	s_mov_b32 s36, exec_lo
                                        ; implicit-def: $sgpr15
	v_cmpx_eq_u16_e64 0x80, v150
; %bb.5526:                             ;   in Loop: Header=BB4_5018 Depth=3
	s_mov_b32 s15, 0x7f800001
	s_xor_b32 s14, exec_lo, -1
; %bb.5527:                             ;   in Loop: Header=BB4_5018 Depth=3
	s_or_b32 exec_lo, exec_lo, s36
	s_delay_alu instid0(SALU_CYCLE_1)
	s_and_b32 s14, s14, exec_lo
                                        ; implicit-def: $vgpr150
	s_or_saveexec_b32 s35, s35
	v_mov_b32_e32 v151, s15
	s_xor_b32 exec_lo, exec_lo, s35
	s_cbranch_execz .LBB4_5090
.LBB4_5528:                             ;   in Loop: Header=BB4_5018 Depth=3
	v_cmp_ne_u16_e64 vcc_lo, 0, v150
	v_mov_b32_e32 v151, 0
	s_and_not1_b32 s14, s14, exec_lo
	s_delay_alu instid0(VALU_DEP_2) | instskip(NEXT) | instid1(SALU_CYCLE_1)
	s_and_b32 s15, vcc_lo, exec_lo
	s_or_b32 s14, s14, s15
	s_or_b32 exec_lo, exec_lo, s35
	s_and_saveexec_b32 s15, s14
	s_cbranch_execnz .LBB4_5091
	s_branch .LBB4_5092
.LBB4_5529:                             ;   in Loop: Header=BB4_5018 Depth=3
	s_mov_b32 s14, -1
	s_mov_b32 s36, exec_lo
                                        ; implicit-def: $sgpr15
	v_cmpx_eq_u16_e64 0x80, v150
; %bb.5530:                             ;   in Loop: Header=BB4_5018 Depth=3
	s_mov_b32 s15, 0x7f800001
	s_xor_b32 s14, exec_lo, -1
; %bb.5531:                             ;   in Loop: Header=BB4_5018 Depth=3
	s_or_b32 exec_lo, exec_lo, s36
	s_delay_alu instid0(SALU_CYCLE_1)
	s_and_b32 s14, s14, exec_lo
                                        ; implicit-def: $vgpr150
	s_or_saveexec_b32 s35, s35
	v_mov_b32_e32 v149, s15
	s_xor_b32 exec_lo, exec_lo, s35
	s_cbranch_execz .LBB4_5094
.LBB4_5532:                             ;   in Loop: Header=BB4_5018 Depth=3
	v_cmp_ne_u16_e64 vcc_lo, 0, v150
	v_mov_b32_e32 v149, 0
	s_and_not1_b32 s14, s14, exec_lo
	s_delay_alu instid0(VALU_DEP_2) | instskip(NEXT) | instid1(SALU_CYCLE_1)
	s_and_b32 s15, vcc_lo, exec_lo
	s_or_b32 s14, s14, s15
	s_or_b32 exec_lo, exec_lo, s35
	s_and_saveexec_b32 s15, s14
	s_cbranch_execnz .LBB4_5095
	s_branch .LBB4_5096
.LBB4_5533:                             ;   in Loop: Header=BB4_5018 Depth=3
	s_mov_b32 s15, -1
	s_mov_b32 s36, exec_lo
                                        ; implicit-def: $sgpr35
	v_cmpx_eq_u16_e64 0x80, v150
; %bb.5534:                             ;   in Loop: Header=BB4_5018 Depth=3
	s_mov_b32 s35, 0x7f800001
	s_xor_b32 s15, exec_lo, -1
; %bb.5535:                             ;   in Loop: Header=BB4_5018 Depth=3
	s_or_b32 exec_lo, exec_lo, s36
	s_delay_alu instid0(SALU_CYCLE_1)
	s_and_b32 s15, s15, exec_lo
	s_or_saveexec_b32 s14, s14
	v_mov_b32_e32 v151, s35
	s_xor_b32 exec_lo, exec_lo, s14
	s_cbranch_execz .LBB4_5108
.LBB4_5536:                             ;   in Loop: Header=BB4_5018 Depth=3
	v_cmp_ne_u16_e64 vcc_lo, 0, v150
	v_mov_b32_e32 v151, 0
	s_and_not1_b32 s15, s15, exec_lo
	s_delay_alu instid0(VALU_DEP_2) | instskip(NEXT) | instid1(SALU_CYCLE_1)
	s_and_b32 vcc_lo, vcc_lo, exec_lo
	s_or_b32 s15, s15, vcc_lo
	s_or_b32 exec_lo, exec_lo, s14
	s_and_saveexec_b32 s14, s15
	s_cbranch_execnz .LBB4_5109
	s_branch .LBB4_5110
.LBB4_5537:                             ;   in Loop: Header=BB4_5018 Depth=3
	s_mov_b32 s14, -1
	s_mov_b32 s36, exec_lo
                                        ; implicit-def: $sgpr15
	v_cmpx_eq_u16_e64 0x80, v149
; %bb.5538:                             ;   in Loop: Header=BB4_5018 Depth=3
	s_mov_b32 s15, 0x7f800001
	s_xor_b32 s14, exec_lo, -1
; %bb.5539:                             ;   in Loop: Header=BB4_5018 Depth=3
	s_or_b32 exec_lo, exec_lo, s36
	s_delay_alu instid0(SALU_CYCLE_1)
	s_and_b32 s14, s14, exec_lo
	s_or_saveexec_b32 s35, s35
	v_mov_b32_e32 v160, s15
	s_xor_b32 exec_lo, exec_lo, s35
	s_cbranch_execz .LBB4_5112
.LBB4_5540:                             ;   in Loop: Header=BB4_5018 Depth=3
	v_cmp_ne_u16_e64 vcc_lo, 0, v149
	v_mov_b32_e32 v160, 0
	s_and_not1_b32 s14, s14, exec_lo
	s_delay_alu instid0(VALU_DEP_2) | instskip(NEXT) | instid1(SALU_CYCLE_1)
	s_and_b32 s15, vcc_lo, exec_lo
	s_or_b32 s14, s14, s15
	s_or_b32 exec_lo, exec_lo, s35
	s_and_saveexec_b32 s15, s14
	s_cbranch_execnz .LBB4_5113
	s_branch .LBB4_5114
.LBB4_5541:                             ;   in Loop: Header=BB4_5018 Depth=3
	s_mov_b32 s14, -1
	s_mov_b32 s36, exec_lo
                                        ; implicit-def: $sgpr15
	v_cmpx_eq_u16_e64 0x80, v150
; %bb.5542:                             ;   in Loop: Header=BB4_5018 Depth=3
	s_mov_b32 s15, 0x7f800001
	s_xor_b32 s14, exec_lo, -1
; %bb.5543:                             ;   in Loop: Header=BB4_5018 Depth=3
	s_or_b32 exec_lo, exec_lo, s36
	s_delay_alu instid0(SALU_CYCLE_1)
	s_and_b32 s14, s14, exec_lo
	s_or_saveexec_b32 s35, s35
	v_mov_b32_e32 v151, s15
	s_xor_b32 exec_lo, exec_lo, s35
	s_cbranch_execz .LBB4_5119
.LBB4_5544:                             ;   in Loop: Header=BB4_5018 Depth=3
	v_cmp_ne_u16_e64 vcc_lo, 0, v150
	v_mov_b32_e32 v151, 0
	s_and_not1_b32 s14, s14, exec_lo
	s_delay_alu instid0(VALU_DEP_2) | instskip(NEXT) | instid1(SALU_CYCLE_1)
	s_and_b32 s15, vcc_lo, exec_lo
	s_or_b32 s14, s14, s15
	s_or_b32 exec_lo, exec_lo, s35
	s_and_saveexec_b32 s15, s14
	s_cbranch_execnz .LBB4_5120
	s_branch .LBB4_5121
.LBB4_5545:                             ;   in Loop: Header=BB4_5018 Depth=3
	s_mov_b32 s14, -1
	s_mov_b32 s36, exec_lo
                                        ; implicit-def: $sgpr15
	v_cmpx_eq_u16_e64 0x80, v149
; %bb.5546:                             ;   in Loop: Header=BB4_5018 Depth=3
	s_mov_b32 s15, 0x7f800001
	s_xor_b32 s14, exec_lo, -1
; %bb.5547:                             ;   in Loop: Header=BB4_5018 Depth=3
	s_or_b32 exec_lo, exec_lo, s36
	s_delay_alu instid0(SALU_CYCLE_1)
	s_and_b32 s14, s14, exec_lo
	s_or_saveexec_b32 s35, s35
	v_mov_b32_e32 v12, s15
	s_xor_b32 exec_lo, exec_lo, s35
	s_cbranch_execz .LBB4_5123
.LBB4_5548:                             ;   in Loop: Header=BB4_5018 Depth=3
	v_cmp_ne_u16_e64 vcc_lo, 0, v149
	v_mov_b32_e32 v12, 0
	s_and_not1_b32 s14, s14, exec_lo
	s_delay_alu instid0(VALU_DEP_2) | instskip(NEXT) | instid1(SALU_CYCLE_1)
	s_and_b32 s15, vcc_lo, exec_lo
	s_or_b32 s14, s14, s15
	s_or_b32 exec_lo, exec_lo, s35
	s_and_saveexec_b32 s15, s14
	s_cbranch_execnz .LBB4_5124
	s_branch .LBB4_5125
.LBB4_5549:                             ;   in Loop: Header=BB4_5018 Depth=3
	s_mov_b32 s15, -1
	s_mov_b32 s36, exec_lo
                                        ; implicit-def: $sgpr35
	v_cmpx_eq_u16_e32 0x80, v12
; %bb.5550:                             ;   in Loop: Header=BB4_5018 Depth=3
	s_mov_b32 s35, 0x7f800001
	s_xor_b32 s15, exec_lo, -1
; %bb.5551:                             ;   in Loop: Header=BB4_5018 Depth=3
	s_or_b32 exec_lo, exec_lo, s36
	s_delay_alu instid0(SALU_CYCLE_1)
	s_and_b32 s15, s15, exec_lo
	s_or_saveexec_b32 s14, s14
	v_mov_b32_e32 v149, s35
	s_xor_b32 exec_lo, exec_lo, s14
	s_cbranch_execz .LBB4_5137
.LBB4_5552:                             ;   in Loop: Header=BB4_5018 Depth=3
	v_cmp_ne_u16_e32 vcc_lo, 0, v12
	v_mov_b32_e32 v149, 0
	s_and_not1_b32 s15, s15, exec_lo
	s_and_b32 vcc_lo, vcc_lo, exec_lo
	s_delay_alu instid0(SALU_CYCLE_1)
	s_or_b32 s15, s15, vcc_lo
	s_or_b32 exec_lo, exec_lo, s14
	s_and_saveexec_b32 s14, s15
	s_cbranch_execnz .LBB4_5138
	s_branch .LBB4_5139
.LBB4_5553:                             ;   in Loop: Header=BB4_5018 Depth=3
	s_mov_b32 s14, -1
	s_mov_b32 s36, exec_lo
                                        ; implicit-def: $sgpr15
	v_cmpx_eq_u16_e64 0x80, v151
; %bb.5554:                             ;   in Loop: Header=BB4_5018 Depth=3
	s_mov_b32 s15, 0x7f800001
	s_xor_b32 s14, exec_lo, -1
; %bb.5555:                             ;   in Loop: Header=BB4_5018 Depth=3
	s_or_b32 exec_lo, exec_lo, s36
	s_delay_alu instid0(SALU_CYCLE_1)
	s_and_b32 s14, s14, exec_lo
                                        ; implicit-def: $vgpr151
	s_or_saveexec_b32 s35, s35
	v_mov_b32_e32 v150, s15
	s_xor_b32 exec_lo, exec_lo, s35
	s_cbranch_execz .LBB4_5141
.LBB4_5556:                             ;   in Loop: Header=BB4_5018 Depth=3
	v_cmp_ne_u16_e64 vcc_lo, 0, v151
	v_mov_b32_e32 v150, 0
	s_and_not1_b32 s14, s14, exec_lo
	s_delay_alu instid0(VALU_DEP_2) | instskip(NEXT) | instid1(SALU_CYCLE_1)
	s_and_b32 s15, vcc_lo, exec_lo
	s_or_b32 s14, s14, s15
	s_or_b32 exec_lo, exec_lo, s35
	s_and_saveexec_b32 s15, s14
	s_cbranch_execnz .LBB4_5142
	s_branch .LBB4_5143
.LBB4_5557:                             ;   in Loop: Header=BB4_5018 Depth=3
	s_mov_b32 s14, -1
	s_mov_b32 s36, exec_lo
                                        ; implicit-def: $sgpr15
	v_cmpx_eq_u16_e32 0x80, v12
; %bb.5558:                             ;   in Loop: Header=BB4_5018 Depth=3
	s_mov_b32 s15, 0x7f800001
	s_xor_b32 s14, exec_lo, -1
; %bb.5559:                             ;   in Loop: Header=BB4_5018 Depth=3
	s_or_b32 exec_lo, exec_lo, s36
	s_delay_alu instid0(SALU_CYCLE_1)
	s_and_b32 s14, s14, exec_lo
                                        ; implicit-def: $vgpr12
	s_or_saveexec_b32 s35, s35
	v_mov_b32_e32 v149, s15
	s_xor_b32 exec_lo, exec_lo, s35
	s_cbranch_execz .LBB4_5148
.LBB4_5560:                             ;   in Loop: Header=BB4_5018 Depth=3
	v_cmp_ne_u16_e32 vcc_lo, 0, v12
	v_mov_b32_e32 v149, 0
	s_and_not1_b32 s14, s14, exec_lo
	s_and_b32 s15, vcc_lo, exec_lo
	s_delay_alu instid0(SALU_CYCLE_1)
	s_or_b32 s14, s14, s15
	s_or_b32 exec_lo, exec_lo, s35
	s_and_saveexec_b32 s15, s14
	s_cbranch_execnz .LBB4_5149
	s_branch .LBB4_5150
.LBB4_5561:                             ;   in Loop: Header=BB4_5018 Depth=3
	s_mov_b32 s14, -1
	s_mov_b32 s36, exec_lo
                                        ; implicit-def: $sgpr15
	v_cmpx_eq_u16_e64 0x80, v150
; %bb.5562:                             ;   in Loop: Header=BB4_5018 Depth=3
	s_mov_b32 s15, 0x7f800001
	s_xor_b32 s14, exec_lo, -1
; %bb.5563:                             ;   in Loop: Header=BB4_5018 Depth=3
	s_or_b32 exec_lo, exec_lo, s36
	s_delay_alu instid0(SALU_CYCLE_1)
	s_and_b32 s14, s14, exec_lo
                                        ; implicit-def: $vgpr150
	s_or_saveexec_b32 s35, s35
	v_mov_b32_e32 v12, s15
	s_xor_b32 exec_lo, exec_lo, s35
	s_cbranch_execz .LBB4_5152
.LBB4_5564:                             ;   in Loop: Header=BB4_5018 Depth=3
	v_cmp_ne_u16_e64 vcc_lo, 0, v150
	v_mov_b32_e32 v12, 0
	s_and_not1_b32 s14, s14, exec_lo
	s_delay_alu instid0(VALU_DEP_2) | instskip(NEXT) | instid1(SALU_CYCLE_1)
	s_and_b32 s15, vcc_lo, exec_lo
	s_or_b32 s14, s14, s15
	s_or_b32 exec_lo, exec_lo, s35
	s_and_saveexec_b32 s15, s14
	s_cbranch_execnz .LBB4_5153
	s_branch .LBB4_5154
.LBB4_5565:                             ;   in Loop: Header=BB4_5018 Depth=3
	s_mov_b32 s15, -1
	s_mov_b32 s36, exec_lo
                                        ; implicit-def: $sgpr35
	v_cmpx_eq_u16_e64 0x80, v150
; %bb.5566:                             ;   in Loop: Header=BB4_5018 Depth=3
	s_mov_b32 s35, 0x7f800001
	s_xor_b32 s15, exec_lo, -1
; %bb.5567:                             ;   in Loop: Header=BB4_5018 Depth=3
	s_or_b32 exec_lo, exec_lo, s36
	s_delay_alu instid0(SALU_CYCLE_1)
	s_and_b32 s15, s15, exec_lo
	s_or_saveexec_b32 s14, s14
	v_mov_b32_e32 v151, s35
	s_xor_b32 exec_lo, exec_lo, s14
	s_cbranch_execz .LBB4_5166
.LBB4_5568:                             ;   in Loop: Header=BB4_5018 Depth=3
	v_cmp_ne_u16_e64 vcc_lo, 0, v150
	v_mov_b32_e32 v151, 0
	s_and_not1_b32 s15, s15, exec_lo
	s_delay_alu instid0(VALU_DEP_2) | instskip(NEXT) | instid1(SALU_CYCLE_1)
	s_and_b32 vcc_lo, vcc_lo, exec_lo
	s_or_b32 s15, s15, vcc_lo
	s_or_b32 exec_lo, exec_lo, s14
	s_and_saveexec_b32 s14, s15
	s_cbranch_execnz .LBB4_5167
	s_branch .LBB4_5168
.LBB4_5569:                             ;   in Loop: Header=BB4_5018 Depth=3
	s_mov_b32 s14, -1
	s_mov_b32 s36, exec_lo
                                        ; implicit-def: $sgpr15
	v_cmpx_eq_u16_e64 0x80, v149
; %bb.5570:                             ;   in Loop: Header=BB4_5018 Depth=3
	s_mov_b32 s15, 0x7f800001
	s_xor_b32 s14, exec_lo, -1
; %bb.5571:                             ;   in Loop: Header=BB4_5018 Depth=3
	s_or_b32 exec_lo, exec_lo, s36
	s_delay_alu instid0(SALU_CYCLE_1)
	s_and_b32 s14, s14, exec_lo
	s_or_saveexec_b32 s35, s35
	v_mov_b32_e32 v160, s15
	s_xor_b32 exec_lo, exec_lo, s35
	s_cbranch_execz .LBB4_5170
.LBB4_5572:                             ;   in Loop: Header=BB4_5018 Depth=3
	v_cmp_ne_u16_e64 vcc_lo, 0, v149
	v_mov_b32_e32 v160, 0
	s_and_not1_b32 s14, s14, exec_lo
	s_delay_alu instid0(VALU_DEP_2) | instskip(NEXT) | instid1(SALU_CYCLE_1)
	s_and_b32 s15, vcc_lo, exec_lo
	s_or_b32 s14, s14, s15
	s_or_b32 exec_lo, exec_lo, s35
	s_and_saveexec_b32 s15, s14
	s_cbranch_execnz .LBB4_5171
	s_branch .LBB4_5172
.LBB4_5573:                             ;   in Loop: Header=BB4_5018 Depth=3
	s_mov_b32 s14, -1
	s_mov_b32 s36, exec_lo
                                        ; implicit-def: $sgpr15
	v_cmpx_eq_u16_e64 0x80, v150
; %bb.5574:                             ;   in Loop: Header=BB4_5018 Depth=3
	s_mov_b32 s15, 0x7f800001
	s_xor_b32 s14, exec_lo, -1
; %bb.5575:                             ;   in Loop: Header=BB4_5018 Depth=3
	s_or_b32 exec_lo, exec_lo, s36
	s_delay_alu instid0(SALU_CYCLE_1)
	s_and_b32 s14, s14, exec_lo
	s_or_saveexec_b32 s35, s35
	v_mov_b32_e32 v151, s15
	s_xor_b32 exec_lo, exec_lo, s35
	s_cbranch_execz .LBB4_5177
.LBB4_5576:                             ;   in Loop: Header=BB4_5018 Depth=3
	v_cmp_ne_u16_e64 vcc_lo, 0, v150
	v_mov_b32_e32 v151, 0
	s_and_not1_b32 s14, s14, exec_lo
	s_delay_alu instid0(VALU_DEP_2) | instskip(NEXT) | instid1(SALU_CYCLE_1)
	s_and_b32 s15, vcc_lo, exec_lo
	s_or_b32 s14, s14, s15
	s_or_b32 exec_lo, exec_lo, s35
	s_and_saveexec_b32 s15, s14
	s_cbranch_execnz .LBB4_5178
	s_branch .LBB4_5179
.LBB4_5577:                             ;   in Loop: Header=BB4_5018 Depth=3
	s_mov_b32 s14, -1
	s_mov_b32 s36, exec_lo
                                        ; implicit-def: $sgpr15
	v_cmpx_eq_u16_e64 0x80, v149
; %bb.5578:                             ;   in Loop: Header=BB4_5018 Depth=3
	s_mov_b32 s15, 0x7f800001
	s_xor_b32 s14, exec_lo, -1
; %bb.5579:                             ;   in Loop: Header=BB4_5018 Depth=3
	s_or_b32 exec_lo, exec_lo, s36
	s_delay_alu instid0(SALU_CYCLE_1)
	s_and_b32 s14, s14, exec_lo
	s_or_saveexec_b32 s35, s35
	v_mov_b32_e32 v150, s15
	s_xor_b32 exec_lo, exec_lo, s35
	s_cbranch_execz .LBB4_5181
.LBB4_5580:                             ;   in Loop: Header=BB4_5018 Depth=3
	v_cmp_ne_u16_e64 vcc_lo, 0, v149
	v_mov_b32_e32 v150, 0
	s_and_not1_b32 s14, s14, exec_lo
	s_delay_alu instid0(VALU_DEP_2) | instskip(NEXT) | instid1(SALU_CYCLE_1)
	s_and_b32 s15, vcc_lo, exec_lo
	s_or_b32 s14, s14, s15
	s_or_b32 exec_lo, exec_lo, s35
	s_and_saveexec_b32 s15, s14
	s_cbranch_execnz .LBB4_5182
	s_branch .LBB4_5183
.LBB4_5581:                             ;   in Loop: Header=BB4_5018 Depth=3
	s_mov_b32 s15, -1
	s_mov_b32 s36, exec_lo
                                        ; implicit-def: $sgpr35
	v_cmpx_eq_u16_e64 0x80, v160
; %bb.5582:                             ;   in Loop: Header=BB4_5018 Depth=3
	s_mov_b32 s35, 0x7f800001
	s_xor_b32 s15, exec_lo, -1
; %bb.5583:                             ;   in Loop: Header=BB4_5018 Depth=3
	s_or_b32 exec_lo, exec_lo, s36
	s_delay_alu instid0(SALU_CYCLE_1)
	s_and_b32 s15, s15, exec_lo
	s_or_saveexec_b32 s14, s14
	v_mov_b32_e32 v161, s35
	s_xor_b32 exec_lo, exec_lo, s14
	s_cbranch_execz .LBB4_5195
.LBB4_5584:                             ;   in Loop: Header=BB4_5018 Depth=3
	v_cmp_ne_u16_e64 vcc_lo, 0, v160
	v_mov_b32_e32 v161, 0
	s_and_not1_b32 s15, s15, exec_lo
	s_delay_alu instid0(VALU_DEP_2) | instskip(NEXT) | instid1(SALU_CYCLE_1)
	s_and_b32 vcc_lo, vcc_lo, exec_lo
	s_or_b32 s15, s15, vcc_lo
	s_or_b32 exec_lo, exec_lo, s14
	s_and_saveexec_b32 s14, s15
	s_cbranch_execnz .LBB4_5196
	s_branch .LBB4_5197
.LBB4_5585:                             ;   in Loop: Header=BB4_5018 Depth=3
	s_mov_b32 s14, -1
	s_mov_b32 s36, exec_lo
                                        ; implicit-def: $sgpr15
	v_cmpx_eq_u16_e64 0x80, v163
; %bb.5586:                             ;   in Loop: Header=BB4_5018 Depth=3
	s_mov_b32 s15, 0x7f800001
	s_xor_b32 s14, exec_lo, -1
; %bb.5587:                             ;   in Loop: Header=BB4_5018 Depth=3
	s_or_b32 exec_lo, exec_lo, s36
	s_delay_alu instid0(SALU_CYCLE_1)
	s_and_b32 s14, s14, exec_lo
                                        ; implicit-def: $vgpr163
	s_or_saveexec_b32 s35, s35
	v_mov_b32_e32 v162, s15
	s_xor_b32 exec_lo, exec_lo, s35
	s_cbranch_execz .LBB4_5199
.LBB4_5588:                             ;   in Loop: Header=BB4_5018 Depth=3
	v_cmp_ne_u16_e64 vcc_lo, 0, v163
	v_mov_b32_e32 v162, 0
	s_and_not1_b32 s14, s14, exec_lo
	s_delay_alu instid0(VALU_DEP_2) | instskip(NEXT) | instid1(SALU_CYCLE_1)
	s_and_b32 s15, vcc_lo, exec_lo
	s_or_b32 s14, s14, s15
	s_or_b32 exec_lo, exec_lo, s35
	s_and_saveexec_b32 s15, s14
	s_cbranch_execnz .LBB4_5200
	s_branch .LBB4_5201
.LBB4_5589:                             ;   in Loop: Header=BB4_5018 Depth=3
	s_mov_b32 s14, -1
	s_mov_b32 s36, exec_lo
                                        ; implicit-def: $sgpr15
	v_cmpx_eq_u16_e64 0x80, v160
; %bb.5590:                             ;   in Loop: Header=BB4_5018 Depth=3
	s_mov_b32 s15, 0x7f800001
	s_xor_b32 s14, exec_lo, -1
; %bb.5591:                             ;   in Loop: Header=BB4_5018 Depth=3
	s_or_b32 exec_lo, exec_lo, s36
	s_delay_alu instid0(SALU_CYCLE_1)
	s_and_b32 s14, s14, exec_lo
                                        ; implicit-def: $vgpr160
	s_or_saveexec_b32 s35, s35
	v_mov_b32_e32 v161, s15
	s_xor_b32 exec_lo, exec_lo, s35
	s_cbranch_execz .LBB4_5206
.LBB4_5592:                             ;   in Loop: Header=BB4_5018 Depth=3
	v_cmp_ne_u16_e64 vcc_lo, 0, v160
	v_mov_b32_e32 v161, 0
	s_and_not1_b32 s14, s14, exec_lo
	s_delay_alu instid0(VALU_DEP_2) | instskip(NEXT) | instid1(SALU_CYCLE_1)
	s_and_b32 s15, vcc_lo, exec_lo
	s_or_b32 s14, s14, s15
	s_or_b32 exec_lo, exec_lo, s35
	s_and_saveexec_b32 s15, s14
	s_cbranch_execnz .LBB4_5207
	s_branch .LBB4_5208
.LBB4_5593:                             ;   in Loop: Header=BB4_5018 Depth=3
	s_mov_b32 s14, -1
	s_mov_b32 s36, exec_lo
                                        ; implicit-def: $sgpr15
	v_cmpx_eq_u16_e64 0x80, v160
; %bb.5594:                             ;   in Loop: Header=BB4_5018 Depth=3
	s_mov_b32 s15, 0x7f800001
	s_xor_b32 s14, exec_lo, -1
; %bb.5595:                             ;   in Loop: Header=BB4_5018 Depth=3
	s_or_b32 exec_lo, exec_lo, s36
	s_delay_alu instid0(SALU_CYCLE_1)
	s_and_b32 s14, s14, exec_lo
                                        ; implicit-def: $vgpr160
	s_or_saveexec_b32 s35, s35
	v_mov_b32_e32 v151, s15
	s_xor_b32 exec_lo, exec_lo, s35
	s_cbranch_execz .LBB4_5210
.LBB4_5596:                             ;   in Loop: Header=BB4_5018 Depth=3
	v_cmp_ne_u16_e64 vcc_lo, 0, v160
	v_mov_b32_e32 v151, 0
	s_and_not1_b32 s14, s14, exec_lo
	s_delay_alu instid0(VALU_DEP_2) | instskip(NEXT) | instid1(SALU_CYCLE_1)
	s_and_b32 s15, vcc_lo, exec_lo
	s_or_b32 s14, s14, s15
	s_or_b32 exec_lo, exec_lo, s35
	s_and_saveexec_b32 s15, s14
	s_cbranch_execnz .LBB4_5211
	s_branch .LBB4_5212
.LBB4_5597:                             ;   in Loop: Header=BB4_5018 Depth=3
	s_mov_b32 s15, -1
	s_mov_b32 s36, exec_lo
                                        ; implicit-def: $sgpr35
	v_cmpx_eq_u16_e64 0x80, v160
; %bb.5598:                             ;   in Loop: Header=BB4_5018 Depth=3
	s_mov_b32 s35, 0x7f800001
	s_xor_b32 s15, exec_lo, -1
; %bb.5599:                             ;   in Loop: Header=BB4_5018 Depth=3
	s_or_b32 exec_lo, exec_lo, s36
	s_delay_alu instid0(SALU_CYCLE_1)
	s_and_b32 s15, s15, exec_lo
	s_or_saveexec_b32 s14, s14
	v_mov_b32_e32 v161, s35
	s_xor_b32 exec_lo, exec_lo, s14
	s_cbranch_execz .LBB4_5224
.LBB4_5600:                             ;   in Loop: Header=BB4_5018 Depth=3
	v_cmp_ne_u16_e64 vcc_lo, 0, v160
	v_mov_b32_e32 v161, 0
	s_and_not1_b32 s15, s15, exec_lo
	s_delay_alu instid0(VALU_DEP_2) | instskip(NEXT) | instid1(SALU_CYCLE_1)
	s_and_b32 vcc_lo, vcc_lo, exec_lo
	s_or_b32 s15, s15, vcc_lo
	s_or_b32 exec_lo, exec_lo, s14
	s_and_saveexec_b32 s14, s15
	s_cbranch_execnz .LBB4_5225
	s_branch .LBB4_5226
.LBB4_5601:                             ;   in Loop: Header=BB4_5018 Depth=3
	s_mov_b32 s14, -1
	s_mov_b32 s36, exec_lo
                                        ; implicit-def: $sgpr15
	v_cmpx_eq_u16_e64 0x80, v151
; %bb.5602:                             ;   in Loop: Header=BB4_5018 Depth=3
	s_mov_b32 s15, 0x7f800001
	s_xor_b32 s14, exec_lo, -1
; %bb.5603:                             ;   in Loop: Header=BB4_5018 Depth=3
	s_or_b32 exec_lo, exec_lo, s36
	s_delay_alu instid0(SALU_CYCLE_1)
	s_and_b32 s14, s14, exec_lo
	s_or_saveexec_b32 s35, s35
	v_mov_b32_e32 v162, s15
	s_xor_b32 exec_lo, exec_lo, s35
	s_cbranch_execz .LBB4_5228
.LBB4_5604:                             ;   in Loop: Header=BB4_5018 Depth=3
	v_cmp_ne_u16_e64 vcc_lo, 0, v151
	v_mov_b32_e32 v162, 0
	s_and_not1_b32 s14, s14, exec_lo
	s_delay_alu instid0(VALU_DEP_2) | instskip(NEXT) | instid1(SALU_CYCLE_1)
	s_and_b32 s15, vcc_lo, exec_lo
	s_or_b32 s14, s14, s15
	s_or_b32 exec_lo, exec_lo, s35
	s_and_saveexec_b32 s15, s14
	s_cbranch_execnz .LBB4_5229
	s_branch .LBB4_5230
.LBB4_5605:                             ;   in Loop: Header=BB4_5018 Depth=3
	s_mov_b32 s14, -1
	s_mov_b32 s36, exec_lo
                                        ; implicit-def: $sgpr15
	v_cmpx_eq_u16_e64 0x80, v160
; %bb.5606:                             ;   in Loop: Header=BB4_5018 Depth=3
	s_mov_b32 s15, 0x7f800001
	s_xor_b32 s14, exec_lo, -1
; %bb.5607:                             ;   in Loop: Header=BB4_5018 Depth=3
	s_or_b32 exec_lo, exec_lo, s36
	s_delay_alu instid0(SALU_CYCLE_1)
	s_and_b32 s14, s14, exec_lo
	s_or_saveexec_b32 s35, s35
	v_mov_b32_e32 v161, s15
	s_xor_b32 exec_lo, exec_lo, s35
	s_cbranch_execz .LBB4_5235
.LBB4_5608:                             ;   in Loop: Header=BB4_5018 Depth=3
	v_cmp_ne_u16_e64 vcc_lo, 0, v160
	v_mov_b32_e32 v161, 0
	s_and_not1_b32 s14, s14, exec_lo
	s_delay_alu instid0(VALU_DEP_2) | instskip(NEXT) | instid1(SALU_CYCLE_1)
	s_and_b32 s15, vcc_lo, exec_lo
	s_or_b32 s14, s14, s15
	s_or_b32 exec_lo, exec_lo, s35
	s_and_saveexec_b32 s15, s14
	s_cbranch_execnz .LBB4_5236
	s_branch .LBB4_5237
.LBB4_5609:                             ;   in Loop: Header=BB4_5018 Depth=3
	s_mov_b32 s14, -1
	s_mov_b32 s36, exec_lo
                                        ; implicit-def: $sgpr15
	v_cmpx_eq_u16_e64 0x80, v151
; %bb.5610:                             ;   in Loop: Header=BB4_5018 Depth=3
	s_mov_b32 s15, 0x7f800001
	s_xor_b32 s14, exec_lo, -1
; %bb.5611:                             ;   in Loop: Header=BB4_5018 Depth=3
	s_or_b32 exec_lo, exec_lo, s36
	s_delay_alu instid0(SALU_CYCLE_1)
	s_and_b32 s14, s14, exec_lo
	s_or_saveexec_b32 s35, s35
	v_mov_b32_e32 v13, s15
	s_xor_b32 exec_lo, exec_lo, s35
	s_cbranch_execz .LBB4_5239
.LBB4_5612:                             ;   in Loop: Header=BB4_5018 Depth=3
	v_cmp_ne_u16_e64 vcc_lo, 0, v151
	v_mov_b32_e32 v13, 0
	s_and_not1_b32 s14, s14, exec_lo
	s_delay_alu instid0(VALU_DEP_2) | instskip(NEXT) | instid1(SALU_CYCLE_1)
	s_and_b32 s15, vcc_lo, exec_lo
	s_or_b32 s14, s14, s15
	s_or_b32 exec_lo, exec_lo, s35
	s_and_saveexec_b32 s15, s14
	s_cbranch_execnz .LBB4_5240
	s_branch .LBB4_5241
.LBB4_5613:                             ;   in Loop: Header=BB4_5018 Depth=3
	s_mov_b32 s15, -1
	s_mov_b32 s36, exec_lo
                                        ; implicit-def: $sgpr35
	v_cmpx_eq_u16_e32 0x80, v13
; %bb.5614:                             ;   in Loop: Header=BB4_5018 Depth=3
	s_mov_b32 s35, 0x7f800001
	s_xor_b32 s15, exec_lo, -1
; %bb.5615:                             ;   in Loop: Header=BB4_5018 Depth=3
	s_or_b32 exec_lo, exec_lo, s36
	s_delay_alu instid0(SALU_CYCLE_1)
	s_and_b32 s15, s15, exec_lo
	s_or_saveexec_b32 s14, s14
	v_mov_b32_e32 v151, s35
	s_xor_b32 exec_lo, exec_lo, s14
	s_cbranch_execz .LBB4_5253
.LBB4_5616:                             ;   in Loop: Header=BB4_5018 Depth=3
	v_cmp_ne_u16_e32 vcc_lo, 0, v13
	v_mov_b32_e32 v151, 0
	s_and_not1_b32 s15, s15, exec_lo
	s_and_b32 vcc_lo, vcc_lo, exec_lo
	s_delay_alu instid0(SALU_CYCLE_1)
	s_or_b32 s15, s15, vcc_lo
	s_or_b32 exec_lo, exec_lo, s14
	s_and_saveexec_b32 s14, s15
	s_cbranch_execnz .LBB4_5254
	s_branch .LBB4_5255
.LBB4_5617:                             ;   in Loop: Header=BB4_5018 Depth=3
	s_mov_b32 s14, -1
	s_mov_b32 s36, exec_lo
                                        ; implicit-def: $sgpr15
	v_cmpx_eq_u16_e64 0x80, v161
; %bb.5618:                             ;   in Loop: Header=BB4_5018 Depth=3
	s_mov_b32 s15, 0x7f800001
	s_xor_b32 s14, exec_lo, -1
; %bb.5619:                             ;   in Loop: Header=BB4_5018 Depth=3
	s_or_b32 exec_lo, exec_lo, s36
	s_delay_alu instid0(SALU_CYCLE_1)
	s_and_b32 s14, s14, exec_lo
                                        ; implicit-def: $vgpr161
	s_or_saveexec_b32 s35, s35
	v_mov_b32_e32 v160, s15
	s_xor_b32 exec_lo, exec_lo, s35
	s_cbranch_execz .LBB4_5257
.LBB4_5620:                             ;   in Loop: Header=BB4_5018 Depth=3
	v_cmp_ne_u16_e64 vcc_lo, 0, v161
	v_mov_b32_e32 v160, 0
	s_and_not1_b32 s14, s14, exec_lo
	s_delay_alu instid0(VALU_DEP_2) | instskip(NEXT) | instid1(SALU_CYCLE_1)
	s_and_b32 s15, vcc_lo, exec_lo
	s_or_b32 s14, s14, s15
	s_or_b32 exec_lo, exec_lo, s35
	s_and_saveexec_b32 s15, s14
	s_cbranch_execnz .LBB4_5258
	s_branch .LBB4_5259
.LBB4_5621:                             ;   in Loop: Header=BB4_5018 Depth=3
	s_mov_b32 s14, -1
	s_mov_b32 s36, exec_lo
                                        ; implicit-def: $sgpr15
	v_cmpx_eq_u16_e32 0x80, v13
; %bb.5622:                             ;   in Loop: Header=BB4_5018 Depth=3
	s_mov_b32 s15, 0x7f800001
	s_xor_b32 s14, exec_lo, -1
; %bb.5623:                             ;   in Loop: Header=BB4_5018 Depth=3
	s_or_b32 exec_lo, exec_lo, s36
	s_delay_alu instid0(SALU_CYCLE_1)
	s_and_b32 s14, s14, exec_lo
                                        ; implicit-def: $vgpr13
	s_or_saveexec_b32 s35, s35
	v_mov_b32_e32 v151, s15
	s_xor_b32 exec_lo, exec_lo, s35
	s_cbranch_execz .LBB4_5264
.LBB4_5624:                             ;   in Loop: Header=BB4_5018 Depth=3
	v_cmp_ne_u16_e32 vcc_lo, 0, v13
	v_mov_b32_e32 v151, 0
	s_and_not1_b32 s14, s14, exec_lo
	s_and_b32 s15, vcc_lo, exec_lo
	s_delay_alu instid0(SALU_CYCLE_1)
	s_or_b32 s14, s14, s15
	s_or_b32 exec_lo, exec_lo, s35
	s_and_saveexec_b32 s15, s14
	s_cbranch_execnz .LBB4_5265
	s_branch .LBB4_5266
.LBB4_5625:                             ;   in Loop: Header=BB4_5018 Depth=3
	s_mov_b32 s14, -1
	s_mov_b32 s36, exec_lo
                                        ; implicit-def: $sgpr15
	v_cmpx_eq_u16_e64 0x80, v160
; %bb.5626:                             ;   in Loop: Header=BB4_5018 Depth=3
	s_mov_b32 s15, 0x7f800001
	s_xor_b32 s14, exec_lo, -1
; %bb.5627:                             ;   in Loop: Header=BB4_5018 Depth=3
	s_or_b32 exec_lo, exec_lo, s36
	s_delay_alu instid0(SALU_CYCLE_1)
	s_and_b32 s14, s14, exec_lo
                                        ; implicit-def: $vgpr160
	s_or_saveexec_b32 s35, s35
	v_mov_b32_e32 v13, s15
	s_xor_b32 exec_lo, exec_lo, s35
	s_cbranch_execz .LBB4_5268
.LBB4_5628:                             ;   in Loop: Header=BB4_5018 Depth=3
	v_cmp_ne_u16_e64 vcc_lo, 0, v160
	v_mov_b32_e32 v13, 0
	s_and_not1_b32 s14, s14, exec_lo
	s_delay_alu instid0(VALU_DEP_2) | instskip(NEXT) | instid1(SALU_CYCLE_1)
	s_and_b32 s15, vcc_lo, exec_lo
	s_or_b32 s14, s14, s15
	s_or_b32 exec_lo, exec_lo, s35
	s_and_saveexec_b32 s15, s14
	s_cbranch_execnz .LBB4_5269
	s_branch .LBB4_5270
.LBB4_5629:                             ;   in Loop: Header=BB4_5018 Depth=3
	s_mov_b32 s15, -1
	s_mov_b32 s36, exec_lo
                                        ; implicit-def: $sgpr35
	v_cmpx_eq_u16_e64 0x80, v160
; %bb.5630:                             ;   in Loop: Header=BB4_5018 Depth=3
	s_mov_b32 s35, 0x7f800001
	s_xor_b32 s15, exec_lo, -1
; %bb.5631:                             ;   in Loop: Header=BB4_5018 Depth=3
	s_or_b32 exec_lo, exec_lo, s36
	s_delay_alu instid0(SALU_CYCLE_1)
	s_and_b32 s15, s15, exec_lo
	s_or_saveexec_b32 s14, s14
	v_mov_b32_e32 v161, s35
	s_xor_b32 exec_lo, exec_lo, s14
	s_cbranch_execz .LBB4_5282
.LBB4_5632:                             ;   in Loop: Header=BB4_5018 Depth=3
	v_cmp_ne_u16_e64 vcc_lo, 0, v160
	v_mov_b32_e32 v161, 0
	s_and_not1_b32 s15, s15, exec_lo
	s_delay_alu instid0(VALU_DEP_2) | instskip(NEXT) | instid1(SALU_CYCLE_1)
	s_and_b32 vcc_lo, vcc_lo, exec_lo
	s_or_b32 s15, s15, vcc_lo
	s_or_b32 exec_lo, exec_lo, s14
	s_and_saveexec_b32 s14, s15
	s_cbranch_execnz .LBB4_5283
	s_branch .LBB4_5284
.LBB4_5633:                             ;   in Loop: Header=BB4_5018 Depth=3
	s_mov_b32 s14, -1
	s_mov_b32 s36, exec_lo
                                        ; implicit-def: $sgpr15
	v_cmpx_eq_u16_e64 0x80, v151
; %bb.5634:                             ;   in Loop: Header=BB4_5018 Depth=3
	s_mov_b32 s15, 0x7f800001
	s_xor_b32 s14, exec_lo, -1
; %bb.5635:                             ;   in Loop: Header=BB4_5018 Depth=3
	s_or_b32 exec_lo, exec_lo, s36
	s_delay_alu instid0(SALU_CYCLE_1)
	s_and_b32 s14, s14, exec_lo
	s_or_saveexec_b32 s35, s35
	v_mov_b32_e32 v162, s15
	s_xor_b32 exec_lo, exec_lo, s35
	s_cbranch_execz .LBB4_5286
.LBB4_5636:                             ;   in Loop: Header=BB4_5018 Depth=3
	v_cmp_ne_u16_e64 vcc_lo, 0, v151
	v_mov_b32_e32 v162, 0
	s_and_not1_b32 s14, s14, exec_lo
	s_delay_alu instid0(VALU_DEP_2) | instskip(NEXT) | instid1(SALU_CYCLE_1)
	s_and_b32 s15, vcc_lo, exec_lo
	s_or_b32 s14, s14, s15
	s_or_b32 exec_lo, exec_lo, s35
	s_and_saveexec_b32 s15, s14
	s_cbranch_execnz .LBB4_5287
	s_branch .LBB4_5288
.LBB4_5637:                             ;   in Loop: Header=BB4_5018 Depth=3
	s_mov_b32 s14, -1
	s_mov_b32 s36, exec_lo
                                        ; implicit-def: $sgpr15
	v_cmpx_eq_u16_e64 0x80, v160
; %bb.5638:                             ;   in Loop: Header=BB4_5018 Depth=3
	s_mov_b32 s15, 0x7f800001
	s_xor_b32 s14, exec_lo, -1
; %bb.5639:                             ;   in Loop: Header=BB4_5018 Depth=3
	s_or_b32 exec_lo, exec_lo, s36
	s_delay_alu instid0(SALU_CYCLE_1)
	s_and_b32 s14, s14, exec_lo
	s_or_saveexec_b32 s35, s35
	v_mov_b32_e32 v161, s15
	s_xor_b32 exec_lo, exec_lo, s35
	s_cbranch_execz .LBB4_5293
.LBB4_5640:                             ;   in Loop: Header=BB4_5018 Depth=3
	v_cmp_ne_u16_e64 vcc_lo, 0, v160
	v_mov_b32_e32 v161, 0
	s_and_not1_b32 s14, s14, exec_lo
	s_delay_alu instid0(VALU_DEP_2) | instskip(NEXT) | instid1(SALU_CYCLE_1)
	s_and_b32 s15, vcc_lo, exec_lo
	s_or_b32 s14, s14, s15
	s_or_b32 exec_lo, exec_lo, s35
	s_and_saveexec_b32 s15, s14
	s_cbranch_execnz .LBB4_5294
	s_branch .LBB4_5295
.LBB4_5641:                             ;   in Loop: Header=BB4_5018 Depth=3
	s_mov_b32 s14, -1
	s_mov_b32 s36, exec_lo
                                        ; implicit-def: $sgpr15
	v_cmpx_eq_u16_e64 0x80, v151
; %bb.5642:                             ;   in Loop: Header=BB4_5018 Depth=3
	s_mov_b32 s15, 0x7f800001
	s_xor_b32 s14, exec_lo, -1
; %bb.5643:                             ;   in Loop: Header=BB4_5018 Depth=3
	s_or_b32 exec_lo, exec_lo, s36
	s_delay_alu instid0(SALU_CYCLE_1)
	s_and_b32 s14, s14, exec_lo
	s_or_saveexec_b32 s35, s35
	v_mov_b32_e32 v160, s15
	s_xor_b32 exec_lo, exec_lo, s35
	s_cbranch_execz .LBB4_5297
.LBB4_5644:                             ;   in Loop: Header=BB4_5018 Depth=3
	v_cmp_ne_u16_e64 vcc_lo, 0, v151
	v_mov_b32_e32 v160, 0
	s_and_not1_b32 s14, s14, exec_lo
	s_delay_alu instid0(VALU_DEP_2) | instskip(NEXT) | instid1(SALU_CYCLE_1)
	s_and_b32 s15, vcc_lo, exec_lo
	s_or_b32 s14, s14, s15
	s_or_b32 exec_lo, exec_lo, s35
	s_and_saveexec_b32 s15, s14
	s_cbranch_execnz .LBB4_5298
	s_branch .LBB4_5299
.LBB4_5645:                             ;   in Loop: Header=BB4_5018 Depth=3
	s_mov_b32 s15, -1
	s_mov_b32 s36, exec_lo
                                        ; implicit-def: $sgpr35
	v_cmpx_eq_u16_e64 0x80, v162
; %bb.5646:                             ;   in Loop: Header=BB4_5018 Depth=3
	s_mov_b32 s35, 0x7f800001
	s_xor_b32 s15, exec_lo, -1
; %bb.5647:                             ;   in Loop: Header=BB4_5018 Depth=3
	s_or_b32 exec_lo, exec_lo, s36
	s_delay_alu instid0(SALU_CYCLE_1)
	s_and_b32 s15, s15, exec_lo
	s_or_saveexec_b32 s14, s14
	v_mov_b32_e32 v163, s35
	s_xor_b32 exec_lo, exec_lo, s14
	s_cbranch_execz .LBB4_5311
.LBB4_5648:                             ;   in Loop: Header=BB4_5018 Depth=3
	v_cmp_ne_u16_e64 vcc_lo, 0, v162
	v_mov_b32_e32 v163, 0
	s_and_not1_b32 s15, s15, exec_lo
	s_delay_alu instid0(VALU_DEP_2) | instskip(NEXT) | instid1(SALU_CYCLE_1)
	s_and_b32 vcc_lo, vcc_lo, exec_lo
	s_or_b32 s15, s15, vcc_lo
	s_or_b32 exec_lo, exec_lo, s14
	s_and_saveexec_b32 s14, s15
	s_cbranch_execnz .LBB4_5312
	s_branch .LBB4_5313
.LBB4_5649:                             ;   in Loop: Header=BB4_5018 Depth=3
	s_mov_b32 s14, -1
	s_mov_b32 s36, exec_lo
                                        ; implicit-def: $sgpr15
	v_cmpx_eq_u16_e64 0x80, v165
; %bb.5650:                             ;   in Loop: Header=BB4_5018 Depth=3
	s_mov_b32 s15, 0x7f800001
	s_xor_b32 s14, exec_lo, -1
; %bb.5651:                             ;   in Loop: Header=BB4_5018 Depth=3
	s_or_b32 exec_lo, exec_lo, s36
	s_delay_alu instid0(SALU_CYCLE_1)
	s_and_b32 s14, s14, exec_lo
                                        ; implicit-def: $vgpr165
	s_or_saveexec_b32 s35, s35
	v_mov_b32_e32 v164, s15
	s_xor_b32 exec_lo, exec_lo, s35
	s_cbranch_execz .LBB4_5315
.LBB4_5652:                             ;   in Loop: Header=BB4_5018 Depth=3
	v_cmp_ne_u16_e64 vcc_lo, 0, v165
	v_mov_b32_e32 v164, 0
	s_and_not1_b32 s14, s14, exec_lo
	s_delay_alu instid0(VALU_DEP_2) | instskip(NEXT) | instid1(SALU_CYCLE_1)
	s_and_b32 s15, vcc_lo, exec_lo
	s_or_b32 s14, s14, s15
	s_or_b32 exec_lo, exec_lo, s35
	s_and_saveexec_b32 s15, s14
	s_cbranch_execnz .LBB4_5316
	s_branch .LBB4_5317
.LBB4_5653:                             ;   in Loop: Header=BB4_5018 Depth=3
	s_mov_b32 s14, -1
	s_mov_b32 s36, exec_lo
                                        ; implicit-def: $sgpr15
	v_cmpx_eq_u16_e64 0x80, v162
; %bb.5654:                             ;   in Loop: Header=BB4_5018 Depth=3
	s_mov_b32 s15, 0x7f800001
	s_xor_b32 s14, exec_lo, -1
; %bb.5655:                             ;   in Loop: Header=BB4_5018 Depth=3
	s_or_b32 exec_lo, exec_lo, s36
	s_delay_alu instid0(SALU_CYCLE_1)
	s_and_b32 s14, s14, exec_lo
                                        ; implicit-def: $vgpr162
	s_or_saveexec_b32 s35, s35
	v_mov_b32_e32 v163, s15
	s_xor_b32 exec_lo, exec_lo, s35
	s_cbranch_execz .LBB4_5322
.LBB4_5656:                             ;   in Loop: Header=BB4_5018 Depth=3
	v_cmp_ne_u16_e64 vcc_lo, 0, v162
	v_mov_b32_e32 v163, 0
	s_and_not1_b32 s14, s14, exec_lo
	s_delay_alu instid0(VALU_DEP_2) | instskip(NEXT) | instid1(SALU_CYCLE_1)
	s_and_b32 s15, vcc_lo, exec_lo
	s_or_b32 s14, s14, s15
	s_or_b32 exec_lo, exec_lo, s35
	s_and_saveexec_b32 s15, s14
	s_cbranch_execnz .LBB4_5323
	s_branch .LBB4_5324
.LBB4_5657:                             ;   in Loop: Header=BB4_5018 Depth=3
	s_mov_b32 s14, -1
	s_mov_b32 s36, exec_lo
                                        ; implicit-def: $sgpr15
	v_cmpx_eq_u16_e64 0x80, v162
; %bb.5658:                             ;   in Loop: Header=BB4_5018 Depth=3
	s_mov_b32 s15, 0x7f800001
	s_xor_b32 s14, exec_lo, -1
; %bb.5659:                             ;   in Loop: Header=BB4_5018 Depth=3
	s_or_b32 exec_lo, exec_lo, s36
	s_delay_alu instid0(SALU_CYCLE_1)
	s_and_b32 s14, s14, exec_lo
                                        ; implicit-def: $vgpr162
	s_or_saveexec_b32 s35, s35
	v_mov_b32_e32 v161, s15
	s_xor_b32 exec_lo, exec_lo, s35
	s_cbranch_execz .LBB4_5326
.LBB4_5660:                             ;   in Loop: Header=BB4_5018 Depth=3
	v_cmp_ne_u16_e64 vcc_lo, 0, v162
	v_mov_b32_e32 v161, 0
	s_and_not1_b32 s14, s14, exec_lo
	s_delay_alu instid0(VALU_DEP_2) | instskip(NEXT) | instid1(SALU_CYCLE_1)
	s_and_b32 s15, vcc_lo, exec_lo
	s_or_b32 s14, s14, s15
	s_or_b32 exec_lo, exec_lo, s35
	s_and_saveexec_b32 s15, s14
	s_cbranch_execnz .LBB4_5327
	s_branch .LBB4_5328
.LBB4_5661:                             ;   in Loop: Header=BB4_5018 Depth=3
	s_mov_b32 s15, -1
	s_mov_b32 s36, exec_lo
                                        ; implicit-def: $sgpr35
	v_cmpx_eq_u16_e64 0x80, v162
; %bb.5662:                             ;   in Loop: Header=BB4_5018 Depth=3
	s_mov_b32 s35, 0x7f800001
	s_xor_b32 s15, exec_lo, -1
; %bb.5663:                             ;   in Loop: Header=BB4_5018 Depth=3
	s_or_b32 exec_lo, exec_lo, s36
	s_delay_alu instid0(SALU_CYCLE_1)
	s_and_b32 s15, s15, exec_lo
	s_or_saveexec_b32 s14, s14
	v_mov_b32_e32 v163, s35
	s_xor_b32 exec_lo, exec_lo, s14
	s_cbranch_execz .LBB4_5340
.LBB4_5664:                             ;   in Loop: Header=BB4_5018 Depth=3
	v_cmp_ne_u16_e64 vcc_lo, 0, v162
	v_mov_b32_e32 v163, 0
	s_and_not1_b32 s15, s15, exec_lo
	s_delay_alu instid0(VALU_DEP_2) | instskip(NEXT) | instid1(SALU_CYCLE_1)
	s_and_b32 vcc_lo, vcc_lo, exec_lo
	s_or_b32 s15, s15, vcc_lo
	s_or_b32 exec_lo, exec_lo, s14
	s_and_saveexec_b32 s14, s15
	s_cbranch_execnz .LBB4_5341
	s_branch .LBB4_5342
.LBB4_5665:                             ;   in Loop: Header=BB4_5018 Depth=3
	s_mov_b32 s14, -1
	s_mov_b32 s36, exec_lo
                                        ; implicit-def: $sgpr15
	v_cmpx_eq_u16_e64 0x80, v161
; %bb.5666:                             ;   in Loop: Header=BB4_5018 Depth=3
	s_mov_b32 s15, 0x7f800001
	s_xor_b32 s14, exec_lo, -1
; %bb.5667:                             ;   in Loop: Header=BB4_5018 Depth=3
	s_or_b32 exec_lo, exec_lo, s36
	s_delay_alu instid0(SALU_CYCLE_1)
	s_and_b32 s14, s14, exec_lo
	s_or_saveexec_b32 s35, s35
	v_mov_b32_e32 v164, s15
	s_xor_b32 exec_lo, exec_lo, s35
	s_cbranch_execz .LBB4_5344
.LBB4_5668:                             ;   in Loop: Header=BB4_5018 Depth=3
	v_cmp_ne_u16_e64 vcc_lo, 0, v161
	v_mov_b32_e32 v164, 0
	s_and_not1_b32 s14, s14, exec_lo
	s_delay_alu instid0(VALU_DEP_2) | instskip(NEXT) | instid1(SALU_CYCLE_1)
	s_and_b32 s15, vcc_lo, exec_lo
	s_or_b32 s14, s14, s15
	s_or_b32 exec_lo, exec_lo, s35
	s_and_saveexec_b32 s15, s14
	s_cbranch_execnz .LBB4_5345
	s_branch .LBB4_5346
.LBB4_5669:                             ;   in Loop: Header=BB4_5018 Depth=3
	s_mov_b32 s14, -1
	s_mov_b32 s36, exec_lo
                                        ; implicit-def: $sgpr15
	v_cmpx_eq_u16_e64 0x80, v162
; %bb.5670:                             ;   in Loop: Header=BB4_5018 Depth=3
	s_mov_b32 s15, 0x7f800001
	s_xor_b32 s14, exec_lo, -1
; %bb.5671:                             ;   in Loop: Header=BB4_5018 Depth=3
	s_or_b32 exec_lo, exec_lo, s36
	s_delay_alu instid0(SALU_CYCLE_1)
	s_and_b32 s14, s14, exec_lo
	s_or_saveexec_b32 s35, s35
	v_mov_b32_e32 v163, s15
	s_xor_b32 exec_lo, exec_lo, s35
	s_cbranch_execz .LBB4_5351
.LBB4_5672:                             ;   in Loop: Header=BB4_5018 Depth=3
	v_cmp_ne_u16_e64 vcc_lo, 0, v162
	v_mov_b32_e32 v163, 0
	s_and_not1_b32 s14, s14, exec_lo
	s_delay_alu instid0(VALU_DEP_2) | instskip(NEXT) | instid1(SALU_CYCLE_1)
	s_and_b32 s15, vcc_lo, exec_lo
	s_or_b32 s14, s14, s15
	s_or_b32 exec_lo, exec_lo, s35
	s_and_saveexec_b32 s15, s14
	s_cbranch_execnz .LBB4_5352
	s_branch .LBB4_5353
.LBB4_5673:                             ;   in Loop: Header=BB4_5018 Depth=3
	s_mov_b32 s14, -1
	s_mov_b32 s36, exec_lo
                                        ; implicit-def: $sgpr15
	v_cmpx_eq_u16_e64 0x80, v161
; %bb.5674:                             ;   in Loop: Header=BB4_5018 Depth=3
	s_mov_b32 s15, 0x7f800001
	s_xor_b32 s14, exec_lo, -1
; %bb.5675:                             ;   in Loop: Header=BB4_5018 Depth=3
	s_or_b32 exec_lo, exec_lo, s36
	s_delay_alu instid0(SALU_CYCLE_1)
	s_and_b32 s14, s14, exec_lo
	s_or_saveexec_b32 s35, s35
	v_mov_b32_e32 v14, s15
	s_xor_b32 exec_lo, exec_lo, s35
	s_cbranch_execz .LBB4_5355
.LBB4_5676:                             ;   in Loop: Header=BB4_5018 Depth=3
	v_cmp_ne_u16_e64 vcc_lo, 0, v161
	v_mov_b32_e32 v14, 0
	s_and_not1_b32 s14, s14, exec_lo
	s_delay_alu instid0(VALU_DEP_2) | instskip(NEXT) | instid1(SALU_CYCLE_1)
	s_and_b32 s15, vcc_lo, exec_lo
	s_or_b32 s14, s14, s15
	s_or_b32 exec_lo, exec_lo, s35
	s_and_saveexec_b32 s15, s14
	s_cbranch_execnz .LBB4_5356
	s_branch .LBB4_5357
.LBB4_5677:                             ;   in Loop: Header=BB4_5018 Depth=3
	s_mov_b32 s15, -1
	s_mov_b32 s36, exec_lo
                                        ; implicit-def: $sgpr35
	v_cmpx_eq_u16_e32 0x80, v14
; %bb.5678:                             ;   in Loop: Header=BB4_5018 Depth=3
	s_mov_b32 s35, 0x7f800001
	s_xor_b32 s15, exec_lo, -1
; %bb.5679:                             ;   in Loop: Header=BB4_5018 Depth=3
	s_or_b32 exec_lo, exec_lo, s36
	s_delay_alu instid0(SALU_CYCLE_1)
	s_and_b32 s15, s15, exec_lo
	s_or_saveexec_b32 s14, s14
	v_mov_b32_e32 v161, s35
	s_xor_b32 exec_lo, exec_lo, s14
	s_cbranch_execz .LBB4_5369
.LBB4_5680:                             ;   in Loop: Header=BB4_5018 Depth=3
	v_cmp_ne_u16_e32 vcc_lo, 0, v14
	v_mov_b32_e32 v161, 0
	s_and_not1_b32 s15, s15, exec_lo
	s_and_b32 vcc_lo, vcc_lo, exec_lo
	s_delay_alu instid0(SALU_CYCLE_1)
	s_or_b32 s15, s15, vcc_lo
	s_or_b32 exec_lo, exec_lo, s14
	s_and_saveexec_b32 s14, s15
	s_cbranch_execnz .LBB4_5370
	s_branch .LBB4_5371
.LBB4_5681:                             ;   in Loop: Header=BB4_5018 Depth=3
	s_mov_b32 s14, -1
	s_mov_b32 s36, exec_lo
                                        ; implicit-def: $sgpr15
	v_cmpx_eq_u16_e64 0x80, v163
; %bb.5682:                             ;   in Loop: Header=BB4_5018 Depth=3
	s_mov_b32 s15, 0x7f800001
	s_xor_b32 s14, exec_lo, -1
; %bb.5683:                             ;   in Loop: Header=BB4_5018 Depth=3
	s_or_b32 exec_lo, exec_lo, s36
	s_delay_alu instid0(SALU_CYCLE_1)
	s_and_b32 s14, s14, exec_lo
                                        ; implicit-def: $vgpr163
	s_or_saveexec_b32 s35, s35
	v_mov_b32_e32 v162, s15
	s_xor_b32 exec_lo, exec_lo, s35
	s_cbranch_execz .LBB4_5373
.LBB4_5684:                             ;   in Loop: Header=BB4_5018 Depth=3
	v_cmp_ne_u16_e64 vcc_lo, 0, v163
	v_mov_b32_e32 v162, 0
	s_and_not1_b32 s14, s14, exec_lo
	s_delay_alu instid0(VALU_DEP_2) | instskip(NEXT) | instid1(SALU_CYCLE_1)
	s_and_b32 s15, vcc_lo, exec_lo
	s_or_b32 s14, s14, s15
	s_or_b32 exec_lo, exec_lo, s35
	s_and_saveexec_b32 s15, s14
	s_cbranch_execnz .LBB4_5374
	s_branch .LBB4_5375
.LBB4_5685:                             ;   in Loop: Header=BB4_5018 Depth=3
	s_mov_b32 s14, -1
	s_mov_b32 s36, exec_lo
                                        ; implicit-def: $sgpr15
	v_cmpx_eq_u16_e32 0x80, v14
; %bb.5686:                             ;   in Loop: Header=BB4_5018 Depth=3
	s_mov_b32 s15, 0x7f800001
	s_xor_b32 s14, exec_lo, -1
; %bb.5687:                             ;   in Loop: Header=BB4_5018 Depth=3
	s_or_b32 exec_lo, exec_lo, s36
	s_delay_alu instid0(SALU_CYCLE_1)
	s_and_b32 s14, s14, exec_lo
                                        ; implicit-def: $vgpr14
	s_or_saveexec_b32 s35, s35
	v_mov_b32_e32 v161, s15
	s_xor_b32 exec_lo, exec_lo, s35
	s_cbranch_execz .LBB4_5380
.LBB4_5688:                             ;   in Loop: Header=BB4_5018 Depth=3
	v_cmp_ne_u16_e32 vcc_lo, 0, v14
	v_mov_b32_e32 v161, 0
	s_and_not1_b32 s14, s14, exec_lo
	s_and_b32 s15, vcc_lo, exec_lo
	s_delay_alu instid0(SALU_CYCLE_1)
	s_or_b32 s14, s14, s15
	s_or_b32 exec_lo, exec_lo, s35
	s_and_saveexec_b32 s15, s14
	s_cbranch_execnz .LBB4_5381
	s_branch .LBB4_5382
.LBB4_5689:                             ;   in Loop: Header=BB4_5018 Depth=3
	s_mov_b32 s14, -1
	s_mov_b32 s36, exec_lo
                                        ; implicit-def: $sgpr15
	v_cmpx_eq_u16_e64 0x80, v162
; %bb.5690:                             ;   in Loop: Header=BB4_5018 Depth=3
	s_mov_b32 s15, 0x7f800001
	s_xor_b32 s14, exec_lo, -1
; %bb.5691:                             ;   in Loop: Header=BB4_5018 Depth=3
	s_or_b32 exec_lo, exec_lo, s36
	s_delay_alu instid0(SALU_CYCLE_1)
	s_and_b32 s14, s14, exec_lo
                                        ; implicit-def: $vgpr162
	s_or_saveexec_b32 s35, s35
	v_mov_b32_e32 v14, s15
	s_xor_b32 exec_lo, exec_lo, s35
	s_cbranch_execz .LBB4_5384
.LBB4_5692:                             ;   in Loop: Header=BB4_5018 Depth=3
	v_cmp_ne_u16_e64 vcc_lo, 0, v162
	v_mov_b32_e32 v14, 0
	s_and_not1_b32 s14, s14, exec_lo
	s_delay_alu instid0(VALU_DEP_2) | instskip(NEXT) | instid1(SALU_CYCLE_1)
	s_and_b32 s15, vcc_lo, exec_lo
	s_or_b32 s14, s14, s15
	s_or_b32 exec_lo, exec_lo, s35
	s_and_saveexec_b32 s15, s14
	s_cbranch_execnz .LBB4_5385
	s_branch .LBB4_5386
.LBB4_5693:                             ;   in Loop: Header=BB4_5018 Depth=3
	s_mov_b32 s15, -1
	s_mov_b32 s36, exec_lo
                                        ; implicit-def: $sgpr35
	v_cmpx_eq_u16_e64 0x80, v162
; %bb.5694:                             ;   in Loop: Header=BB4_5018 Depth=3
	s_mov_b32 s35, 0x7f800001
	s_xor_b32 s15, exec_lo, -1
; %bb.5695:                             ;   in Loop: Header=BB4_5018 Depth=3
	s_or_b32 exec_lo, exec_lo, s36
	s_delay_alu instid0(SALU_CYCLE_1)
	s_and_b32 s15, s15, exec_lo
	s_or_saveexec_b32 s14, s14
	v_mov_b32_e32 v163, s35
	s_xor_b32 exec_lo, exec_lo, s14
	s_cbranch_execz .LBB4_5398
.LBB4_5696:                             ;   in Loop: Header=BB4_5018 Depth=3
	v_cmp_ne_u16_e64 vcc_lo, 0, v162
	v_mov_b32_e32 v163, 0
	s_and_not1_b32 s15, s15, exec_lo
	s_delay_alu instid0(VALU_DEP_2) | instskip(NEXT) | instid1(SALU_CYCLE_1)
	s_and_b32 vcc_lo, vcc_lo, exec_lo
	s_or_b32 s15, s15, vcc_lo
	s_or_b32 exec_lo, exec_lo, s14
	s_and_saveexec_b32 s14, s15
	s_cbranch_execnz .LBB4_5399
	s_branch .LBB4_5400
.LBB4_5697:                             ;   in Loop: Header=BB4_5018 Depth=3
	s_mov_b32 s14, -1
	s_mov_b32 s36, exec_lo
                                        ; implicit-def: $sgpr15
	v_cmpx_eq_u16_e64 0x80, v161
; %bb.5698:                             ;   in Loop: Header=BB4_5018 Depth=3
	s_mov_b32 s15, 0x7f800001
	s_xor_b32 s14, exec_lo, -1
; %bb.5699:                             ;   in Loop: Header=BB4_5018 Depth=3
	s_or_b32 exec_lo, exec_lo, s36
	s_delay_alu instid0(SALU_CYCLE_1)
	s_and_b32 s14, s14, exec_lo
	s_or_saveexec_b32 s35, s35
	v_mov_b32_e32 v164, s15
	s_xor_b32 exec_lo, exec_lo, s35
	s_cbranch_execz .LBB4_5402
.LBB4_5700:                             ;   in Loop: Header=BB4_5018 Depth=3
	v_cmp_ne_u16_e64 vcc_lo, 0, v161
	v_mov_b32_e32 v164, 0
	s_and_not1_b32 s14, s14, exec_lo
	s_delay_alu instid0(VALU_DEP_2) | instskip(NEXT) | instid1(SALU_CYCLE_1)
	s_and_b32 s15, vcc_lo, exec_lo
	s_or_b32 s14, s14, s15
	s_or_b32 exec_lo, exec_lo, s35
	s_and_saveexec_b32 s15, s14
	s_cbranch_execnz .LBB4_5403
	s_branch .LBB4_5404
.LBB4_5701:                             ;   in Loop: Header=BB4_5018 Depth=3
	s_mov_b32 s14, -1
	s_mov_b32 s36, exec_lo
                                        ; implicit-def: $sgpr15
	v_cmpx_eq_u16_e64 0x80, v162
; %bb.5702:                             ;   in Loop: Header=BB4_5018 Depth=3
	s_mov_b32 s15, 0x7f800001
	s_xor_b32 s14, exec_lo, -1
; %bb.5703:                             ;   in Loop: Header=BB4_5018 Depth=3
	s_or_b32 exec_lo, exec_lo, s36
	s_delay_alu instid0(SALU_CYCLE_1)
	s_and_b32 s14, s14, exec_lo
	s_or_saveexec_b32 s35, s35
	v_mov_b32_e32 v163, s15
	s_xor_b32 exec_lo, exec_lo, s35
	s_cbranch_execz .LBB4_5409
.LBB4_5704:                             ;   in Loop: Header=BB4_5018 Depth=3
	v_cmp_ne_u16_e64 vcc_lo, 0, v162
	v_mov_b32_e32 v163, 0
	s_and_not1_b32 s14, s14, exec_lo
	s_delay_alu instid0(VALU_DEP_2) | instskip(NEXT) | instid1(SALU_CYCLE_1)
	s_and_b32 s15, vcc_lo, exec_lo
	s_or_b32 s14, s14, s15
	s_or_b32 exec_lo, exec_lo, s35
	s_and_saveexec_b32 s15, s14
	s_cbranch_execnz .LBB4_5410
	s_branch .LBB4_5411
.LBB4_5705:                             ;   in Loop: Header=BB4_5018 Depth=3
	s_mov_b32 s14, -1
	s_mov_b32 s36, exec_lo
                                        ; implicit-def: $sgpr15
	v_cmpx_eq_u16_e64 0x80, v161
; %bb.5706:                             ;   in Loop: Header=BB4_5018 Depth=3
	s_mov_b32 s15, 0x7f800001
	s_xor_b32 s14, exec_lo, -1
; %bb.5707:                             ;   in Loop: Header=BB4_5018 Depth=3
	s_or_b32 exec_lo, exec_lo, s36
	s_delay_alu instid0(SALU_CYCLE_1)
	s_and_b32 s14, s14, exec_lo
	s_or_saveexec_b32 s35, s35
	v_mov_b32_e32 v162, s15
	s_xor_b32 exec_lo, exec_lo, s35
	s_cbranch_execz .LBB4_5413
.LBB4_5708:                             ;   in Loop: Header=BB4_5018 Depth=3
	v_cmp_ne_u16_e64 vcc_lo, 0, v161
	v_mov_b32_e32 v162, 0
	s_and_not1_b32 s14, s14, exec_lo
	s_delay_alu instid0(VALU_DEP_2) | instskip(NEXT) | instid1(SALU_CYCLE_1)
	s_and_b32 s15, vcc_lo, exec_lo
	s_or_b32 s14, s14, s15
	s_or_b32 exec_lo, exec_lo, s35
	s_and_saveexec_b32 s15, s14
	s_cbranch_execnz .LBB4_5414
	s_branch .LBB4_5415
.LBB4_5709:                             ;   in Loop: Header=BB4_5018 Depth=3
	s_mov_b32 s15, -1
	s_mov_b32 s36, exec_lo
                                        ; implicit-def: $sgpr35
	v_cmpx_eq_u16_e64 0x80, v164
; %bb.5710:                             ;   in Loop: Header=BB4_5018 Depth=3
	s_mov_b32 s35, 0x7f800001
	s_xor_b32 s15, exec_lo, -1
; %bb.5711:                             ;   in Loop: Header=BB4_5018 Depth=3
	s_or_b32 exec_lo, exec_lo, s36
	s_delay_alu instid0(SALU_CYCLE_1)
	s_and_b32 s15, s15, exec_lo
	s_or_saveexec_b32 s14, s14
	v_mov_b32_e32 v165, s35
	s_xor_b32 exec_lo, exec_lo, s14
	s_cbranch_execz .LBB4_5427
.LBB4_5712:                             ;   in Loop: Header=BB4_5018 Depth=3
	v_cmp_ne_u16_e64 vcc_lo, 0, v164
	v_mov_b32_e32 v165, 0
	s_and_not1_b32 s15, s15, exec_lo
	s_delay_alu instid0(VALU_DEP_2) | instskip(NEXT) | instid1(SALU_CYCLE_1)
	s_and_b32 vcc_lo, vcc_lo, exec_lo
	s_or_b32 s15, s15, vcc_lo
	s_or_b32 exec_lo, exec_lo, s14
	s_and_saveexec_b32 s14, s15
	s_cbranch_execnz .LBB4_5428
	s_branch .LBB4_5429
.LBB4_5713:                             ;   in Loop: Header=BB4_5018 Depth=3
	s_mov_b32 s14, -1
	s_mov_b32 s36, exec_lo
                                        ; implicit-def: $sgpr15
	v_cmpx_eq_u16_e64 0x80, v167
; %bb.5714:                             ;   in Loop: Header=BB4_5018 Depth=3
	s_mov_b32 s15, 0x7f800001
	s_xor_b32 s14, exec_lo, -1
; %bb.5715:                             ;   in Loop: Header=BB4_5018 Depth=3
	s_or_b32 exec_lo, exec_lo, s36
	s_delay_alu instid0(SALU_CYCLE_1)
	s_and_b32 s14, s14, exec_lo
                                        ; implicit-def: $vgpr167
	s_or_saveexec_b32 s35, s35
	v_mov_b32_e32 v166, s15
	s_xor_b32 exec_lo, exec_lo, s35
	s_cbranch_execz .LBB4_5431
.LBB4_5716:                             ;   in Loop: Header=BB4_5018 Depth=3
	v_cmp_ne_u16_e64 vcc_lo, 0, v167
	v_mov_b32_e32 v166, 0
	s_and_not1_b32 s14, s14, exec_lo
	s_delay_alu instid0(VALU_DEP_2) | instskip(NEXT) | instid1(SALU_CYCLE_1)
	s_and_b32 s15, vcc_lo, exec_lo
	s_or_b32 s14, s14, s15
	s_or_b32 exec_lo, exec_lo, s35
	s_and_saveexec_b32 s15, s14
	s_cbranch_execnz .LBB4_5432
	s_branch .LBB4_5433
.LBB4_5717:                             ;   in Loop: Header=BB4_5018 Depth=3
	s_mov_b32 s14, -1
	s_mov_b32 s36, exec_lo
                                        ; implicit-def: $sgpr15
	v_cmpx_eq_u16_e64 0x80, v164
; %bb.5718:                             ;   in Loop: Header=BB4_5018 Depth=3
	s_mov_b32 s15, 0x7f800001
	s_xor_b32 s14, exec_lo, -1
; %bb.5719:                             ;   in Loop: Header=BB4_5018 Depth=3
	s_or_b32 exec_lo, exec_lo, s36
	s_delay_alu instid0(SALU_CYCLE_1)
	s_and_b32 s14, s14, exec_lo
                                        ; implicit-def: $vgpr164
	s_or_saveexec_b32 s35, s35
	v_mov_b32_e32 v165, s15
	s_xor_b32 exec_lo, exec_lo, s35
	s_cbranch_execz .LBB4_5438
.LBB4_5720:                             ;   in Loop: Header=BB4_5018 Depth=3
	v_cmp_ne_u16_e64 vcc_lo, 0, v164
	v_mov_b32_e32 v165, 0
	s_and_not1_b32 s14, s14, exec_lo
	s_delay_alu instid0(VALU_DEP_2) | instskip(NEXT) | instid1(SALU_CYCLE_1)
	s_and_b32 s15, vcc_lo, exec_lo
	s_or_b32 s14, s14, s15
	s_or_b32 exec_lo, exec_lo, s35
	s_and_saveexec_b32 s15, s14
	s_cbranch_execnz .LBB4_5439
	s_branch .LBB4_5440
.LBB4_5721:                             ;   in Loop: Header=BB4_5018 Depth=3
	s_mov_b32 s14, -1
	s_mov_b32 s36, exec_lo
                                        ; implicit-def: $sgpr15
	v_cmpx_eq_u16_e64 0x80, v164
; %bb.5722:                             ;   in Loop: Header=BB4_5018 Depth=3
	s_mov_b32 s15, 0x7f800001
	s_xor_b32 s14, exec_lo, -1
; %bb.5723:                             ;   in Loop: Header=BB4_5018 Depth=3
	s_or_b32 exec_lo, exec_lo, s36
	s_delay_alu instid0(SALU_CYCLE_1)
	s_and_b32 s14, s14, exec_lo
                                        ; implicit-def: $vgpr164
	s_or_saveexec_b32 s35, s35
	v_mov_b32_e32 v163, s15
	s_xor_b32 exec_lo, exec_lo, s35
	s_cbranch_execz .LBB4_5442
.LBB4_5724:                             ;   in Loop: Header=BB4_5018 Depth=3
	v_cmp_ne_u16_e64 vcc_lo, 0, v164
	v_mov_b32_e32 v163, 0
	s_and_not1_b32 s14, s14, exec_lo
	s_delay_alu instid0(VALU_DEP_2) | instskip(NEXT) | instid1(SALU_CYCLE_1)
	s_and_b32 s15, vcc_lo, exec_lo
	s_or_b32 s14, s14, s15
	s_or_b32 exec_lo, exec_lo, s35
	s_and_saveexec_b32 s15, s14
	s_cbranch_execnz .LBB4_5443
	s_branch .LBB4_5444
.LBB4_5725:                             ;   in Loop: Header=BB4_5018 Depth=3
	s_mov_b32 s15, -1
	s_mov_b32 s36, exec_lo
                                        ; implicit-def: $sgpr35
	v_cmpx_eq_u16_e64 0x80, v164
; %bb.5726:                             ;   in Loop: Header=BB4_5018 Depth=3
	s_mov_b32 s35, 0x7f800001
	s_xor_b32 s15, exec_lo, -1
; %bb.5727:                             ;   in Loop: Header=BB4_5018 Depth=3
	s_or_b32 exec_lo, exec_lo, s36
	s_delay_alu instid0(SALU_CYCLE_1)
	s_and_b32 s15, s15, exec_lo
	s_or_saveexec_b32 s14, s14
	v_mov_b32_e32 v165, s35
	s_xor_b32 exec_lo, exec_lo, s14
	s_cbranch_execz .LBB4_5456
.LBB4_5728:                             ;   in Loop: Header=BB4_5018 Depth=3
	v_cmp_ne_u16_e64 vcc_lo, 0, v164
	v_mov_b32_e32 v165, 0
	s_and_not1_b32 s15, s15, exec_lo
	s_delay_alu instid0(VALU_DEP_2) | instskip(NEXT) | instid1(SALU_CYCLE_1)
	s_and_b32 vcc_lo, vcc_lo, exec_lo
	s_or_b32 s15, s15, vcc_lo
	s_or_b32 exec_lo, exec_lo, s14
	s_and_saveexec_b32 s14, s15
	s_cbranch_execnz .LBB4_5457
	s_branch .LBB4_5458
.LBB4_5729:                             ;   in Loop: Header=BB4_5018 Depth=3
	s_mov_b32 s14, -1
	s_mov_b32 s36, exec_lo
                                        ; implicit-def: $sgpr15
	v_cmpx_eq_u16_e64 0x80, v163
; %bb.5730:                             ;   in Loop: Header=BB4_5018 Depth=3
	s_mov_b32 s15, 0x7f800001
	s_xor_b32 s14, exec_lo, -1
; %bb.5731:                             ;   in Loop: Header=BB4_5018 Depth=3
	s_or_b32 exec_lo, exec_lo, s36
	s_delay_alu instid0(SALU_CYCLE_1)
	s_and_b32 s14, s14, exec_lo
	s_or_saveexec_b32 s35, s35
	v_mov_b32_e32 v166, s15
	s_xor_b32 exec_lo, exec_lo, s35
	s_cbranch_execz .LBB4_5460
.LBB4_5732:                             ;   in Loop: Header=BB4_5018 Depth=3
	v_cmp_ne_u16_e64 vcc_lo, 0, v163
	v_mov_b32_e32 v166, 0
	s_and_not1_b32 s14, s14, exec_lo
	s_delay_alu instid0(VALU_DEP_2) | instskip(NEXT) | instid1(SALU_CYCLE_1)
	s_and_b32 s15, vcc_lo, exec_lo
	s_or_b32 s14, s14, s15
	s_or_b32 exec_lo, exec_lo, s35
	s_and_saveexec_b32 s15, s14
	s_cbranch_execnz .LBB4_5461
	s_branch .LBB4_5462
.LBB4_5733:                             ;   in Loop: Header=BB4_5018 Depth=3
	s_mov_b32 s14, -1
	s_mov_b32 s36, exec_lo
                                        ; implicit-def: $sgpr15
	v_cmpx_eq_u16_e64 0x80, v164
; %bb.5734:                             ;   in Loop: Header=BB4_5018 Depth=3
	s_mov_b32 s15, 0x7f800001
	s_xor_b32 s14, exec_lo, -1
; %bb.5735:                             ;   in Loop: Header=BB4_5018 Depth=3
	s_or_b32 exec_lo, exec_lo, s36
	s_delay_alu instid0(SALU_CYCLE_1)
	s_and_b32 s14, s14, exec_lo
	s_or_saveexec_b32 s35, s35
	v_mov_b32_e32 v165, s15
	s_xor_b32 exec_lo, exec_lo, s35
	s_cbranch_execz .LBB4_5467
.LBB4_5736:                             ;   in Loop: Header=BB4_5018 Depth=3
	v_cmp_ne_u16_e64 vcc_lo, 0, v164
	v_mov_b32_e32 v165, 0
	s_and_not1_b32 s14, s14, exec_lo
	s_delay_alu instid0(VALU_DEP_2) | instskip(NEXT) | instid1(SALU_CYCLE_1)
	s_and_b32 s15, vcc_lo, exec_lo
	s_or_b32 s14, s14, s15
	s_or_b32 exec_lo, exec_lo, s35
	s_and_saveexec_b32 s15, s14
	s_cbranch_execnz .LBB4_5468
	s_branch .LBB4_5469
.LBB4_5737:                             ;   in Loop: Header=BB4_5018 Depth=3
	s_mov_b32 s14, -1
	s_mov_b32 s36, exec_lo
                                        ; implicit-def: $sgpr15
	v_cmpx_eq_u16_e64 0x80, v163
; %bb.5738:                             ;   in Loop: Header=BB4_5018 Depth=3
	s_mov_b32 s15, 0x7f800001
	s_xor_b32 s14, exec_lo, -1
; %bb.5739:                             ;   in Loop: Header=BB4_5018 Depth=3
	s_or_b32 exec_lo, exec_lo, s36
	s_delay_alu instid0(SALU_CYCLE_1)
	s_and_b32 s14, s14, exec_lo
	s_or_saveexec_b32 s35, s35
	v_mov_b32_e32 v15, s15
	s_xor_b32 exec_lo, exec_lo, s35
	s_cbranch_execz .LBB4_5471
.LBB4_5740:                             ;   in Loop: Header=BB4_5018 Depth=3
	v_cmp_ne_u16_e64 vcc_lo, 0, v163
	v_mov_b32_e32 v15, 0
	s_and_not1_b32 s14, s14, exec_lo
	s_delay_alu instid0(VALU_DEP_2) | instskip(NEXT) | instid1(SALU_CYCLE_1)
	s_and_b32 s15, vcc_lo, exec_lo
	s_or_b32 s14, s14, s15
	s_or_b32 exec_lo, exec_lo, s35
	s_and_saveexec_b32 s15, s14
	s_cbranch_execnz .LBB4_5472
	s_branch .LBB4_5473
.LBB4_5741:                             ;   in Loop: Header=BB4_3484 Depth=2
	s_or_b32 exec_lo, exec_lo, s31
.LBB4_5742:                             ;   in Loop: Header=BB4_3484 Depth=2
	s_delay_alu instid0(SALU_CYCLE_1) | instskip(SKIP_3) | instid1(VALU_DEP_1)
	s_or_b32 exec_lo, exec_lo, s17
	v_dual_mov_b32 v16, 0 :: v_dual_and_b32 v9, 15, v148
	s_mov_b32 s14, 0
	s_mov_b32 s15, exec_lo
                                        ; implicit-def: $vgpr18
                                        ; implicit-def: $vgpr8
	v_cndmask_b32_e64 v17, v80, v9, s13
	s_delay_alu instid0(VALU_DEP_1)
	v_cmpx_ne_u32_e32 0, v17
	s_cbranch_execz .LBB4_5744
; %bb.5743:                             ;   in Loop: Header=BB4_3484 Depth=2
	v_cmp_lt_i32_e32 vcc_lo, 0, v81
	v_sub_nc_u32_e32 v9, v80, v9
	s_mov_b32 s14, exec_lo
	v_cndmask_b32_e32 v8, 0, v97, vcc_lo
	s_delay_alu instid0(VALU_DEP_2) | instskip(NEXT) | instid1(VALU_DEP_2)
	v_cndmask_b32_e64 v9, 0, v9, s13
	v_sub_nc_u32_e32 v8, v8, v81
	s_delay_alu instid0(VALU_DEP_2) | instskip(NEXT) | instid1(VALU_DEP_2)
	v_add3_u32 v16, v2, v69, v9
	v_lshl_add_u32 v18, v8, 5, v70
	s_delay_alu instid0(VALU_DEP_1) | instskip(NEXT) | instid1(VALU_DEP_1)
	v_ashrrev_i32_e32 v8, 31, v18
	v_lshrrev_b32_e32 v8, 27, v8
	s_delay_alu instid0(VALU_DEP_1) | instskip(NEXT) | instid1(VALU_DEP_1)
	v_add_nc_u32_e32 v8, v18, v8
	v_ashrrev_i32_e32 v8, 5, v8
.LBB4_5744:                             ;   in Loop: Header=BB4_3484 Depth=2
	s_or_b32 exec_lo, exec_lo, s15
	s_delay_alu instid0(SALU_CYCLE_1)
	s_and_b32 s13, s14, exec_lo
.LBB4_5745:                             ;   in Loop: Header=BB4_3484 Depth=2
	s_or_b32 exec_lo, exec_lo, s16
.LBB4_5746:                             ;   in Loop: Header=BB4_3484 Depth=2
	s_and_saveexec_b32 s15, s13
	s_cbranch_execz .LBB4_6525
; %bb.5747:                             ;   in Loop: Header=BB4_3484 Depth=2
	v_ashrrev_i32_e32 v2, 31, v17
	s_mov_b32 s14, exec_lo
	s_delay_alu instid0(VALU_DEP_1) | instskip(NEXT) | instid1(VALU_DEP_1)
	v_lshrrev_b32_e32 v2, 23, v2
	v_add_nc_u32_e32 v2, v17, v2
	s_delay_alu instid0(VALU_DEP_1) | instskip(NEXT) | instid1(VALU_DEP_1)
	v_ashrrev_i32_e32 v19, 9, v2
	v_sub_nc_u32_e32 v2, v19, v8
	s_delay_alu instid0(VALU_DEP_1)
	v_cmpx_lt_i32_e32 0, v2
	s_cbranch_execz .LBB4_6472
; %bb.5748:                             ;   in Loop: Header=BB4_3484 Depth=2
	s_cbranch_execz .LBB4_5749
; %bb.10962:
	s_getpc_b64 s[48:49]
.Lpost_getpc258:
	s_add_u32 s48, s48, (.LBB4_10522-.Lpost_getpc258)&4294967295
	s_addc_u32 s49, s49, (.LBB4_10522-.Lpost_getpc258)>>32
	s_setpc_b64 s[48:49]
.LBB4_5749:                             ;   in Loop: Header=BB4_3484 Depth=2
	v_ashrrev_i32_e32 v9, 31, v18
	v_lshlrev_b32_e32 v8, 9, v8
	s_bitcmp1_b32 s30, 0
	s_mov_b32 s16, 0
	s_cselect_b32 s17, -1, 0
	v_lshrrev_b32_e32 v9, 27, v9
	s_delay_alu instid0(VALU_DEP_1) | instskip(SKIP_2) | instid1(VALU_DEP_1)
	v_add_nc_u32_e32 v13, v18, v9
	ds_load_b128 v[9:12], v0
	v_and_b32_e32 v13, 0xffffffe0, v13
	v_sub_nc_u32_e32 v13, v18, v13
	s_delay_alu instid0(VALU_DEP_1) | instskip(NEXT) | instid1(VALU_DEP_1)
	v_add3_u32 v13, v16, v13, v8
	v_ashrrev_i32_e32 v14, 31, v13
	s_waitcnt lgkmcnt(0)
	v_add_co_u32 v8, vcc_lo, v9, v13
	s_delay_alu instid0(VALU_DEP_2) | instskip(SKIP_2) | instid1(VALU_DEP_3)
	v_add_co_ci_u32_e32 v9, vcc_lo, v10, v14, vcc_lo
	v_add_co_u32 v10, vcc_lo, v11, v13
	v_add_co_ci_u32_e32 v11, vcc_lo, v12, v14, vcc_lo
	v_dual_mov_b32 v13, v9 :: v_dual_mov_b32 v12, v8
	s_delay_alu instid0(VALU_DEP_2)
	v_dual_mov_b32 v15, v11 :: v_dual_mov_b32 v14, v10
	s_branch .LBB4_5753
.LBB4_5750:                             ;   in Loop: Header=BB4_5753 Depth=3
	s_or_b32 exec_lo, exec_lo, s13
	s_delay_alu instid0(VALU_DEP_1) | instskip(NEXT) | instid1(VALU_DEP_2)
	v_lshrrev_b32_e32 v21, 20, v21
	v_cmp_gt_i32_e32 vcc_lo, 16, v20
	v_lshrrev_b32_e32 v69, 24, v69
	v_min_i32_e32 v81, 15, v20
	s_delay_alu instid0(VALU_DEP_4) | instskip(NEXT) | instid1(VALU_DEP_3)
	v_cndmask_b32_e32 v21, 7, v21, vcc_lo
	v_and_b32_e32 v69, 0x80, v69
	s_delay_alu instid0(VALU_DEP_3) | instskip(NEXT) | instid1(VALU_DEP_3)
	v_lshlrev_b32_e32 v81, 3, v81
	v_and_b32_e32 v84, 7, v21
	v_or_b32_e32 v20, v20, v21
	s_delay_alu instid0(VALU_DEP_2) | instskip(NEXT) | instid1(VALU_DEP_2)
	v_or3_b32 v21, v81, v69, v84
	v_cmp_ne_u32_e32 vcc_lo, 0, v20
	s_delay_alu instid0(VALU_DEP_2)
	v_cndmask_b32_e32 v20, 0, v21, vcc_lo
.LBB4_5751:                             ;   in Loop: Header=BB4_5753 Depth=3
	s_or_b32 exec_lo, exec_lo, s34
.LBB4_5752:                             ;   in Loop: Header=BB4_5753 Depth=3
	s_delay_alu instid0(SALU_CYCLE_1)
	s_or_b32 exec_lo, exec_lo, s31
	v_add_co_u32 v8, vcc_lo, v8, v117
	v_add_co_ci_u32_e32 v9, vcc_lo, v9, v118, vcc_lo
	v_add_co_u32 v10, vcc_lo, v10, v117
	v_sub_nc_u32_e32 v2, v2, v97
	v_add_co_ci_u32_e32 v11, vcc_lo, v11, v118, vcc_lo
	s_clause 0xf
	flat_store_b8 v[12:13], v22 glc slc dlc
	flat_store_b8 v[12:13], v70 offset:32 glc slc dlc
	flat_store_b8 v[12:13], v82 offset:64 glc slc dlc
	;; [unrolled: 1-line block ×15, first 2 shown]
	s_clause 0xf
	flat_store_b8 v[14:15], v22 glc slc dlc
	flat_store_b8 v[14:15], v70 offset:32 glc slc dlc
	flat_store_b8 v[14:15], v82 offset:64 glc slc dlc
	;; [unrolled: 1-line block ×15, first 2 shown]
	v_add_co_u32 v12, vcc_lo, v12, v117
	v_add_co_ci_u32_e32 v13, vcc_lo, v13, v118, vcc_lo
	v_cmp_gt_i32_e32 vcc_lo, 1, v2
	v_add_co_u32 v14, s13, v14, v117
	s_delay_alu instid0(VALU_DEP_1) | instskip(SKIP_1) | instid1(SALU_CYCLE_1)
	v_add_co_ci_u32_e64 v15, s13, v15, v118, s13
	s_or_b32 s16, vcc_lo, s16
	s_and_not1_b32 exec_lo, exec_lo, s16
	s_cbranch_execz .LBB4_6471
.LBB4_5753:                             ;   Parent Loop BB4_51 Depth=1
                                        ;     Parent Loop BB4_3484 Depth=2
                                        ; =>    This Inner Loop Header: Depth=3
	s_clause 0xf
	flat_load_u8 v40, v[8:9] slc dlc
	flat_load_u8 v183, v[8:9] offset:32 slc dlc
	flat_load_u8 v182, v[8:9] offset:64 slc dlc
	;; [unrolled: 1-line block ×15, first 2 shown]
	s_clause 0xf
	flat_load_u8 v22, v[10:11] slc dlc
	flat_load_u8 v70, v[10:11] offset:32 slc dlc
	flat_load_u8 v82, v[10:11] offset:64 slc dlc
	;; [unrolled: 1-line block ×15, first 2 shown]
	s_and_b32 vcc_lo, exec_lo, s17
	s_cbranch_vccz .LBB4_5763
; %bb.5754:                             ;   in Loop: Header=BB4_5753 Depth=3
	s_waitcnt vmcnt(31) lgkmcnt(31)
	v_and_b32_e32 v42, 0xff, v40
	s_mov_b32 s13, 0
	s_mov_b32 s34, exec_lo
                                        ; implicit-def: $sgpr31
	s_delay_alu instid0(VALU_DEP_1)
	v_cmpx_lt_i16_e32 0x7f, v42
	s_xor_b32 s34, exec_lo, s34
	s_cbranch_execnz .LBB4_6215
; %bb.5755:                             ;   in Loop: Header=BB4_5753 Depth=3
	s_or_saveexec_b32 s34, s34
	v_mov_b32_e32 v41, s31
	s_xor_b32 exec_lo, exec_lo, s34
	s_cbranch_execnz .LBB4_6218
.LBB4_5756:                             ;   in Loop: Header=BB4_5753 Depth=3
	s_or_b32 exec_lo, exec_lo, s34
	s_and_saveexec_b32 s31, s13
	s_cbranch_execz .LBB4_5758
.LBB4_5757:                             ;   in Loop: Header=BB4_5753 Depth=3
	v_lshrrev_b16 v44, 3, v40
	v_lshlrev_b32_e32 v45, 24, v40
	s_delay_alu instid0(VALU_DEP_2) | instskip(NEXT) | instid1(VALU_DEP_1)
	v_and_b32_e32 v44, 15, v44
	v_cmp_eq_u32_e32 vcc_lo, 0, v44
	v_and_b32_e32 v41, 7, v40
	s_delay_alu instid0(VALU_DEP_1) | instskip(NEXT) | instid1(VALU_DEP_1)
	v_clz_i32_u32_e32 v42, v41
	v_min_u32_e32 v42, 32, v42
	s_delay_alu instid0(VALU_DEP_1) | instskip(SKIP_1) | instid1(VALU_DEP_1)
	v_subrev_nc_u32_e32 v43, 28, v42
	v_sub_nc_u32_e32 v42, 29, v42
	v_dual_cndmask_b32 v42, v44, v42 :: v_dual_lshlrev_b32 v43, v43, v40
	s_delay_alu instid0(VALU_DEP_1) | instskip(NEXT) | instid1(VALU_DEP_2)
	v_and_b32_e32 v43, 7, v43
	v_lshl_add_u32 v42, v42, 23, 0x3b800000
	s_delay_alu instid0(VALU_DEP_2) | instskip(SKIP_1) | instid1(VALU_DEP_2)
	v_cndmask_b32_e32 v41, v41, v43, vcc_lo
	v_and_b32_e32 v43, 0x80000000, v45
	v_lshlrev_b32_e32 v41, 20, v41
	s_delay_alu instid0(VALU_DEP_1)
	v_or3_b32 v41, v43, v42, v41
.LBB4_5758:                             ;   in Loop: Header=BB4_5753 Depth=3
	s_or_b32 exec_lo, exec_lo, s31
	s_waitcnt vmcnt(15) lgkmcnt(15)
	v_and_b32_e32 v43, 0xff, v22
	s_mov_b32 s13, 0
	s_mov_b32 s34, exec_lo
                                        ; implicit-def: $sgpr31
	s_delay_alu instid0(VALU_DEP_1)
	v_cmpx_lt_i16_e32 0x7f, v43
	s_xor_b32 s34, exec_lo, s34
	s_cbranch_execnz .LBB4_6219
; %bb.5759:                             ;   in Loop: Header=BB4_5753 Depth=3
	s_or_saveexec_b32 s34, s34
	v_mov_b32_e32 v42, s31
	s_xor_b32 exec_lo, exec_lo, s34
	s_cbranch_execnz .LBB4_6222
.LBB4_5760:                             ;   in Loop: Header=BB4_5753 Depth=3
	s_or_b32 exec_lo, exec_lo, s34
	s_and_saveexec_b32 s31, s13
	s_cbranch_execz .LBB4_5762
.LBB4_5761:                             ;   in Loop: Header=BB4_5753 Depth=3
	v_lshrrev_b16 v45, 3, v22
	v_lshlrev_b32_e32 v46, 24, v22
	s_delay_alu instid0(VALU_DEP_2) | instskip(NEXT) | instid1(VALU_DEP_1)
	v_and_b32_e32 v45, 15, v45
	v_cmp_eq_u32_e32 vcc_lo, 0, v45
	v_and_b32_e32 v42, 7, v22
	s_delay_alu instid0(VALU_DEP_1) | instskip(NEXT) | instid1(VALU_DEP_1)
	v_clz_i32_u32_e32 v43, v42
	v_min_u32_e32 v43, 32, v43
	s_delay_alu instid0(VALU_DEP_1) | instskip(SKIP_1) | instid1(VALU_DEP_1)
	v_subrev_nc_u32_e32 v44, 28, v43
	v_sub_nc_u32_e32 v43, 29, v43
	v_dual_cndmask_b32 v43, v45, v43 :: v_dual_lshlrev_b32 v44, v44, v22
	s_delay_alu instid0(VALU_DEP_1) | instskip(NEXT) | instid1(VALU_DEP_2)
	v_and_b32_e32 v44, 7, v44
	v_lshl_add_u32 v43, v43, 23, 0x3b800000
	s_delay_alu instid0(VALU_DEP_2) | instskip(SKIP_1) | instid1(VALU_DEP_2)
	v_cndmask_b32_e32 v42, v42, v44, vcc_lo
	v_and_b32_e32 v44, 0x80000000, v46
	v_lshlrev_b32_e32 v42, 20, v42
	s_delay_alu instid0(VALU_DEP_1)
	v_or3_b32 v42, v44, v43, v42
.LBB4_5762:                             ;   in Loop: Header=BB4_5753 Depth=3
	s_or_b32 exec_lo, exec_lo, s31
	s_delay_alu instid0(VALU_DEP_1) | instskip(SKIP_1) | instid1(VALU_DEP_1)
	v_dual_max_f32 v42, v42, v42 :: v_dual_max_f32 v41, v41, v41
	s_mov_b32 s13, 0
	v_max_f32_e32 v41, v41, v42
	s_branch .LBB4_5764
.LBB4_5763:                             ;   in Loop: Header=BB4_5753 Depth=3
	s_mov_b32 s13, -1
                                        ; implicit-def: $vgpr41
.LBB4_5764:                             ;   in Loop: Header=BB4_5753 Depth=3
	s_delay_alu instid0(SALU_CYCLE_1)
	s_and_b32 vcc_lo, exec_lo, s13
	s_cbranch_vccz .LBB4_5774
; %bb.5765:                             ;   in Loop: Header=BB4_5753 Depth=3
	s_waitcnt vmcnt(31) lgkmcnt(31)
	v_and_b32_e32 v42, 0xff, v40
	s_mov_b32 s13, 0
	s_mov_b32 s34, exec_lo
                                        ; implicit-def: $sgpr31
	s_delay_alu instid0(VALU_DEP_1)
	v_cmpx_lt_i16_e32 0x7f, v42
	s_xor_b32 s34, exec_lo, s34
	s_cbranch_execnz .LBB4_6223
; %bb.5766:                             ;   in Loop: Header=BB4_5753 Depth=3
	s_or_saveexec_b32 s34, s34
	v_mov_b32_e32 v41, s31
	s_xor_b32 exec_lo, exec_lo, s34
	s_cbranch_execnz .LBB4_6226
.LBB4_5767:                             ;   in Loop: Header=BB4_5753 Depth=3
	s_or_b32 exec_lo, exec_lo, s34
	s_and_saveexec_b32 s31, s13
	s_cbranch_execz .LBB4_5769
.LBB4_5768:                             ;   in Loop: Header=BB4_5753 Depth=3
	v_lshrrev_b16 v44, 3, v40
	s_delay_alu instid0(VALU_DEP_1) | instskip(NEXT) | instid1(VALU_DEP_1)
	v_and_b32_e32 v44, 15, v44
	v_cmp_eq_u32_e32 vcc_lo, 0, v44
	v_and_b32_e32 v41, 7, v40
	s_delay_alu instid0(VALU_DEP_1) | instskip(NEXT) | instid1(VALU_DEP_1)
	v_clz_i32_u32_e32 v42, v41
	v_min_u32_e32 v42, 32, v42
	s_delay_alu instid0(VALU_DEP_1) | instskip(SKIP_1) | instid1(VALU_DEP_1)
	v_subrev_nc_u32_e32 v43, 28, v42
	v_sub_nc_u32_e32 v42, 29, v42
	v_dual_cndmask_b32 v42, v44, v42 :: v_dual_lshlrev_b32 v43, v43, v40
	v_lshlrev_b32_e32 v40, 24, v40
	s_delay_alu instid0(VALU_DEP_2) | instskip(NEXT) | instid1(VALU_DEP_3)
	v_and_b32_e32 v43, 7, v43
	v_lshl_add_u32 v42, v42, 23, 0x3b800000
	s_delay_alu instid0(VALU_DEP_2) | instskip(NEXT) | instid1(VALU_DEP_1)
	v_dual_cndmask_b32 v41, v41, v43 :: v_dual_and_b32 v40, 0x80000000, v40
	v_lshlrev_b32_e32 v41, 20, v41
	s_delay_alu instid0(VALU_DEP_1)
	v_or3_b32 v41, v40, v42, v41
.LBB4_5769:                             ;   in Loop: Header=BB4_5753 Depth=3
	s_or_b32 exec_lo, exec_lo, s31
	s_waitcnt vmcnt(15) lgkmcnt(15)
	v_and_b32_e32 v42, 0xff, v22
	s_mov_b32 s13, 0
	s_mov_b32 s34, exec_lo
                                        ; implicit-def: $sgpr31
	s_delay_alu instid0(VALU_DEP_1)
	v_cmpx_lt_i16_e32 0x7f, v42
	s_xor_b32 s34, exec_lo, s34
	s_cbranch_execnz .LBB4_6227
; %bb.5770:                             ;   in Loop: Header=BB4_5753 Depth=3
	s_or_saveexec_b32 s34, s34
	v_mov_b32_e32 v40, s31
	s_xor_b32 exec_lo, exec_lo, s34
	s_cbranch_execnz .LBB4_6230
.LBB4_5771:                             ;   in Loop: Header=BB4_5753 Depth=3
	s_or_b32 exec_lo, exec_lo, s34
	s_and_saveexec_b32 s31, s13
	s_cbranch_execz .LBB4_5773
.LBB4_5772:                             ;   in Loop: Header=BB4_5753 Depth=3
	v_and_b32_e32 v40, 7, v22
	v_lshrrev_b16 v44, 3, v22
	s_delay_alu instid0(VALU_DEP_2) | instskip(NEXT) | instid1(VALU_DEP_2)
	v_clz_i32_u32_e32 v42, v40
	v_and_b32_e32 v44, 15, v44
	s_delay_alu instid0(VALU_DEP_2) | instskip(NEXT) | instid1(VALU_DEP_2)
	v_min_u32_e32 v42, 32, v42
	v_cmp_eq_u32_e32 vcc_lo, 0, v44
	s_delay_alu instid0(VALU_DEP_2) | instskip(SKIP_1) | instid1(VALU_DEP_2)
	v_subrev_nc_u32_e32 v43, 28, v42
	v_sub_nc_u32_e32 v42, 29, v42
	v_lshlrev_b32_e32 v43, v43, v22
	v_lshlrev_b32_e32 v22, 24, v22
	s_delay_alu instid0(VALU_DEP_2) | instskip(NEXT) | instid1(VALU_DEP_2)
	v_dual_cndmask_b32 v42, v44, v42 :: v_dual_and_b32 v43, 7, v43
	v_and_b32_e32 v22, 0x80000000, v22
	s_delay_alu instid0(VALU_DEP_2) | instskip(NEXT) | instid1(VALU_DEP_3)
	v_lshl_add_u32 v42, v42, 23, 0x3b800000
	v_cndmask_b32_e32 v40, v40, v43, vcc_lo
	s_delay_alu instid0(VALU_DEP_1) | instskip(NEXT) | instid1(VALU_DEP_1)
	v_lshlrev_b32_e32 v40, 20, v40
	v_or3_b32 v40, v22, v42, v40
.LBB4_5773:                             ;   in Loop: Header=BB4_5753 Depth=3
	s_or_b32 exec_lo, exec_lo, s31
	s_delay_alu instid0(VALU_DEP_1) | instskip(SKIP_1) | instid1(VALU_DEP_1)
	v_max_f32_e32 v22, v40, v40
	v_max_f32_e32 v40, v41, v41
	v_min_f32_e32 v41, v40, v22
.LBB4_5774:                             ;   in Loop: Header=BB4_5753 Depth=3
	s_waitcnt vmcnt(15) lgkmcnt(15)
	s_delay_alu instid0(VALU_DEP_1) | instskip(NEXT) | instid1(VALU_DEP_1)
	v_and_b32_e32 v22, 0x7f800000, v41
	v_cmp_ne_u32_e32 vcc_lo, 0x7f800000, v22
	v_mov_b32_e32 v22, 0x80
	s_and_saveexec_b32 s31, vcc_lo
	s_cbranch_execz .LBB4_5782
; %bb.5775:                             ;   in Loop: Header=BB4_5753 Depth=3
	v_mov_b32_e32 v22, 0
	s_mov_b32 s34, exec_lo
	v_cmpx_ne_u32_e32 0, v41
	s_cbranch_execz .LBB4_5781
; %bb.5776:                             ;   in Loop: Header=BB4_5753 Depth=3
	v_bfe_u32 v22, v41, 23, 8
	v_and_b32_e32 v40, 0x7fffff, v41
	s_delay_alu instid0(VALU_DEP_2) | instskip(SKIP_1) | instid1(VALU_DEP_3)
	v_sub_nc_u32_e32 v42, 0x78, v22
	v_cmp_gt_u32_e32 vcc_lo, 0x79, v22
	v_or_b32_e32 v43, 0x800000, v40
	s_delay_alu instid0(VALU_DEP_3) | instskip(SKIP_2) | instid1(VALU_DEP_3)
	v_cndmask_b32_e32 v42, 0, v42, vcc_lo
	v_cmp_eq_u32_e32 vcc_lo, 0, v22
	v_add_nc_u32_e32 v22, 0xffffff89, v22
	v_cndmask_b32_e64 v42, v42, 0x77, vcc_lo
	v_cndmask_b32_e32 v40, v43, v40, vcc_lo
	s_delay_alu instid0(VALU_DEP_3) | instskip(NEXT) | instid1(VALU_DEP_3)
	v_cndmask_b32_e64 v22, v22, 0xffffff8a, vcc_lo
	v_lshl_add_u32 v43, 0x100000, v42, -1
	s_delay_alu instid0(VALU_DEP_3) | instskip(SKIP_1) | instid1(VALU_DEP_4)
	v_lshrrev_b32_e32 v44, v42, v40
	v_lshlrev_b32_e64 v46, v42, 0x80000
	v_add_nc_u32_e32 v42, v42, v22
	s_delay_alu instid0(VALU_DEP_4) | instskip(NEXT) | instid1(VALU_DEP_4)
	v_and_b32_e32 v40, v43, v40
	v_bfe_u32 v45, v44, 20, 1
	s_delay_alu instid0(VALU_DEP_2) | instskip(NEXT) | instid1(VALU_DEP_2)
	v_cmp_eq_u32_e64 s13, v40, v46
	v_add_nc_u32_e32 v43, -1, v45
	s_delay_alu instid0(VALU_DEP_1) | instskip(SKIP_2) | instid1(VALU_DEP_2)
	v_cndmask_b32_e64 v40, 0, v43, s13
	v_lshrrev_b32_e32 v43, 23, v44
	s_mov_b32 s13, exec_lo
	v_add_nc_u32_e32 v40, v40, v44
	s_delay_alu instid0(VALU_DEP_2) | instskip(NEXT) | instid1(VALU_DEP_2)
	v_xor_b32_e32 v43, 1, v43
	v_and_b32_e32 v22, 0xfffff, v40
	s_delay_alu instid0(VALU_DEP_1) | instskip(NEXT) | instid1(VALU_DEP_3)
	v_add_nc_u32_e32 v40, v22, v44
                                        ; implicit-def: $vgpr22
	v_cmpx_ne_u32_e64 v42, v43
	s_xor_b32 s13, exec_lo, s13
; %bb.5777:                             ;   in Loop: Header=BB4_5753 Depth=3
	s_delay_alu instid0(VALU_DEP_2) | instskip(SKIP_2) | instid1(VALU_DEP_2)
	v_cmp_lt_u32_e32 vcc_lo, 0xffffff, v40
	v_sub_nc_u32_e32 v22, v42, v43
	v_cndmask_b32_e64 v42, 0, 1, vcc_lo
	v_add_co_ci_u32_e32 v22, vcc_lo, 0, v22, vcc_lo
	s_delay_alu instid0(VALU_DEP_2)
	v_lshrrev_b32_e32 v40, v42, v40
; %bb.5778:                             ;   in Loop: Header=BB4_5753 Depth=3
	s_and_not1_saveexec_b32 s13, s13
; %bb.5779:                             ;   in Loop: Header=BB4_5753 Depth=3
	s_delay_alu instid0(VALU_DEP_1)
	v_bfe_u32 v22, v40, 23, 1
; %bb.5780:                             ;   in Loop: Header=BB4_5753 Depth=3
	s_or_b32 exec_lo, exec_lo, s13
	v_lshrrev_b32_e32 v40, 20, v40
	s_delay_alu instid0(VALU_DEP_2) | instskip(SKIP_2) | instid1(VALU_DEP_2)
	v_cmp_gt_i32_e32 vcc_lo, 16, v22
	v_lshrrev_b32_e32 v41, 24, v41
	v_min_i32_e32 v42, 15, v22
	v_dual_cndmask_b32 v40, 7, v40 :: v_dual_and_b32 v41, 0x80, v41
	s_delay_alu instid0(VALU_DEP_2) | instskip(NEXT) | instid1(VALU_DEP_2)
	v_lshlrev_b32_e32 v42, 3, v42
	v_and_b32_e32 v43, 7, v40
	v_or_b32_e32 v22, v22, v40
	s_delay_alu instid0(VALU_DEP_2) | instskip(NEXT) | instid1(VALU_DEP_2)
	v_or3_b32 v40, v42, v41, v43
	v_cmp_ne_u32_e32 vcc_lo, 0, v22
	s_delay_alu instid0(VALU_DEP_2)
	v_cndmask_b32_e32 v22, 0, v40, vcc_lo
.LBB4_5781:                             ;   in Loop: Header=BB4_5753 Depth=3
	s_or_b32 exec_lo, exec_lo, s34
.LBB4_5782:                             ;   in Loop: Header=BB4_5753 Depth=3
	s_delay_alu instid0(SALU_CYCLE_1) | instskip(NEXT) | instid1(SALU_CYCLE_1)
	s_or_b32 exec_lo, exec_lo, s31
	s_and_not1_b32 vcc_lo, exec_lo, s17
	s_cbranch_vccnz .LBB4_5792
; %bb.5783:                             ;   in Loop: Header=BB4_5753 Depth=3
	v_and_b32_e32 v41, 0xff, v183
	s_mov_b32 s13, 0
	s_mov_b32 s34, exec_lo
                                        ; implicit-def: $sgpr31
	s_delay_alu instid0(VALU_DEP_1)
	v_cmpx_lt_i16_e32 0x7f, v41
	s_xor_b32 s34, exec_lo, s34
	s_cbranch_execnz .LBB4_6231
; %bb.5784:                             ;   in Loop: Header=BB4_5753 Depth=3
	s_or_saveexec_b32 s34, s34
	v_mov_b32_e32 v40, s31
	s_xor_b32 exec_lo, exec_lo, s34
	s_cbranch_execnz .LBB4_6234
.LBB4_5785:                             ;   in Loop: Header=BB4_5753 Depth=3
	s_or_b32 exec_lo, exec_lo, s34
	s_and_saveexec_b32 s31, s13
	s_cbranch_execz .LBB4_5787
.LBB4_5786:                             ;   in Loop: Header=BB4_5753 Depth=3
	v_lshrrev_b16 v43, 3, v183
	v_lshlrev_b32_e32 v44, 24, v183
	s_delay_alu instid0(VALU_DEP_2) | instskip(NEXT) | instid1(VALU_DEP_1)
	v_and_b32_e32 v43, 15, v43
	v_cmp_eq_u32_e32 vcc_lo, 0, v43
	v_and_b32_e32 v40, 7, v183
	s_delay_alu instid0(VALU_DEP_1) | instskip(NEXT) | instid1(VALU_DEP_1)
	v_clz_i32_u32_e32 v41, v40
	v_min_u32_e32 v41, 32, v41
	s_delay_alu instid0(VALU_DEP_1) | instskip(SKIP_1) | instid1(VALU_DEP_1)
	v_subrev_nc_u32_e32 v42, 28, v41
	v_sub_nc_u32_e32 v41, 29, v41
	v_dual_cndmask_b32 v41, v43, v41 :: v_dual_lshlrev_b32 v42, v42, v183
	s_delay_alu instid0(VALU_DEP_1) | instskip(NEXT) | instid1(VALU_DEP_2)
	v_and_b32_e32 v42, 7, v42
	v_lshl_add_u32 v41, v41, 23, 0x3b800000
	s_delay_alu instid0(VALU_DEP_2) | instskip(SKIP_1) | instid1(VALU_DEP_2)
	v_cndmask_b32_e32 v40, v40, v42, vcc_lo
	v_and_b32_e32 v42, 0x80000000, v44
	v_lshlrev_b32_e32 v40, 20, v40
	s_delay_alu instid0(VALU_DEP_1)
	v_or3_b32 v40, v42, v41, v40
.LBB4_5787:                             ;   in Loop: Header=BB4_5753 Depth=3
	s_or_b32 exec_lo, exec_lo, s31
	s_waitcnt vmcnt(14) lgkmcnt(14)
	v_and_b32_e32 v42, 0xff, v70
	s_mov_b32 s13, 0
	s_mov_b32 s34, exec_lo
                                        ; implicit-def: $sgpr31
	s_delay_alu instid0(VALU_DEP_1)
	v_cmpx_lt_i16_e32 0x7f, v42
	s_xor_b32 s34, exec_lo, s34
	s_cbranch_execnz .LBB4_6235
; %bb.5788:                             ;   in Loop: Header=BB4_5753 Depth=3
	s_or_saveexec_b32 s34, s34
	v_mov_b32_e32 v41, s31
	s_xor_b32 exec_lo, exec_lo, s34
	s_cbranch_execnz .LBB4_6238
.LBB4_5789:                             ;   in Loop: Header=BB4_5753 Depth=3
	s_or_b32 exec_lo, exec_lo, s34
	s_and_saveexec_b32 s31, s13
	s_cbranch_execz .LBB4_5791
.LBB4_5790:                             ;   in Loop: Header=BB4_5753 Depth=3
	v_and_b32_e32 v41, 7, v70
	v_lshrrev_b16 v44, 3, v70
	v_lshlrev_b32_e32 v45, 24, v70
	s_delay_alu instid0(VALU_DEP_3) | instskip(NEXT) | instid1(VALU_DEP_1)
	v_clz_i32_u32_e32 v42, v41
	v_min_u32_e32 v42, 32, v42
	s_delay_alu instid0(VALU_DEP_1) | instskip(SKIP_1) | instid1(VALU_DEP_2)
	v_subrev_nc_u32_e32 v43, 28, v42
	v_sub_nc_u32_e32 v42, 29, v42
	v_lshlrev_b32_e32 v43, v43, v70
	s_delay_alu instid0(VALU_DEP_1) | instskip(SKIP_1) | instid1(VALU_DEP_1)
	v_and_b32_e32 v43, 7, v43
	v_and_b32_e32 v44, 15, v44
	v_cmp_eq_u32_e32 vcc_lo, 0, v44
	s_delay_alu instid0(VALU_DEP_3) | instskip(SKIP_1) | instid1(VALU_DEP_2)
	v_dual_cndmask_b32 v41, v41, v43 :: v_dual_cndmask_b32 v42, v44, v42
	v_and_b32_e32 v43, 0x80000000, v45
	v_lshlrev_b32_e32 v41, 20, v41
	s_delay_alu instid0(VALU_DEP_3) | instskip(NEXT) | instid1(VALU_DEP_1)
	v_lshl_add_u32 v42, v42, 23, 0x3b800000
	v_or3_b32 v41, v43, v42, v41
.LBB4_5791:                             ;   in Loop: Header=BB4_5753 Depth=3
	s_or_b32 exec_lo, exec_lo, s31
	s_delay_alu instid0(VALU_DEP_1) | instskip(SKIP_1) | instid1(VALU_DEP_1)
	v_dual_max_f32 v41, v41, v41 :: v_dual_max_f32 v40, v40, v40
	s_mov_b32 s13, 0
	v_max_f32_e32 v40, v40, v41
	s_branch .LBB4_5793
.LBB4_5792:                             ;   in Loop: Header=BB4_5753 Depth=3
	s_mov_b32 s13, -1
                                        ; implicit-def: $vgpr40
.LBB4_5793:                             ;   in Loop: Header=BB4_5753 Depth=3
	s_delay_alu instid0(SALU_CYCLE_1)
	s_and_b32 vcc_lo, exec_lo, s13
	s_cbranch_vccz .LBB4_5803
; %bb.5794:                             ;   in Loop: Header=BB4_5753 Depth=3
	v_and_b32_e32 v41, 0xff, v183
	s_mov_b32 s13, 0
	s_mov_b32 s34, exec_lo
                                        ; implicit-def: $sgpr31
	s_delay_alu instid0(VALU_DEP_1)
	v_cmpx_lt_i16_e32 0x7f, v41
	s_xor_b32 s34, exec_lo, s34
	s_cbranch_execnz .LBB4_6239
; %bb.5795:                             ;   in Loop: Header=BB4_5753 Depth=3
	s_or_saveexec_b32 s34, s34
	v_mov_b32_e32 v40, s31
	s_xor_b32 exec_lo, exec_lo, s34
	s_cbranch_execnz .LBB4_6242
.LBB4_5796:                             ;   in Loop: Header=BB4_5753 Depth=3
	s_or_b32 exec_lo, exec_lo, s34
	s_and_saveexec_b32 s31, s13
	s_cbranch_execz .LBB4_5798
.LBB4_5797:                             ;   in Loop: Header=BB4_5753 Depth=3
	v_lshrrev_b16 v43, 3, v183
	s_delay_alu instid0(VALU_DEP_1) | instskip(NEXT) | instid1(VALU_DEP_1)
	v_and_b32_e32 v43, 15, v43
	v_cmp_eq_u32_e32 vcc_lo, 0, v43
	v_and_b32_e32 v40, 7, v183
	s_delay_alu instid0(VALU_DEP_1) | instskip(NEXT) | instid1(VALU_DEP_1)
	v_clz_i32_u32_e32 v41, v40
	v_min_u32_e32 v41, 32, v41
	s_delay_alu instid0(VALU_DEP_1) | instskip(SKIP_1) | instid1(VALU_DEP_1)
	v_subrev_nc_u32_e32 v42, 28, v41
	v_sub_nc_u32_e32 v41, 29, v41
	v_dual_cndmask_b32 v41, v43, v41 :: v_dual_lshlrev_b32 v42, v42, v183
	v_lshlrev_b32_e32 v183, 24, v183
	s_delay_alu instid0(VALU_DEP_2) | instskip(NEXT) | instid1(VALU_DEP_3)
	v_and_b32_e32 v42, 7, v42
	v_lshl_add_u32 v41, v41, 23, 0x3b800000
	s_delay_alu instid0(VALU_DEP_2) | instskip(NEXT) | instid1(VALU_DEP_1)
	v_dual_cndmask_b32 v40, v40, v42 :: v_dual_and_b32 v183, 0x80000000, v183
	v_lshlrev_b32_e32 v40, 20, v40
	s_delay_alu instid0(VALU_DEP_1)
	v_or3_b32 v40, v183, v41, v40
.LBB4_5798:                             ;   in Loop: Header=BB4_5753 Depth=3
	s_or_b32 exec_lo, exec_lo, s31
	s_waitcnt vmcnt(14) lgkmcnt(14)
	v_and_b32_e32 v41, 0xff, v70
	s_mov_b32 s13, 0
	s_mov_b32 s34, exec_lo
                                        ; implicit-def: $sgpr31
	s_delay_alu instid0(VALU_DEP_1)
	v_cmpx_lt_i16_e32 0x7f, v41
	s_xor_b32 s34, exec_lo, s34
	s_cbranch_execnz .LBB4_6243
; %bb.5799:                             ;   in Loop: Header=BB4_5753 Depth=3
	s_or_saveexec_b32 s34, s34
	v_mov_b32_e32 v183, s31
	s_xor_b32 exec_lo, exec_lo, s34
	s_cbranch_execnz .LBB4_6246
.LBB4_5800:                             ;   in Loop: Header=BB4_5753 Depth=3
	s_or_b32 exec_lo, exec_lo, s34
	s_and_saveexec_b32 s31, s13
	s_cbranch_execz .LBB4_5802
.LBB4_5801:                             ;   in Loop: Header=BB4_5753 Depth=3
	v_and_b32_e32 v183, 7, v70
	v_lshrrev_b16 v43, 3, v70
	s_delay_alu instid0(VALU_DEP_2) | instskip(NEXT) | instid1(VALU_DEP_2)
	v_clz_i32_u32_e32 v41, v183
	v_and_b32_e32 v43, 15, v43
	s_delay_alu instid0(VALU_DEP_2) | instskip(NEXT) | instid1(VALU_DEP_2)
	v_min_u32_e32 v41, 32, v41
	v_cmp_eq_u32_e32 vcc_lo, 0, v43
	s_delay_alu instid0(VALU_DEP_2) | instskip(SKIP_1) | instid1(VALU_DEP_1)
	v_subrev_nc_u32_e32 v42, 28, v41
	v_sub_nc_u32_e32 v41, 29, v41
	v_dual_cndmask_b32 v41, v43, v41 :: v_dual_lshlrev_b32 v42, v42, v70
	v_lshlrev_b32_e32 v70, 24, v70
	s_delay_alu instid0(VALU_DEP_2) | instskip(NEXT) | instid1(VALU_DEP_3)
	v_and_b32_e32 v42, 7, v42
	v_lshl_add_u32 v41, v41, 23, 0x3b800000
	s_delay_alu instid0(VALU_DEP_3) | instskip(NEXT) | instid1(VALU_DEP_3)
	v_and_b32_e32 v70, 0x80000000, v70
	v_cndmask_b32_e32 v183, v183, v42, vcc_lo
	s_delay_alu instid0(VALU_DEP_1) | instskip(NEXT) | instid1(VALU_DEP_1)
	v_lshlrev_b32_e32 v183, 20, v183
	v_or3_b32 v183, v70, v41, v183
.LBB4_5802:                             ;   in Loop: Header=BB4_5753 Depth=3
	s_or_b32 exec_lo, exec_lo, s31
	s_delay_alu instid0(VALU_DEP_1) | instskip(NEXT) | instid1(VALU_DEP_1)
	v_dual_max_f32 v70, v183, v183 :: v_dual_max_f32 v183, v40, v40
	v_min_f32_e32 v40, v183, v70
.LBB4_5803:                             ;   in Loop: Header=BB4_5753 Depth=3
	s_waitcnt vmcnt(14) lgkmcnt(14)
	s_delay_alu instid0(VALU_DEP_1) | instskip(NEXT) | instid1(VALU_DEP_1)
	v_and_b32_e32 v70, 0x7f800000, v40
	v_cmp_ne_u32_e32 vcc_lo, 0x7f800000, v70
	v_mov_b32_e32 v70, 0x80
	s_and_saveexec_b32 s31, vcc_lo
	s_cbranch_execz .LBB4_5811
; %bb.5804:                             ;   in Loop: Header=BB4_5753 Depth=3
	v_mov_b32_e32 v70, 0
	s_mov_b32 s34, exec_lo
	v_cmpx_ne_u32_e32 0, v40
	s_cbranch_execz .LBB4_5810
; %bb.5805:                             ;   in Loop: Header=BB4_5753 Depth=3
	v_bfe_u32 v70, v40, 23, 8
	v_and_b32_e32 v183, 0x7fffff, v40
	s_delay_alu instid0(VALU_DEP_2) | instskip(SKIP_1) | instid1(VALU_DEP_3)
	v_sub_nc_u32_e32 v41, 0x78, v70
	v_cmp_gt_u32_e32 vcc_lo, 0x79, v70
	v_or_b32_e32 v42, 0x800000, v183
	s_delay_alu instid0(VALU_DEP_3) | instskip(SKIP_2) | instid1(VALU_DEP_3)
	v_cndmask_b32_e32 v41, 0, v41, vcc_lo
	v_cmp_eq_u32_e32 vcc_lo, 0, v70
	v_add_nc_u32_e32 v70, 0xffffff89, v70
	v_cndmask_b32_e64 v41, v41, 0x77, vcc_lo
	v_cndmask_b32_e32 v183, v42, v183, vcc_lo
	s_delay_alu instid0(VALU_DEP_3) | instskip(NEXT) | instid1(VALU_DEP_3)
	v_cndmask_b32_e64 v70, v70, 0xffffff8a, vcc_lo
	v_lshl_add_u32 v42, 0x100000, v41, -1
	s_delay_alu instid0(VALU_DEP_3) | instskip(SKIP_1) | instid1(VALU_DEP_4)
	v_lshrrev_b32_e32 v43, v41, v183
	v_lshlrev_b32_e64 v45, v41, 0x80000
	v_add_nc_u32_e32 v41, v41, v70
	s_delay_alu instid0(VALU_DEP_4) | instskip(NEXT) | instid1(VALU_DEP_4)
	v_and_b32_e32 v183, v42, v183
	v_bfe_u32 v44, v43, 20, 1
	s_delay_alu instid0(VALU_DEP_2) | instskip(NEXT) | instid1(VALU_DEP_2)
	v_cmp_eq_u32_e64 s13, v183, v45
	v_add_nc_u32_e32 v42, -1, v44
	s_delay_alu instid0(VALU_DEP_1) | instskip(SKIP_2) | instid1(VALU_DEP_2)
	v_cndmask_b32_e64 v183, 0, v42, s13
	v_lshrrev_b32_e32 v42, 23, v43
	s_mov_b32 s13, exec_lo
	v_add_nc_u32_e32 v183, v183, v43
	s_delay_alu instid0(VALU_DEP_2) | instskip(NEXT) | instid1(VALU_DEP_2)
	v_xor_b32_e32 v42, 1, v42
	v_and_b32_e32 v70, 0xfffff, v183
	s_delay_alu instid0(VALU_DEP_1) | instskip(NEXT) | instid1(VALU_DEP_3)
	v_add_nc_u32_e32 v183, v70, v43
                                        ; implicit-def: $vgpr70
	v_cmpx_ne_u32_e64 v41, v42
	s_xor_b32 s13, exec_lo, s13
; %bb.5806:                             ;   in Loop: Header=BB4_5753 Depth=3
	s_delay_alu instid0(VALU_DEP_2) | instskip(SKIP_2) | instid1(VALU_DEP_2)
	v_cmp_lt_u32_e32 vcc_lo, 0xffffff, v183
	v_sub_nc_u32_e32 v70, v41, v42
	v_cndmask_b32_e64 v41, 0, 1, vcc_lo
	v_add_co_ci_u32_e32 v70, vcc_lo, 0, v70, vcc_lo
	s_delay_alu instid0(VALU_DEP_2)
	v_lshrrev_b32_e32 v183, v41, v183
; %bb.5807:                             ;   in Loop: Header=BB4_5753 Depth=3
	s_and_not1_saveexec_b32 s13, s13
; %bb.5808:                             ;   in Loop: Header=BB4_5753 Depth=3
	s_delay_alu instid0(VALU_DEP_1)
	v_bfe_u32 v70, v183, 23, 1
; %bb.5809:                             ;   in Loop: Header=BB4_5753 Depth=3
	s_or_b32 exec_lo, exec_lo, s13
	v_lshrrev_b32_e32 v183, 20, v183
	s_delay_alu instid0(VALU_DEP_2) | instskip(SKIP_2) | instid1(VALU_DEP_2)
	v_cmp_gt_i32_e32 vcc_lo, 16, v70
	v_lshrrev_b32_e32 v40, 24, v40
	v_min_i32_e32 v41, 15, v70
	v_dual_cndmask_b32 v183, 7, v183 :: v_dual_and_b32 v40, 0x80, v40
	s_delay_alu instid0(VALU_DEP_1) | instskip(SKIP_1) | instid1(VALU_DEP_2)
	v_or_b32_e32 v70, v70, v183
	v_and_b32_e32 v42, 7, v183
	v_cmp_ne_u32_e32 vcc_lo, 0, v70
	v_lshlrev_b32_e32 v41, 3, v41
	s_delay_alu instid0(VALU_DEP_1) | instskip(NEXT) | instid1(VALU_DEP_1)
	v_or3_b32 v183, v41, v40, v42
	v_cndmask_b32_e32 v70, 0, v183, vcc_lo
.LBB4_5810:                             ;   in Loop: Header=BB4_5753 Depth=3
	s_or_b32 exec_lo, exec_lo, s34
.LBB4_5811:                             ;   in Loop: Header=BB4_5753 Depth=3
	s_delay_alu instid0(SALU_CYCLE_1) | instskip(NEXT) | instid1(SALU_CYCLE_1)
	s_or_b32 exec_lo, exec_lo, s31
	s_and_not1_b32 vcc_lo, exec_lo, s17
	s_cbranch_vccnz .LBB4_5821
; %bb.5812:                             ;   in Loop: Header=BB4_5753 Depth=3
	v_and_b32_e32 v40, 0xff, v182
	s_mov_b32 s13, 0
	s_mov_b32 s34, exec_lo
                                        ; implicit-def: $sgpr31
	s_delay_alu instid0(VALU_DEP_1)
	v_cmpx_lt_i16_e32 0x7f, v40
	s_xor_b32 s34, exec_lo, s34
	s_cbranch_execnz .LBB4_6247
; %bb.5813:                             ;   in Loop: Header=BB4_5753 Depth=3
	s_or_saveexec_b32 s34, s34
	v_mov_b32_e32 v183, s31
	s_xor_b32 exec_lo, exec_lo, s34
	s_cbranch_execnz .LBB4_6250
.LBB4_5814:                             ;   in Loop: Header=BB4_5753 Depth=3
	s_or_b32 exec_lo, exec_lo, s34
	s_and_saveexec_b32 s31, s13
	s_cbranch_execz .LBB4_5816
.LBB4_5815:                             ;   in Loop: Header=BB4_5753 Depth=3
	v_lshrrev_b16 v42, 3, v182
	v_lshlrev_b32_e32 v43, 24, v182
	s_delay_alu instid0(VALU_DEP_2) | instskip(NEXT) | instid1(VALU_DEP_1)
	v_and_b32_e32 v42, 15, v42
	v_cmp_eq_u32_e32 vcc_lo, 0, v42
	v_and_b32_e32 v183, 7, v182
	s_delay_alu instid0(VALU_DEP_1) | instskip(NEXT) | instid1(VALU_DEP_1)
	v_clz_i32_u32_e32 v40, v183
	v_min_u32_e32 v40, 32, v40
	s_delay_alu instid0(VALU_DEP_1) | instskip(SKIP_1) | instid1(VALU_DEP_1)
	v_subrev_nc_u32_e32 v41, 28, v40
	v_sub_nc_u32_e32 v40, 29, v40
	v_dual_cndmask_b32 v40, v42, v40 :: v_dual_lshlrev_b32 v41, v41, v182
	s_delay_alu instid0(VALU_DEP_1) | instskip(NEXT) | instid1(VALU_DEP_2)
	v_and_b32_e32 v41, 7, v41
	v_lshl_add_u32 v40, v40, 23, 0x3b800000
	s_delay_alu instid0(VALU_DEP_2) | instskip(SKIP_1) | instid1(VALU_DEP_2)
	v_cndmask_b32_e32 v183, v183, v41, vcc_lo
	v_and_b32_e32 v41, 0x80000000, v43
	v_lshlrev_b32_e32 v183, 20, v183
	s_delay_alu instid0(VALU_DEP_1)
	v_or3_b32 v183, v41, v40, v183
.LBB4_5816:                             ;   in Loop: Header=BB4_5753 Depth=3
	s_or_b32 exec_lo, exec_lo, s31
	s_waitcnt vmcnt(13) lgkmcnt(13)
	v_and_b32_e32 v41, 0xff, v82
	s_mov_b32 s13, 0
	s_mov_b32 s34, exec_lo
                                        ; implicit-def: $sgpr31
	s_delay_alu instid0(VALU_DEP_1)
	v_cmpx_lt_i16_e32 0x7f, v41
	s_xor_b32 s34, exec_lo, s34
	s_cbranch_execnz .LBB4_6251
; %bb.5817:                             ;   in Loop: Header=BB4_5753 Depth=3
	s_or_saveexec_b32 s34, s34
	v_mov_b32_e32 v40, s31
	s_xor_b32 exec_lo, exec_lo, s34
	s_cbranch_execnz .LBB4_6254
.LBB4_5818:                             ;   in Loop: Header=BB4_5753 Depth=3
	s_or_b32 exec_lo, exec_lo, s34
	s_and_saveexec_b32 s31, s13
	s_cbranch_execz .LBB4_5820
.LBB4_5819:                             ;   in Loop: Header=BB4_5753 Depth=3
	v_lshrrev_b16 v43, 3, v82
	v_lshlrev_b32_e32 v44, 24, v82
	s_delay_alu instid0(VALU_DEP_2) | instskip(NEXT) | instid1(VALU_DEP_1)
	v_and_b32_e32 v43, 15, v43
	v_cmp_eq_u32_e32 vcc_lo, 0, v43
	v_and_b32_e32 v40, 7, v82
	s_delay_alu instid0(VALU_DEP_1) | instskip(NEXT) | instid1(VALU_DEP_1)
	v_clz_i32_u32_e32 v41, v40
	v_min_u32_e32 v41, 32, v41
	s_delay_alu instid0(VALU_DEP_1) | instskip(SKIP_1) | instid1(VALU_DEP_1)
	v_subrev_nc_u32_e32 v42, 28, v41
	v_sub_nc_u32_e32 v41, 29, v41
	v_dual_cndmask_b32 v41, v43, v41 :: v_dual_lshlrev_b32 v42, v42, v82
	s_delay_alu instid0(VALU_DEP_1) | instskip(NEXT) | instid1(VALU_DEP_2)
	v_and_b32_e32 v42, 7, v42
	v_lshl_add_u32 v41, v41, 23, 0x3b800000
	s_delay_alu instid0(VALU_DEP_2) | instskip(SKIP_1) | instid1(VALU_DEP_2)
	v_cndmask_b32_e32 v40, v40, v42, vcc_lo
	v_and_b32_e32 v42, 0x80000000, v44
	v_lshlrev_b32_e32 v40, 20, v40
	s_delay_alu instid0(VALU_DEP_1)
	v_or3_b32 v40, v42, v41, v40
.LBB4_5820:                             ;   in Loop: Header=BB4_5753 Depth=3
	s_or_b32 exec_lo, exec_lo, s31
	s_delay_alu instid0(VALU_DEP_1) | instskip(SKIP_1) | instid1(VALU_DEP_1)
	v_dual_max_f32 v40, v40, v40 :: v_dual_max_f32 v183, v183, v183
	s_mov_b32 s13, 0
	v_max_f32_e32 v183, v183, v40
	s_branch .LBB4_5822
.LBB4_5821:                             ;   in Loop: Header=BB4_5753 Depth=3
	s_mov_b32 s13, -1
                                        ; implicit-def: $vgpr183
.LBB4_5822:                             ;   in Loop: Header=BB4_5753 Depth=3
	s_delay_alu instid0(SALU_CYCLE_1)
	s_and_b32 vcc_lo, exec_lo, s13
	s_cbranch_vccz .LBB4_5832
; %bb.5823:                             ;   in Loop: Header=BB4_5753 Depth=3
	v_and_b32_e32 v40, 0xff, v182
	s_mov_b32 s13, 0
	s_mov_b32 s34, exec_lo
                                        ; implicit-def: $sgpr31
	s_delay_alu instid0(VALU_DEP_1)
	v_cmpx_lt_i16_e32 0x7f, v40
	s_xor_b32 s34, exec_lo, s34
	s_cbranch_execnz .LBB4_6255
; %bb.5824:                             ;   in Loop: Header=BB4_5753 Depth=3
	s_or_saveexec_b32 s34, s34
	v_mov_b32_e32 v183, s31
	s_xor_b32 exec_lo, exec_lo, s34
	s_cbranch_execnz .LBB4_6258
.LBB4_5825:                             ;   in Loop: Header=BB4_5753 Depth=3
	s_or_b32 exec_lo, exec_lo, s34
	s_and_saveexec_b32 s31, s13
	s_cbranch_execz .LBB4_5827
.LBB4_5826:                             ;   in Loop: Header=BB4_5753 Depth=3
	v_lshrrev_b16 v42, 3, v182
	s_delay_alu instid0(VALU_DEP_1) | instskip(NEXT) | instid1(VALU_DEP_1)
	v_and_b32_e32 v42, 15, v42
	v_cmp_eq_u32_e32 vcc_lo, 0, v42
	v_and_b32_e32 v183, 7, v182
	s_delay_alu instid0(VALU_DEP_1) | instskip(NEXT) | instid1(VALU_DEP_1)
	v_clz_i32_u32_e32 v40, v183
	v_min_u32_e32 v40, 32, v40
	s_delay_alu instid0(VALU_DEP_1) | instskip(SKIP_1) | instid1(VALU_DEP_1)
	v_subrev_nc_u32_e32 v41, 28, v40
	v_sub_nc_u32_e32 v40, 29, v40
	v_dual_cndmask_b32 v40, v42, v40 :: v_dual_lshlrev_b32 v41, v41, v182
	v_lshlrev_b32_e32 v182, 24, v182
	s_delay_alu instid0(VALU_DEP_2) | instskip(NEXT) | instid1(VALU_DEP_3)
	v_and_b32_e32 v41, 7, v41
	v_lshl_add_u32 v40, v40, 23, 0x3b800000
	s_delay_alu instid0(VALU_DEP_2) | instskip(NEXT) | instid1(VALU_DEP_1)
	v_dual_cndmask_b32 v183, v183, v41 :: v_dual_and_b32 v182, 0x80000000, v182
	v_lshlrev_b32_e32 v183, 20, v183
	s_delay_alu instid0(VALU_DEP_1)
	v_or3_b32 v183, v182, v40, v183
.LBB4_5827:                             ;   in Loop: Header=BB4_5753 Depth=3
	s_or_b32 exec_lo, exec_lo, s31
	s_waitcnt vmcnt(13) lgkmcnt(13)
	v_and_b32_e32 v40, 0xff, v82
	s_mov_b32 s13, 0
	s_mov_b32 s34, exec_lo
                                        ; implicit-def: $sgpr31
	s_delay_alu instid0(VALU_DEP_1)
	v_cmpx_lt_i16_e32 0x7f, v40
	s_xor_b32 s34, exec_lo, s34
	s_cbranch_execnz .LBB4_6259
; %bb.5828:                             ;   in Loop: Header=BB4_5753 Depth=3
	s_or_saveexec_b32 s34, s34
	v_mov_b32_e32 v182, s31
	s_xor_b32 exec_lo, exec_lo, s34
	s_cbranch_execnz .LBB4_6262
.LBB4_5829:                             ;   in Loop: Header=BB4_5753 Depth=3
	s_or_b32 exec_lo, exec_lo, s34
	s_and_saveexec_b32 s31, s13
	s_cbranch_execz .LBB4_5831
.LBB4_5830:                             ;   in Loop: Header=BB4_5753 Depth=3
	v_and_b32_e32 v182, 7, v82
	v_lshrrev_b16 v42, 3, v82
	s_delay_alu instid0(VALU_DEP_2) | instskip(NEXT) | instid1(VALU_DEP_2)
	v_clz_i32_u32_e32 v40, v182
	v_and_b32_e32 v42, 15, v42
	s_delay_alu instid0(VALU_DEP_2) | instskip(NEXT) | instid1(VALU_DEP_2)
	v_min_u32_e32 v40, 32, v40
	v_cmp_eq_u32_e32 vcc_lo, 0, v42
	s_delay_alu instid0(VALU_DEP_2) | instskip(SKIP_1) | instid1(VALU_DEP_1)
	v_subrev_nc_u32_e32 v41, 28, v40
	v_sub_nc_u32_e32 v40, 29, v40
	v_dual_cndmask_b32 v40, v42, v40 :: v_dual_lshlrev_b32 v41, v41, v82
	v_lshlrev_b32_e32 v82, 24, v82
	s_delay_alu instid0(VALU_DEP_2) | instskip(NEXT) | instid1(VALU_DEP_3)
	v_and_b32_e32 v41, 7, v41
	v_lshl_add_u32 v40, v40, 23, 0x3b800000
	s_delay_alu instid0(VALU_DEP_3) | instskip(NEXT) | instid1(VALU_DEP_3)
	v_and_b32_e32 v82, 0x80000000, v82
	v_cndmask_b32_e32 v182, v182, v41, vcc_lo
	s_delay_alu instid0(VALU_DEP_1) | instskip(NEXT) | instid1(VALU_DEP_1)
	v_lshlrev_b32_e32 v182, 20, v182
	v_or3_b32 v182, v82, v40, v182
.LBB4_5831:                             ;   in Loop: Header=BB4_5753 Depth=3
	s_or_b32 exec_lo, exec_lo, s31
	s_delay_alu instid0(VALU_DEP_1) | instskip(SKIP_1) | instid1(VALU_DEP_1)
	v_max_f32_e32 v82, v182, v182
	v_max_f32_e32 v182, v183, v183
	v_min_f32_e32 v183, v182, v82
.LBB4_5832:                             ;   in Loop: Header=BB4_5753 Depth=3
	s_waitcnt vmcnt(13) lgkmcnt(13)
	s_delay_alu instid0(VALU_DEP_1) | instskip(NEXT) | instid1(VALU_DEP_1)
	v_and_b32_e32 v82, 0x7f800000, v183
	v_cmp_ne_u32_e32 vcc_lo, 0x7f800000, v82
	v_mov_b32_e32 v82, 0x80
	s_and_saveexec_b32 s31, vcc_lo
	s_cbranch_execz .LBB4_5840
; %bb.5833:                             ;   in Loop: Header=BB4_5753 Depth=3
	v_mov_b32_e32 v82, 0
	s_mov_b32 s34, exec_lo
	v_cmpx_ne_u32_e32 0, v183
	s_cbranch_execz .LBB4_5839
; %bb.5834:                             ;   in Loop: Header=BB4_5753 Depth=3
	v_bfe_u32 v82, v183, 23, 8
	v_and_b32_e32 v182, 0x7fffff, v183
	s_delay_alu instid0(VALU_DEP_2) | instskip(SKIP_1) | instid1(VALU_DEP_3)
	v_sub_nc_u32_e32 v40, 0x78, v82
	v_cmp_gt_u32_e32 vcc_lo, 0x79, v82
	v_or_b32_e32 v41, 0x800000, v182
	s_delay_alu instid0(VALU_DEP_3) | instskip(SKIP_2) | instid1(VALU_DEP_3)
	v_cndmask_b32_e32 v40, 0, v40, vcc_lo
	v_cmp_eq_u32_e32 vcc_lo, 0, v82
	v_add_nc_u32_e32 v82, 0xffffff89, v82
	v_cndmask_b32_e64 v40, v40, 0x77, vcc_lo
	v_cndmask_b32_e32 v182, v41, v182, vcc_lo
	s_delay_alu instid0(VALU_DEP_3) | instskip(NEXT) | instid1(VALU_DEP_3)
	v_cndmask_b32_e64 v82, v82, 0xffffff8a, vcc_lo
	v_lshl_add_u32 v41, 0x100000, v40, -1
	s_delay_alu instid0(VALU_DEP_3) | instskip(SKIP_1) | instid1(VALU_DEP_4)
	v_lshrrev_b32_e32 v42, v40, v182
	v_lshlrev_b32_e64 v44, v40, 0x80000
	v_add_nc_u32_e32 v40, v40, v82
	s_delay_alu instid0(VALU_DEP_4) | instskip(NEXT) | instid1(VALU_DEP_4)
	v_and_b32_e32 v182, v41, v182
	v_bfe_u32 v43, v42, 20, 1
	s_delay_alu instid0(VALU_DEP_2) | instskip(NEXT) | instid1(VALU_DEP_2)
	v_cmp_eq_u32_e64 s13, v182, v44
	v_add_nc_u32_e32 v41, -1, v43
	s_delay_alu instid0(VALU_DEP_1) | instskip(SKIP_2) | instid1(VALU_DEP_2)
	v_cndmask_b32_e64 v182, 0, v41, s13
	v_lshrrev_b32_e32 v41, 23, v42
	s_mov_b32 s13, exec_lo
	v_add_nc_u32_e32 v182, v182, v42
	s_delay_alu instid0(VALU_DEP_2) | instskip(NEXT) | instid1(VALU_DEP_2)
	v_xor_b32_e32 v41, 1, v41
	v_and_b32_e32 v82, 0xfffff, v182
	s_delay_alu instid0(VALU_DEP_1) | instskip(NEXT) | instid1(VALU_DEP_3)
	v_add_nc_u32_e32 v182, v82, v42
                                        ; implicit-def: $vgpr82
	v_cmpx_ne_u32_e64 v40, v41
	s_xor_b32 s13, exec_lo, s13
; %bb.5835:                             ;   in Loop: Header=BB4_5753 Depth=3
	s_delay_alu instid0(VALU_DEP_2) | instskip(SKIP_2) | instid1(VALU_DEP_2)
	v_cmp_lt_u32_e32 vcc_lo, 0xffffff, v182
	v_sub_nc_u32_e32 v82, v40, v41
	v_cndmask_b32_e64 v40, 0, 1, vcc_lo
	v_add_co_ci_u32_e32 v82, vcc_lo, 0, v82, vcc_lo
	s_delay_alu instid0(VALU_DEP_2)
	v_lshrrev_b32_e32 v182, v40, v182
; %bb.5836:                             ;   in Loop: Header=BB4_5753 Depth=3
	s_and_not1_saveexec_b32 s13, s13
; %bb.5837:                             ;   in Loop: Header=BB4_5753 Depth=3
	s_delay_alu instid0(VALU_DEP_1)
	v_bfe_u32 v82, v182, 23, 1
; %bb.5838:                             ;   in Loop: Header=BB4_5753 Depth=3
	s_or_b32 exec_lo, exec_lo, s13
	v_lshrrev_b32_e32 v182, 20, v182
	s_delay_alu instid0(VALU_DEP_2) | instskip(SKIP_2) | instid1(VALU_DEP_2)
	v_cmp_gt_i32_e32 vcc_lo, 16, v82
	v_lshrrev_b32_e32 v183, 24, v183
	v_min_i32_e32 v40, 15, v82
	v_dual_cndmask_b32 v182, 7, v182 :: v_dual_and_b32 v183, 0x80, v183
	s_delay_alu instid0(VALU_DEP_2) | instskip(NEXT) | instid1(VALU_DEP_2)
	v_lshlrev_b32_e32 v40, 3, v40
	v_and_b32_e32 v41, 7, v182
	v_or_b32_e32 v82, v82, v182
	s_delay_alu instid0(VALU_DEP_2) | instskip(NEXT) | instid1(VALU_DEP_2)
	v_or3_b32 v182, v40, v183, v41
	v_cmp_ne_u32_e32 vcc_lo, 0, v82
	s_delay_alu instid0(VALU_DEP_2)
	v_cndmask_b32_e32 v82, 0, v182, vcc_lo
.LBB4_5839:                             ;   in Loop: Header=BB4_5753 Depth=3
	s_or_b32 exec_lo, exec_lo, s34
.LBB4_5840:                             ;   in Loop: Header=BB4_5753 Depth=3
	s_delay_alu instid0(SALU_CYCLE_1) | instskip(NEXT) | instid1(SALU_CYCLE_1)
	s_or_b32 exec_lo, exec_lo, s31
	s_and_not1_b32 vcc_lo, exec_lo, s17
	s_cbranch_vccnz .LBB4_5850
; %bb.5841:                             ;   in Loop: Header=BB4_5753 Depth=3
	v_and_b32_e32 v183, 0xff, v181
	s_mov_b32 s13, 0
	s_mov_b32 s34, exec_lo
                                        ; implicit-def: $sgpr31
	s_delay_alu instid0(VALU_DEP_1)
	v_cmpx_lt_i16_e64 0x7f, v183
	s_xor_b32 s34, exec_lo, s34
	s_cbranch_execnz .LBB4_6263
; %bb.5842:                             ;   in Loop: Header=BB4_5753 Depth=3
	s_or_saveexec_b32 s34, s34
	v_mov_b32_e32 v182, s31
	s_xor_b32 exec_lo, exec_lo, s34
	s_cbranch_execnz .LBB4_6266
.LBB4_5843:                             ;   in Loop: Header=BB4_5753 Depth=3
	s_or_b32 exec_lo, exec_lo, s34
	s_and_saveexec_b32 s31, s13
	s_cbranch_execz .LBB4_5845
.LBB4_5844:                             ;   in Loop: Header=BB4_5753 Depth=3
	v_lshrrev_b16 v41, 3, v181
	v_lshlrev_b32_e32 v42, 24, v181
	s_delay_alu instid0(VALU_DEP_2) | instskip(NEXT) | instid1(VALU_DEP_1)
	v_and_b32_e32 v41, 15, v41
	v_cmp_eq_u32_e32 vcc_lo, 0, v41
	v_and_b32_e32 v182, 7, v181
	s_delay_alu instid0(VALU_DEP_1) | instskip(NEXT) | instid1(VALU_DEP_1)
	v_clz_i32_u32_e32 v183, v182
	v_min_u32_e32 v183, 32, v183
	s_delay_alu instid0(VALU_DEP_1) | instskip(SKIP_1) | instid1(VALU_DEP_1)
	v_subrev_nc_u32_e32 v40, 28, v183
	v_sub_nc_u32_e32 v183, 29, v183
	v_dual_cndmask_b32 v183, v41, v183 :: v_dual_lshlrev_b32 v40, v40, v181
	s_delay_alu instid0(VALU_DEP_1) | instskip(NEXT) | instid1(VALU_DEP_2)
	v_and_b32_e32 v40, 7, v40
	v_lshl_add_u32 v183, v183, 23, 0x3b800000
	s_delay_alu instid0(VALU_DEP_2) | instskip(SKIP_1) | instid1(VALU_DEP_2)
	v_cndmask_b32_e32 v182, v182, v40, vcc_lo
	v_and_b32_e32 v40, 0x80000000, v42
	v_lshlrev_b32_e32 v182, 20, v182
	s_delay_alu instid0(VALU_DEP_1)
	v_or3_b32 v182, v40, v183, v182
.LBB4_5845:                             ;   in Loop: Header=BB4_5753 Depth=3
	s_or_b32 exec_lo, exec_lo, s31
	s_waitcnt vmcnt(12) lgkmcnt(12)
	v_and_b32_e32 v40, 0xff, v85
	s_mov_b32 s13, 0
	s_mov_b32 s34, exec_lo
                                        ; implicit-def: $sgpr31
	s_delay_alu instid0(VALU_DEP_1)
	v_cmpx_lt_i16_e32 0x7f, v40
	s_xor_b32 s34, exec_lo, s34
	s_cbranch_execnz .LBB4_6267
; %bb.5846:                             ;   in Loop: Header=BB4_5753 Depth=3
	s_or_saveexec_b32 s34, s34
	v_mov_b32_e32 v183, s31
	s_xor_b32 exec_lo, exec_lo, s34
	s_cbranch_execnz .LBB4_6270
.LBB4_5847:                             ;   in Loop: Header=BB4_5753 Depth=3
	s_or_b32 exec_lo, exec_lo, s34
	s_and_saveexec_b32 s31, s13
	s_cbranch_execz .LBB4_5849
.LBB4_5848:                             ;   in Loop: Header=BB4_5753 Depth=3
	v_lshrrev_b16 v42, 3, v85
	v_lshlrev_b32_e32 v43, 24, v85
	s_delay_alu instid0(VALU_DEP_2) | instskip(NEXT) | instid1(VALU_DEP_1)
	v_and_b32_e32 v42, 15, v42
	v_cmp_eq_u32_e32 vcc_lo, 0, v42
	v_and_b32_e32 v183, 7, v85
	s_delay_alu instid0(VALU_DEP_1) | instskip(NEXT) | instid1(VALU_DEP_1)
	v_clz_i32_u32_e32 v40, v183
	v_min_u32_e32 v40, 32, v40
	s_delay_alu instid0(VALU_DEP_1) | instskip(SKIP_1) | instid1(VALU_DEP_1)
	v_subrev_nc_u32_e32 v41, 28, v40
	v_sub_nc_u32_e32 v40, 29, v40
	v_dual_cndmask_b32 v40, v42, v40 :: v_dual_lshlrev_b32 v41, v41, v85
	s_delay_alu instid0(VALU_DEP_1) | instskip(NEXT) | instid1(VALU_DEP_2)
	v_and_b32_e32 v41, 7, v41
	v_lshl_add_u32 v40, v40, 23, 0x3b800000
	s_delay_alu instid0(VALU_DEP_2) | instskip(SKIP_1) | instid1(VALU_DEP_2)
	v_cndmask_b32_e32 v183, v183, v41, vcc_lo
	v_and_b32_e32 v41, 0x80000000, v43
	v_lshlrev_b32_e32 v183, 20, v183
	s_delay_alu instid0(VALU_DEP_1)
	v_or3_b32 v183, v41, v40, v183
.LBB4_5849:                             ;   in Loop: Header=BB4_5753 Depth=3
	s_or_b32 exec_lo, exec_lo, s31
	s_delay_alu instid0(VALU_DEP_1) | instskip(SKIP_1) | instid1(VALU_DEP_1)
	v_dual_max_f32 v183, v183, v183 :: v_dual_max_f32 v182, v182, v182
	s_mov_b32 s13, 0
	v_max_f32_e32 v182, v182, v183
	s_branch .LBB4_5851
.LBB4_5850:                             ;   in Loop: Header=BB4_5753 Depth=3
	s_mov_b32 s13, -1
                                        ; implicit-def: $vgpr182
.LBB4_5851:                             ;   in Loop: Header=BB4_5753 Depth=3
	s_delay_alu instid0(SALU_CYCLE_1)
	s_and_b32 vcc_lo, exec_lo, s13
	s_cbranch_vccz .LBB4_5861
; %bb.5852:                             ;   in Loop: Header=BB4_5753 Depth=3
	v_and_b32_e32 v183, 0xff, v181
	s_mov_b32 s13, 0
	s_mov_b32 s34, exec_lo
                                        ; implicit-def: $sgpr31
	s_delay_alu instid0(VALU_DEP_1)
	v_cmpx_lt_i16_e64 0x7f, v183
	s_xor_b32 s34, exec_lo, s34
	s_cbranch_execnz .LBB4_6271
; %bb.5853:                             ;   in Loop: Header=BB4_5753 Depth=3
	s_or_saveexec_b32 s34, s34
	v_mov_b32_e32 v182, s31
	s_xor_b32 exec_lo, exec_lo, s34
	s_cbranch_execnz .LBB4_6274
.LBB4_5854:                             ;   in Loop: Header=BB4_5753 Depth=3
	s_or_b32 exec_lo, exec_lo, s34
	s_and_saveexec_b32 s31, s13
	s_cbranch_execz .LBB4_5856
.LBB4_5855:                             ;   in Loop: Header=BB4_5753 Depth=3
	v_lshrrev_b16 v41, 3, v181
	s_delay_alu instid0(VALU_DEP_1) | instskip(NEXT) | instid1(VALU_DEP_1)
	v_and_b32_e32 v41, 15, v41
	v_cmp_eq_u32_e32 vcc_lo, 0, v41
	v_and_b32_e32 v182, 7, v181
	s_delay_alu instid0(VALU_DEP_1) | instskip(NEXT) | instid1(VALU_DEP_1)
	v_clz_i32_u32_e32 v183, v182
	v_min_u32_e32 v183, 32, v183
	s_delay_alu instid0(VALU_DEP_1) | instskip(SKIP_1) | instid1(VALU_DEP_1)
	v_subrev_nc_u32_e32 v40, 28, v183
	v_sub_nc_u32_e32 v183, 29, v183
	v_dual_cndmask_b32 v183, v41, v183 :: v_dual_lshlrev_b32 v40, v40, v181
	v_lshlrev_b32_e32 v181, 24, v181
	s_delay_alu instid0(VALU_DEP_2) | instskip(NEXT) | instid1(VALU_DEP_3)
	v_and_b32_e32 v40, 7, v40
	v_lshl_add_u32 v183, v183, 23, 0x3b800000
	s_delay_alu instid0(VALU_DEP_2) | instskip(NEXT) | instid1(VALU_DEP_1)
	v_dual_cndmask_b32 v182, v182, v40 :: v_dual_and_b32 v181, 0x80000000, v181
	v_lshlrev_b32_e32 v182, 20, v182
	s_delay_alu instid0(VALU_DEP_1)
	v_or3_b32 v182, v181, v183, v182
.LBB4_5856:                             ;   in Loop: Header=BB4_5753 Depth=3
	s_or_b32 exec_lo, exec_lo, s31
	s_waitcnt vmcnt(12) lgkmcnt(12)
	v_and_b32_e32 v183, 0xff, v85
	s_mov_b32 s13, 0
	s_mov_b32 s34, exec_lo
                                        ; implicit-def: $sgpr31
	s_delay_alu instid0(VALU_DEP_1)
	v_cmpx_lt_i16_e64 0x7f, v183
	s_xor_b32 s34, exec_lo, s34
	s_cbranch_execnz .LBB4_6275
; %bb.5857:                             ;   in Loop: Header=BB4_5753 Depth=3
	s_or_saveexec_b32 s34, s34
	v_mov_b32_e32 v181, s31
	s_xor_b32 exec_lo, exec_lo, s34
	s_cbranch_execnz .LBB4_6278
.LBB4_5858:                             ;   in Loop: Header=BB4_5753 Depth=3
	s_or_b32 exec_lo, exec_lo, s34
	s_and_saveexec_b32 s31, s13
	s_cbranch_execz .LBB4_5860
.LBB4_5859:                             ;   in Loop: Header=BB4_5753 Depth=3
	v_and_b32_e32 v181, 7, v85
	v_lshrrev_b16 v41, 3, v85
	s_delay_alu instid0(VALU_DEP_2) | instskip(NEXT) | instid1(VALU_DEP_2)
	v_clz_i32_u32_e32 v183, v181
	v_and_b32_e32 v41, 15, v41
	s_delay_alu instid0(VALU_DEP_2) | instskip(NEXT) | instid1(VALU_DEP_2)
	v_min_u32_e32 v183, 32, v183
	v_cmp_eq_u32_e32 vcc_lo, 0, v41
	s_delay_alu instid0(VALU_DEP_2) | instskip(SKIP_1) | instid1(VALU_DEP_1)
	v_subrev_nc_u32_e32 v40, 28, v183
	v_sub_nc_u32_e32 v183, 29, v183
	v_dual_cndmask_b32 v183, v41, v183 :: v_dual_lshlrev_b32 v40, v40, v85
	v_lshlrev_b32_e32 v85, 24, v85
	s_delay_alu instid0(VALU_DEP_2) | instskip(NEXT) | instid1(VALU_DEP_3)
	v_and_b32_e32 v40, 7, v40
	v_lshl_add_u32 v183, v183, 23, 0x3b800000
	s_delay_alu instid0(VALU_DEP_3) | instskip(NEXT) | instid1(VALU_DEP_3)
	v_and_b32_e32 v85, 0x80000000, v85
	v_cndmask_b32_e32 v181, v181, v40, vcc_lo
	s_delay_alu instid0(VALU_DEP_1) | instskip(NEXT) | instid1(VALU_DEP_1)
	v_lshlrev_b32_e32 v181, 20, v181
	v_or3_b32 v181, v85, v183, v181
.LBB4_5860:                             ;   in Loop: Header=BB4_5753 Depth=3
	s_or_b32 exec_lo, exec_lo, s31
	s_delay_alu instid0(VALU_DEP_1) | instskip(SKIP_1) | instid1(VALU_DEP_1)
	v_max_f32_e32 v85, v181, v181
	v_max_f32_e32 v181, v182, v182
	v_min_f32_e32 v182, v181, v85
.LBB4_5861:                             ;   in Loop: Header=BB4_5753 Depth=3
	s_waitcnt vmcnt(12) lgkmcnt(12)
	s_delay_alu instid0(VALU_DEP_1) | instskip(NEXT) | instid1(VALU_DEP_1)
	v_and_b32_e32 v85, 0x7f800000, v182
	v_cmp_ne_u32_e32 vcc_lo, 0x7f800000, v85
	v_mov_b32_e32 v85, 0x80
	s_and_saveexec_b32 s31, vcc_lo
	s_cbranch_execz .LBB4_5869
; %bb.5862:                             ;   in Loop: Header=BB4_5753 Depth=3
	v_mov_b32_e32 v85, 0
	s_mov_b32 s34, exec_lo
	v_cmpx_ne_u32_e32 0, v182
	s_cbranch_execz .LBB4_5868
; %bb.5863:                             ;   in Loop: Header=BB4_5753 Depth=3
	v_bfe_u32 v85, v182, 23, 8
	v_and_b32_e32 v181, 0x7fffff, v182
	s_delay_alu instid0(VALU_DEP_2) | instskip(SKIP_1) | instid1(VALU_DEP_3)
	v_sub_nc_u32_e32 v183, 0x78, v85
	v_cmp_gt_u32_e32 vcc_lo, 0x79, v85
	v_or_b32_e32 v40, 0x800000, v181
	s_delay_alu instid0(VALU_DEP_3) | instskip(SKIP_2) | instid1(VALU_DEP_3)
	v_cndmask_b32_e32 v183, 0, v183, vcc_lo
	v_cmp_eq_u32_e32 vcc_lo, 0, v85
	v_add_nc_u32_e32 v85, 0xffffff89, v85
	v_cndmask_b32_e64 v183, v183, 0x77, vcc_lo
	v_cndmask_b32_e32 v181, v40, v181, vcc_lo
	s_delay_alu instid0(VALU_DEP_3) | instskip(NEXT) | instid1(VALU_DEP_3)
	v_cndmask_b32_e64 v85, v85, 0xffffff8a, vcc_lo
	v_lshl_add_u32 v40, 0x100000, v183, -1
	s_delay_alu instid0(VALU_DEP_3) | instskip(SKIP_1) | instid1(VALU_DEP_4)
	v_lshrrev_b32_e32 v41, v183, v181
	v_lshlrev_b32_e64 v43, v183, 0x80000
	v_add_nc_u32_e32 v183, v183, v85
	s_delay_alu instid0(VALU_DEP_4) | instskip(NEXT) | instid1(VALU_DEP_4)
	v_and_b32_e32 v181, v40, v181
	v_bfe_u32 v42, v41, 20, 1
	s_delay_alu instid0(VALU_DEP_2) | instskip(NEXT) | instid1(VALU_DEP_2)
	v_cmp_eq_u32_e64 s13, v181, v43
	v_add_nc_u32_e32 v40, -1, v42
	s_delay_alu instid0(VALU_DEP_1) | instskip(SKIP_2) | instid1(VALU_DEP_2)
	v_cndmask_b32_e64 v181, 0, v40, s13
	v_lshrrev_b32_e32 v40, 23, v41
	s_mov_b32 s13, exec_lo
	v_add_nc_u32_e32 v181, v181, v41
	s_delay_alu instid0(VALU_DEP_2) | instskip(NEXT) | instid1(VALU_DEP_2)
	v_xor_b32_e32 v40, 1, v40
	v_and_b32_e32 v85, 0xfffff, v181
	s_delay_alu instid0(VALU_DEP_1) | instskip(NEXT) | instid1(VALU_DEP_3)
	v_add_nc_u32_e32 v181, v85, v41
                                        ; implicit-def: $vgpr85
	v_cmpx_ne_u32_e64 v183, v40
	s_xor_b32 s13, exec_lo, s13
; %bb.5864:                             ;   in Loop: Header=BB4_5753 Depth=3
	s_delay_alu instid0(VALU_DEP_2) | instskip(SKIP_2) | instid1(VALU_DEP_2)
	v_cmp_lt_u32_e32 vcc_lo, 0xffffff, v181
	v_sub_nc_u32_e32 v85, v183, v40
	v_cndmask_b32_e64 v183, 0, 1, vcc_lo
	v_add_co_ci_u32_e32 v85, vcc_lo, 0, v85, vcc_lo
	s_delay_alu instid0(VALU_DEP_2)
	v_lshrrev_b32_e32 v181, v183, v181
; %bb.5865:                             ;   in Loop: Header=BB4_5753 Depth=3
	s_and_not1_saveexec_b32 s13, s13
; %bb.5866:                             ;   in Loop: Header=BB4_5753 Depth=3
	s_delay_alu instid0(VALU_DEP_1)
	v_bfe_u32 v85, v181, 23, 1
; %bb.5867:                             ;   in Loop: Header=BB4_5753 Depth=3
	s_or_b32 exec_lo, exec_lo, s13
	v_lshrrev_b32_e32 v181, 20, v181
	s_delay_alu instid0(VALU_DEP_2) | instskip(SKIP_2) | instid1(VALU_DEP_2)
	v_cmp_gt_i32_e32 vcc_lo, 16, v85
	v_lshrrev_b32_e32 v182, 24, v182
	v_min_i32_e32 v183, 15, v85
	v_dual_cndmask_b32 v181, 7, v181 :: v_dual_and_b32 v182, 0x80, v182
	s_delay_alu instid0(VALU_DEP_2) | instskip(NEXT) | instid1(VALU_DEP_2)
	v_lshlrev_b32_e32 v183, 3, v183
	v_and_b32_e32 v40, 7, v181
	v_or_b32_e32 v85, v85, v181
	s_delay_alu instid0(VALU_DEP_2) | instskip(NEXT) | instid1(VALU_DEP_2)
	v_or3_b32 v181, v183, v182, v40
	v_cmp_ne_u32_e32 vcc_lo, 0, v85
	s_delay_alu instid0(VALU_DEP_2)
	v_cndmask_b32_e32 v85, 0, v181, vcc_lo
.LBB4_5868:                             ;   in Loop: Header=BB4_5753 Depth=3
	s_or_b32 exec_lo, exec_lo, s34
.LBB4_5869:                             ;   in Loop: Header=BB4_5753 Depth=3
	s_delay_alu instid0(SALU_CYCLE_1) | instskip(NEXT) | instid1(SALU_CYCLE_1)
	s_or_b32 exec_lo, exec_lo, s31
	s_and_not1_b32 vcc_lo, exec_lo, s17
	s_cbranch_vccnz .LBB4_5879
; %bb.5870:                             ;   in Loop: Header=BB4_5753 Depth=3
	v_and_b32_e32 v182, 0xff, v180
	s_mov_b32 s13, 0
	s_mov_b32 s34, exec_lo
                                        ; implicit-def: $sgpr31
	s_delay_alu instid0(VALU_DEP_1)
	v_cmpx_lt_i16_e64 0x7f, v182
	s_xor_b32 s34, exec_lo, s34
	s_cbranch_execnz .LBB4_6279
; %bb.5871:                             ;   in Loop: Header=BB4_5753 Depth=3
	s_or_saveexec_b32 s34, s34
	v_mov_b32_e32 v181, s31
	s_xor_b32 exec_lo, exec_lo, s34
	s_cbranch_execnz .LBB4_6282
.LBB4_5872:                             ;   in Loop: Header=BB4_5753 Depth=3
	s_or_b32 exec_lo, exec_lo, s34
	s_and_saveexec_b32 s31, s13
	s_cbranch_execz .LBB4_5874
.LBB4_5873:                             ;   in Loop: Header=BB4_5753 Depth=3
	v_lshrrev_b16 v40, 3, v180
	v_lshlrev_b32_e32 v41, 24, v180
	s_delay_alu instid0(VALU_DEP_2) | instskip(NEXT) | instid1(VALU_DEP_1)
	v_and_b32_e32 v40, 15, v40
	v_cmp_eq_u32_e32 vcc_lo, 0, v40
	v_and_b32_e32 v181, 7, v180
	s_delay_alu instid0(VALU_DEP_1) | instskip(NEXT) | instid1(VALU_DEP_1)
	v_clz_i32_u32_e32 v182, v181
	v_min_u32_e32 v182, 32, v182
	s_delay_alu instid0(VALU_DEP_1) | instskip(SKIP_1) | instid1(VALU_DEP_1)
	v_subrev_nc_u32_e32 v183, 28, v182
	v_sub_nc_u32_e32 v182, 29, v182
	v_dual_cndmask_b32 v182, v40, v182 :: v_dual_lshlrev_b32 v183, v183, v180
	s_delay_alu instid0(VALU_DEP_1) | instskip(NEXT) | instid1(VALU_DEP_2)
	v_and_b32_e32 v183, 7, v183
	v_lshl_add_u32 v182, v182, 23, 0x3b800000
	s_delay_alu instid0(VALU_DEP_2) | instskip(SKIP_1) | instid1(VALU_DEP_2)
	v_cndmask_b32_e32 v181, v181, v183, vcc_lo
	v_and_b32_e32 v183, 0x80000000, v41
	v_lshlrev_b32_e32 v181, 20, v181
	s_delay_alu instid0(VALU_DEP_1)
	v_or3_b32 v181, v183, v182, v181
.LBB4_5874:                             ;   in Loop: Header=BB4_5753 Depth=3
	s_or_b32 exec_lo, exec_lo, s31
	s_waitcnt vmcnt(11) lgkmcnt(11)
	v_and_b32_e32 v183, 0xff, v151
	s_mov_b32 s13, 0
	s_mov_b32 s34, exec_lo
                                        ; implicit-def: $sgpr31
	s_delay_alu instid0(VALU_DEP_1)
	v_cmpx_lt_i16_e64 0x7f, v183
	s_xor_b32 s34, exec_lo, s34
	s_cbranch_execnz .LBB4_6283
; %bb.5875:                             ;   in Loop: Header=BB4_5753 Depth=3
	s_or_saveexec_b32 s34, s34
	v_mov_b32_e32 v182, s31
	s_xor_b32 exec_lo, exec_lo, s34
	s_cbranch_execnz .LBB4_6286
.LBB4_5876:                             ;   in Loop: Header=BB4_5753 Depth=3
	s_or_b32 exec_lo, exec_lo, s34
	s_and_saveexec_b32 s31, s13
	s_cbranch_execz .LBB4_5878
.LBB4_5877:                             ;   in Loop: Header=BB4_5753 Depth=3
	v_and_b32_e32 v182, 7, v151
	v_lshrrev_b16 v41, 3, v151
	v_lshlrev_b32_e32 v42, 24, v151
	s_delay_alu instid0(VALU_DEP_3) | instskip(NEXT) | instid1(VALU_DEP_1)
	v_clz_i32_u32_e32 v183, v182
	v_min_u32_e32 v183, 32, v183
	s_delay_alu instid0(VALU_DEP_1) | instskip(SKIP_1) | instid1(VALU_DEP_2)
	v_subrev_nc_u32_e32 v40, 28, v183
	v_sub_nc_u32_e32 v183, 29, v183
	v_lshlrev_b32_e32 v40, v40, v151
	s_delay_alu instid0(VALU_DEP_1) | instskip(SKIP_1) | instid1(VALU_DEP_1)
	v_and_b32_e32 v40, 7, v40
	v_and_b32_e32 v41, 15, v41
	v_cmp_eq_u32_e32 vcc_lo, 0, v41
	s_delay_alu instid0(VALU_DEP_3) | instskip(SKIP_1) | instid1(VALU_DEP_2)
	v_dual_cndmask_b32 v182, v182, v40 :: v_dual_cndmask_b32 v183, v41, v183
	v_and_b32_e32 v40, 0x80000000, v42
	v_lshlrev_b32_e32 v182, 20, v182
	s_delay_alu instid0(VALU_DEP_3) | instskip(NEXT) | instid1(VALU_DEP_1)
	v_lshl_add_u32 v183, v183, 23, 0x3b800000
	v_or3_b32 v182, v40, v183, v182
.LBB4_5878:                             ;   in Loop: Header=BB4_5753 Depth=3
	s_or_b32 exec_lo, exec_lo, s31
	s_delay_alu instid0(VALU_DEP_1) | instskip(SKIP_1) | instid1(VALU_DEP_1)
	v_dual_max_f32 v182, v182, v182 :: v_dual_max_f32 v181, v181, v181
	s_mov_b32 s13, 0
	v_max_f32_e32 v181, v181, v182
	s_branch .LBB4_5880
.LBB4_5879:                             ;   in Loop: Header=BB4_5753 Depth=3
	s_mov_b32 s13, -1
                                        ; implicit-def: $vgpr181
.LBB4_5880:                             ;   in Loop: Header=BB4_5753 Depth=3
	s_delay_alu instid0(SALU_CYCLE_1)
	s_and_b32 vcc_lo, exec_lo, s13
	s_cbranch_vccz .LBB4_5890
; %bb.5881:                             ;   in Loop: Header=BB4_5753 Depth=3
	v_and_b32_e32 v182, 0xff, v180
	s_mov_b32 s13, 0
	s_mov_b32 s34, exec_lo
                                        ; implicit-def: $sgpr31
	s_delay_alu instid0(VALU_DEP_1)
	v_cmpx_lt_i16_e64 0x7f, v182
	s_xor_b32 s34, exec_lo, s34
	s_cbranch_execnz .LBB4_6287
; %bb.5882:                             ;   in Loop: Header=BB4_5753 Depth=3
	s_or_saveexec_b32 s34, s34
	v_mov_b32_e32 v181, s31
	s_xor_b32 exec_lo, exec_lo, s34
	s_cbranch_execnz .LBB4_6290
.LBB4_5883:                             ;   in Loop: Header=BB4_5753 Depth=3
	s_or_b32 exec_lo, exec_lo, s34
	s_and_saveexec_b32 s31, s13
	s_cbranch_execz .LBB4_5885
.LBB4_5884:                             ;   in Loop: Header=BB4_5753 Depth=3
	v_lshrrev_b16 v40, 3, v180
	s_delay_alu instid0(VALU_DEP_1) | instskip(NEXT) | instid1(VALU_DEP_1)
	v_and_b32_e32 v40, 15, v40
	v_cmp_eq_u32_e32 vcc_lo, 0, v40
	v_and_b32_e32 v181, 7, v180
	s_delay_alu instid0(VALU_DEP_1) | instskip(NEXT) | instid1(VALU_DEP_1)
	v_clz_i32_u32_e32 v182, v181
	v_min_u32_e32 v182, 32, v182
	s_delay_alu instid0(VALU_DEP_1) | instskip(SKIP_1) | instid1(VALU_DEP_1)
	v_subrev_nc_u32_e32 v183, 28, v182
	v_sub_nc_u32_e32 v182, 29, v182
	v_dual_cndmask_b32 v182, v40, v182 :: v_dual_lshlrev_b32 v183, v183, v180
	v_lshlrev_b32_e32 v180, 24, v180
	s_delay_alu instid0(VALU_DEP_2) | instskip(NEXT) | instid1(VALU_DEP_3)
	v_and_b32_e32 v183, 7, v183
	v_lshl_add_u32 v182, v182, 23, 0x3b800000
	s_delay_alu instid0(VALU_DEP_2) | instskip(NEXT) | instid1(VALU_DEP_1)
	v_dual_cndmask_b32 v181, v181, v183 :: v_dual_and_b32 v180, 0x80000000, v180
	v_lshlrev_b32_e32 v181, 20, v181
	s_delay_alu instid0(VALU_DEP_1)
	v_or3_b32 v181, v180, v182, v181
.LBB4_5885:                             ;   in Loop: Header=BB4_5753 Depth=3
	s_or_b32 exec_lo, exec_lo, s31
	s_waitcnt vmcnt(11) lgkmcnt(11)
	v_and_b32_e32 v182, 0xff, v151
	s_mov_b32 s13, 0
	s_mov_b32 s34, exec_lo
                                        ; implicit-def: $sgpr31
	s_delay_alu instid0(VALU_DEP_1)
	v_cmpx_lt_i16_e64 0x7f, v182
	s_xor_b32 s34, exec_lo, s34
	s_cbranch_execnz .LBB4_6291
; %bb.5886:                             ;   in Loop: Header=BB4_5753 Depth=3
	s_or_saveexec_b32 s34, s34
	v_mov_b32_e32 v180, s31
	s_xor_b32 exec_lo, exec_lo, s34
	s_cbranch_execnz .LBB4_6294
.LBB4_5887:                             ;   in Loop: Header=BB4_5753 Depth=3
	s_or_b32 exec_lo, exec_lo, s34
	s_and_saveexec_b32 s31, s13
	s_cbranch_execz .LBB4_5889
.LBB4_5888:                             ;   in Loop: Header=BB4_5753 Depth=3
	v_and_b32_e32 v180, 7, v151
	v_lshrrev_b16 v40, 3, v151
	s_delay_alu instid0(VALU_DEP_2) | instskip(NEXT) | instid1(VALU_DEP_2)
	v_clz_i32_u32_e32 v182, v180
	v_and_b32_e32 v40, 15, v40
	s_delay_alu instid0(VALU_DEP_2) | instskip(NEXT) | instid1(VALU_DEP_2)
	v_min_u32_e32 v182, 32, v182
	v_cmp_eq_u32_e32 vcc_lo, 0, v40
	s_delay_alu instid0(VALU_DEP_2) | instskip(SKIP_1) | instid1(VALU_DEP_1)
	v_subrev_nc_u32_e32 v183, 28, v182
	v_sub_nc_u32_e32 v182, 29, v182
	v_dual_cndmask_b32 v182, v40, v182 :: v_dual_lshlrev_b32 v183, v183, v151
	v_lshlrev_b32_e32 v151, 24, v151
	s_delay_alu instid0(VALU_DEP_2) | instskip(NEXT) | instid1(VALU_DEP_3)
	v_and_b32_e32 v183, 7, v183
	v_lshl_add_u32 v182, v182, 23, 0x3b800000
	s_delay_alu instid0(VALU_DEP_3) | instskip(NEXT) | instid1(VALU_DEP_3)
	v_and_b32_e32 v151, 0x80000000, v151
	v_cndmask_b32_e32 v180, v180, v183, vcc_lo
	s_delay_alu instid0(VALU_DEP_1) | instskip(NEXT) | instid1(VALU_DEP_1)
	v_lshlrev_b32_e32 v180, 20, v180
	v_or3_b32 v180, v151, v182, v180
.LBB4_5889:                             ;   in Loop: Header=BB4_5753 Depth=3
	s_or_b32 exec_lo, exec_lo, s31
	s_delay_alu instid0(VALU_DEP_1) | instskip(NEXT) | instid1(VALU_DEP_1)
	v_dual_max_f32 v151, v180, v180 :: v_dual_max_f32 v180, v181, v181
	v_min_f32_e32 v181, v180, v151
.LBB4_5890:                             ;   in Loop: Header=BB4_5753 Depth=3
	s_waitcnt vmcnt(11) lgkmcnt(11)
	s_delay_alu instid0(VALU_DEP_1) | instskip(NEXT) | instid1(VALU_DEP_1)
	v_and_b32_e32 v151, 0x7f800000, v181
	v_cmp_ne_u32_e32 vcc_lo, 0x7f800000, v151
	v_mov_b32_e32 v151, 0x80
	s_and_saveexec_b32 s31, vcc_lo
	s_cbranch_execz .LBB4_5898
; %bb.5891:                             ;   in Loop: Header=BB4_5753 Depth=3
	v_mov_b32_e32 v151, 0
	s_mov_b32 s34, exec_lo
	v_cmpx_ne_u32_e32 0, v181
	s_cbranch_execz .LBB4_5897
; %bb.5892:                             ;   in Loop: Header=BB4_5753 Depth=3
	v_bfe_u32 v151, v181, 23, 8
	v_and_b32_e32 v180, 0x7fffff, v181
	s_delay_alu instid0(VALU_DEP_2) | instskip(SKIP_1) | instid1(VALU_DEP_3)
	v_sub_nc_u32_e32 v182, 0x78, v151
	v_cmp_gt_u32_e32 vcc_lo, 0x79, v151
	v_or_b32_e32 v183, 0x800000, v180
	s_delay_alu instid0(VALU_DEP_3) | instskip(SKIP_2) | instid1(VALU_DEP_3)
	v_cndmask_b32_e32 v182, 0, v182, vcc_lo
	v_cmp_eq_u32_e32 vcc_lo, 0, v151
	v_add_nc_u32_e32 v151, 0xffffff89, v151
	v_cndmask_b32_e64 v182, v182, 0x77, vcc_lo
	v_cndmask_b32_e32 v180, v183, v180, vcc_lo
	s_delay_alu instid0(VALU_DEP_3) | instskip(NEXT) | instid1(VALU_DEP_3)
	v_cndmask_b32_e64 v151, v151, 0xffffff8a, vcc_lo
	v_lshl_add_u32 v183, 0x100000, v182, -1
	s_delay_alu instid0(VALU_DEP_3) | instskip(SKIP_1) | instid1(VALU_DEP_4)
	v_lshrrev_b32_e32 v40, v182, v180
	v_lshlrev_b32_e64 v42, v182, 0x80000
	v_add_nc_u32_e32 v182, v182, v151
	s_delay_alu instid0(VALU_DEP_4) | instskip(NEXT) | instid1(VALU_DEP_4)
	v_and_b32_e32 v180, v183, v180
	v_bfe_u32 v41, v40, 20, 1
	s_delay_alu instid0(VALU_DEP_2) | instskip(NEXT) | instid1(VALU_DEP_2)
	v_cmp_eq_u32_e64 s13, v180, v42
	v_add_nc_u32_e32 v183, -1, v41
	s_delay_alu instid0(VALU_DEP_1) | instskip(SKIP_2) | instid1(VALU_DEP_2)
	v_cndmask_b32_e64 v180, 0, v183, s13
	v_lshrrev_b32_e32 v183, 23, v40
	s_mov_b32 s13, exec_lo
	v_add_nc_u32_e32 v180, v180, v40
	s_delay_alu instid0(VALU_DEP_2) | instskip(NEXT) | instid1(VALU_DEP_2)
	v_xor_b32_e32 v183, 1, v183
	v_and_b32_e32 v151, 0xfffff, v180
	s_delay_alu instid0(VALU_DEP_1) | instskip(NEXT) | instid1(VALU_DEP_3)
	v_add_nc_u32_e32 v180, v151, v40
                                        ; implicit-def: $vgpr151
	v_cmpx_ne_u32_e64 v182, v183
	s_xor_b32 s13, exec_lo, s13
; %bb.5893:                             ;   in Loop: Header=BB4_5753 Depth=3
	s_delay_alu instid0(VALU_DEP_2) | instskip(SKIP_2) | instid1(VALU_DEP_2)
	v_cmp_lt_u32_e32 vcc_lo, 0xffffff, v180
	v_sub_nc_u32_e32 v151, v182, v183
	v_cndmask_b32_e64 v182, 0, 1, vcc_lo
	v_add_co_ci_u32_e32 v151, vcc_lo, 0, v151, vcc_lo
	s_delay_alu instid0(VALU_DEP_2)
	v_lshrrev_b32_e32 v180, v182, v180
; %bb.5894:                             ;   in Loop: Header=BB4_5753 Depth=3
	s_and_not1_saveexec_b32 s13, s13
; %bb.5895:                             ;   in Loop: Header=BB4_5753 Depth=3
	s_delay_alu instid0(VALU_DEP_1)
	v_bfe_u32 v151, v180, 23, 1
; %bb.5896:                             ;   in Loop: Header=BB4_5753 Depth=3
	s_or_b32 exec_lo, exec_lo, s13
	v_lshrrev_b32_e32 v180, 20, v180
	s_delay_alu instid0(VALU_DEP_2) | instskip(SKIP_2) | instid1(VALU_DEP_2)
	v_cmp_gt_i32_e32 vcc_lo, 16, v151
	v_lshrrev_b32_e32 v181, 24, v181
	v_min_i32_e32 v182, 15, v151
	v_dual_cndmask_b32 v180, 7, v180 :: v_dual_and_b32 v181, 0x80, v181
	s_delay_alu instid0(VALU_DEP_1) | instskip(SKIP_1) | instid1(VALU_DEP_2)
	v_or_b32_e32 v151, v151, v180
	v_and_b32_e32 v183, 7, v180
	v_cmp_ne_u32_e32 vcc_lo, 0, v151
	v_lshlrev_b32_e32 v182, 3, v182
	s_delay_alu instid0(VALU_DEP_1) | instskip(NEXT) | instid1(VALU_DEP_1)
	v_or3_b32 v180, v182, v181, v183
	v_cndmask_b32_e32 v151, 0, v180, vcc_lo
.LBB4_5897:                             ;   in Loop: Header=BB4_5753 Depth=3
	s_or_b32 exec_lo, exec_lo, s34
.LBB4_5898:                             ;   in Loop: Header=BB4_5753 Depth=3
	s_delay_alu instid0(SALU_CYCLE_1) | instskip(NEXT) | instid1(SALU_CYCLE_1)
	s_or_b32 exec_lo, exec_lo, s31
	s_and_not1_b32 vcc_lo, exec_lo, s17
	s_cbranch_vccnz .LBB4_5908
; %bb.5899:                             ;   in Loop: Header=BB4_5753 Depth=3
	v_and_b32_e32 v181, 0xff, v179
	s_mov_b32 s13, 0
	s_mov_b32 s34, exec_lo
                                        ; implicit-def: $sgpr31
	s_delay_alu instid0(VALU_DEP_1)
	v_cmpx_lt_i16_e64 0x7f, v181
	s_xor_b32 s34, exec_lo, s34
	s_cbranch_execnz .LBB4_6295
; %bb.5900:                             ;   in Loop: Header=BB4_5753 Depth=3
	s_or_saveexec_b32 s34, s34
	v_mov_b32_e32 v180, s31
	s_xor_b32 exec_lo, exec_lo, s34
	s_cbranch_execnz .LBB4_6298
.LBB4_5901:                             ;   in Loop: Header=BB4_5753 Depth=3
	s_or_b32 exec_lo, exec_lo, s34
	s_and_saveexec_b32 s31, s13
	s_cbranch_execz .LBB4_5903
.LBB4_5902:                             ;   in Loop: Header=BB4_5753 Depth=3
	v_lshrrev_b16 v183, 3, v179
	v_lshlrev_b32_e32 v40, 24, v179
	s_delay_alu instid0(VALU_DEP_2) | instskip(NEXT) | instid1(VALU_DEP_1)
	v_and_b32_e32 v183, 15, v183
	v_cmp_eq_u32_e32 vcc_lo, 0, v183
	v_and_b32_e32 v180, 7, v179
	s_delay_alu instid0(VALU_DEP_1) | instskip(NEXT) | instid1(VALU_DEP_1)
	v_clz_i32_u32_e32 v181, v180
	v_min_u32_e32 v181, 32, v181
	s_delay_alu instid0(VALU_DEP_1) | instskip(SKIP_1) | instid1(VALU_DEP_1)
	v_subrev_nc_u32_e32 v182, 28, v181
	v_sub_nc_u32_e32 v181, 29, v181
	v_dual_cndmask_b32 v181, v183, v181 :: v_dual_lshlrev_b32 v182, v182, v179
	s_delay_alu instid0(VALU_DEP_1) | instskip(NEXT) | instid1(VALU_DEP_2)
	v_and_b32_e32 v182, 7, v182
	v_lshl_add_u32 v181, v181, 23, 0x3b800000
	s_delay_alu instid0(VALU_DEP_2) | instskip(SKIP_1) | instid1(VALU_DEP_2)
	v_cndmask_b32_e32 v180, v180, v182, vcc_lo
	v_and_b32_e32 v182, 0x80000000, v40
	v_lshlrev_b32_e32 v180, 20, v180
	s_delay_alu instid0(VALU_DEP_1)
	v_or3_b32 v180, v182, v181, v180
.LBB4_5903:                             ;   in Loop: Header=BB4_5753 Depth=3
	s_or_b32 exec_lo, exec_lo, s31
	s_waitcnt vmcnt(10) lgkmcnt(10)
	v_and_b32_e32 v182, 0xff, v162
	s_mov_b32 s13, 0
	s_mov_b32 s34, exec_lo
                                        ; implicit-def: $sgpr31
	s_delay_alu instid0(VALU_DEP_1)
	v_cmpx_lt_i16_e64 0x7f, v182
	s_xor_b32 s34, exec_lo, s34
	s_cbranch_execnz .LBB4_6299
; %bb.5904:                             ;   in Loop: Header=BB4_5753 Depth=3
	s_or_saveexec_b32 s34, s34
	v_mov_b32_e32 v181, s31
	s_xor_b32 exec_lo, exec_lo, s34
	s_cbranch_execnz .LBB4_6302
.LBB4_5905:                             ;   in Loop: Header=BB4_5753 Depth=3
	s_or_b32 exec_lo, exec_lo, s34
	s_and_saveexec_b32 s31, s13
	s_cbranch_execz .LBB4_5907
.LBB4_5906:                             ;   in Loop: Header=BB4_5753 Depth=3
	v_and_b32_e32 v181, 7, v162
	v_lshrrev_b16 v40, 3, v162
	v_lshlrev_b32_e32 v41, 24, v162
	s_delay_alu instid0(VALU_DEP_3) | instskip(NEXT) | instid1(VALU_DEP_1)
	v_clz_i32_u32_e32 v182, v181
	v_min_u32_e32 v182, 32, v182
	s_delay_alu instid0(VALU_DEP_1) | instskip(SKIP_1) | instid1(VALU_DEP_2)
	v_subrev_nc_u32_e32 v183, 28, v182
	v_sub_nc_u32_e32 v182, 29, v182
	v_lshlrev_b32_e32 v183, v183, v162
	s_delay_alu instid0(VALU_DEP_1) | instskip(SKIP_1) | instid1(VALU_DEP_1)
	v_and_b32_e32 v183, 7, v183
	v_and_b32_e32 v40, 15, v40
	v_cmp_eq_u32_e32 vcc_lo, 0, v40
	s_delay_alu instid0(VALU_DEP_3) | instskip(SKIP_1) | instid1(VALU_DEP_2)
	v_dual_cndmask_b32 v181, v181, v183 :: v_dual_cndmask_b32 v182, v40, v182
	v_and_b32_e32 v183, 0x80000000, v41
	v_lshlrev_b32_e32 v181, 20, v181
	s_delay_alu instid0(VALU_DEP_3) | instskip(NEXT) | instid1(VALU_DEP_1)
	v_lshl_add_u32 v182, v182, 23, 0x3b800000
	v_or3_b32 v181, v183, v182, v181
.LBB4_5907:                             ;   in Loop: Header=BB4_5753 Depth=3
	s_or_b32 exec_lo, exec_lo, s31
	s_delay_alu instid0(VALU_DEP_1) | instskip(SKIP_1) | instid1(VALU_DEP_1)
	v_dual_max_f32 v181, v181, v181 :: v_dual_max_f32 v180, v180, v180
	s_mov_b32 s13, 0
	v_max_f32_e32 v180, v180, v181
	s_branch .LBB4_5909
.LBB4_5908:                             ;   in Loop: Header=BB4_5753 Depth=3
	s_mov_b32 s13, -1
                                        ; implicit-def: $vgpr180
.LBB4_5909:                             ;   in Loop: Header=BB4_5753 Depth=3
	s_delay_alu instid0(SALU_CYCLE_1)
	s_and_b32 vcc_lo, exec_lo, s13
	s_cbranch_vccz .LBB4_5919
; %bb.5910:                             ;   in Loop: Header=BB4_5753 Depth=3
	v_and_b32_e32 v181, 0xff, v179
	s_mov_b32 s13, 0
	s_mov_b32 s34, exec_lo
                                        ; implicit-def: $sgpr31
	s_delay_alu instid0(VALU_DEP_1)
	v_cmpx_lt_i16_e64 0x7f, v181
	s_xor_b32 s34, exec_lo, s34
	s_cbranch_execnz .LBB4_6303
; %bb.5911:                             ;   in Loop: Header=BB4_5753 Depth=3
	s_or_saveexec_b32 s34, s34
	v_mov_b32_e32 v180, s31
	s_xor_b32 exec_lo, exec_lo, s34
	s_cbranch_execnz .LBB4_6306
.LBB4_5912:                             ;   in Loop: Header=BB4_5753 Depth=3
	s_or_b32 exec_lo, exec_lo, s34
	s_and_saveexec_b32 s31, s13
	s_cbranch_execz .LBB4_5914
.LBB4_5913:                             ;   in Loop: Header=BB4_5753 Depth=3
	v_lshrrev_b16 v183, 3, v179
	s_delay_alu instid0(VALU_DEP_1) | instskip(NEXT) | instid1(VALU_DEP_1)
	v_and_b32_e32 v183, 15, v183
	v_cmp_eq_u32_e32 vcc_lo, 0, v183
	v_and_b32_e32 v180, 7, v179
	s_delay_alu instid0(VALU_DEP_1) | instskip(NEXT) | instid1(VALU_DEP_1)
	v_clz_i32_u32_e32 v181, v180
	v_min_u32_e32 v181, 32, v181
	s_delay_alu instid0(VALU_DEP_1) | instskip(SKIP_1) | instid1(VALU_DEP_1)
	v_subrev_nc_u32_e32 v182, 28, v181
	v_sub_nc_u32_e32 v181, 29, v181
	v_dual_cndmask_b32 v181, v183, v181 :: v_dual_lshlrev_b32 v182, v182, v179
	v_lshlrev_b32_e32 v179, 24, v179
	s_delay_alu instid0(VALU_DEP_2) | instskip(NEXT) | instid1(VALU_DEP_3)
	v_and_b32_e32 v182, 7, v182
	v_lshl_add_u32 v181, v181, 23, 0x3b800000
	s_delay_alu instid0(VALU_DEP_2) | instskip(NEXT) | instid1(VALU_DEP_1)
	v_dual_cndmask_b32 v180, v180, v182 :: v_dual_and_b32 v179, 0x80000000, v179
	v_lshlrev_b32_e32 v180, 20, v180
	s_delay_alu instid0(VALU_DEP_1)
	v_or3_b32 v180, v179, v181, v180
.LBB4_5914:                             ;   in Loop: Header=BB4_5753 Depth=3
	s_or_b32 exec_lo, exec_lo, s31
	s_waitcnt vmcnt(10) lgkmcnt(10)
	v_and_b32_e32 v181, 0xff, v162
	s_mov_b32 s13, 0
	s_mov_b32 s34, exec_lo
                                        ; implicit-def: $sgpr31
	s_delay_alu instid0(VALU_DEP_1)
	v_cmpx_lt_i16_e64 0x7f, v181
	s_xor_b32 s34, exec_lo, s34
	s_cbranch_execnz .LBB4_6307
; %bb.5915:                             ;   in Loop: Header=BB4_5753 Depth=3
	s_or_saveexec_b32 s34, s34
	v_mov_b32_e32 v179, s31
	s_xor_b32 exec_lo, exec_lo, s34
	s_cbranch_execnz .LBB4_6310
.LBB4_5916:                             ;   in Loop: Header=BB4_5753 Depth=3
	s_or_b32 exec_lo, exec_lo, s34
	s_and_saveexec_b32 s31, s13
	s_cbranch_execz .LBB4_5918
.LBB4_5917:                             ;   in Loop: Header=BB4_5753 Depth=3
	v_and_b32_e32 v179, 7, v162
	v_lshrrev_b16 v183, 3, v162
	s_delay_alu instid0(VALU_DEP_2) | instskip(NEXT) | instid1(VALU_DEP_2)
	v_clz_i32_u32_e32 v181, v179
	v_and_b32_e32 v183, 15, v183
	s_delay_alu instid0(VALU_DEP_2) | instskip(NEXT) | instid1(VALU_DEP_2)
	v_min_u32_e32 v181, 32, v181
	v_cmp_eq_u32_e32 vcc_lo, 0, v183
	s_delay_alu instid0(VALU_DEP_2) | instskip(SKIP_1) | instid1(VALU_DEP_1)
	v_subrev_nc_u32_e32 v182, 28, v181
	v_sub_nc_u32_e32 v181, 29, v181
	v_dual_cndmask_b32 v181, v183, v181 :: v_dual_lshlrev_b32 v182, v182, v162
	v_lshlrev_b32_e32 v162, 24, v162
	s_delay_alu instid0(VALU_DEP_2) | instskip(NEXT) | instid1(VALU_DEP_3)
	v_and_b32_e32 v182, 7, v182
	v_lshl_add_u32 v181, v181, 23, 0x3b800000
	s_delay_alu instid0(VALU_DEP_3) | instskip(NEXT) | instid1(VALU_DEP_3)
	v_and_b32_e32 v162, 0x80000000, v162
	v_cndmask_b32_e32 v179, v179, v182, vcc_lo
	s_delay_alu instid0(VALU_DEP_1) | instskip(NEXT) | instid1(VALU_DEP_1)
	v_lshlrev_b32_e32 v179, 20, v179
	v_or3_b32 v179, v162, v181, v179
.LBB4_5918:                             ;   in Loop: Header=BB4_5753 Depth=3
	s_or_b32 exec_lo, exec_lo, s31
	s_delay_alu instid0(VALU_DEP_1) | instskip(NEXT) | instid1(VALU_DEP_1)
	v_dual_max_f32 v162, v179, v179 :: v_dual_max_f32 v179, v180, v180
	v_min_f32_e32 v180, v179, v162
.LBB4_5919:                             ;   in Loop: Header=BB4_5753 Depth=3
	s_waitcnt vmcnt(10) lgkmcnt(10)
	s_delay_alu instid0(VALU_DEP_1) | instskip(NEXT) | instid1(VALU_DEP_1)
	v_and_b32_e32 v162, 0x7f800000, v180
	v_cmp_ne_u32_e32 vcc_lo, 0x7f800000, v162
	v_mov_b32_e32 v162, 0x80
	s_and_saveexec_b32 s31, vcc_lo
	s_cbranch_execz .LBB4_5927
; %bb.5920:                             ;   in Loop: Header=BB4_5753 Depth=3
	v_mov_b32_e32 v162, 0
	s_mov_b32 s34, exec_lo
	v_cmpx_ne_u32_e32 0, v180
	s_cbranch_execz .LBB4_5926
; %bb.5921:                             ;   in Loop: Header=BB4_5753 Depth=3
	v_bfe_u32 v162, v180, 23, 8
	v_and_b32_e32 v179, 0x7fffff, v180
	s_delay_alu instid0(VALU_DEP_2) | instskip(SKIP_1) | instid1(VALU_DEP_3)
	v_sub_nc_u32_e32 v181, 0x78, v162
	v_cmp_gt_u32_e32 vcc_lo, 0x79, v162
	v_or_b32_e32 v182, 0x800000, v179
	s_delay_alu instid0(VALU_DEP_3) | instskip(SKIP_2) | instid1(VALU_DEP_3)
	v_cndmask_b32_e32 v181, 0, v181, vcc_lo
	v_cmp_eq_u32_e32 vcc_lo, 0, v162
	v_add_nc_u32_e32 v162, 0xffffff89, v162
	v_cndmask_b32_e64 v181, v181, 0x77, vcc_lo
	v_cndmask_b32_e32 v179, v182, v179, vcc_lo
	s_delay_alu instid0(VALU_DEP_3) | instskip(NEXT) | instid1(VALU_DEP_3)
	v_cndmask_b32_e64 v162, v162, 0xffffff8a, vcc_lo
	v_lshl_add_u32 v182, 0x100000, v181, -1
	s_delay_alu instid0(VALU_DEP_3) | instskip(SKIP_1) | instid1(VALU_DEP_4)
	v_lshrrev_b32_e32 v183, v181, v179
	v_lshlrev_b32_e64 v41, v181, 0x80000
	v_add_nc_u32_e32 v181, v181, v162
	s_delay_alu instid0(VALU_DEP_4) | instskip(NEXT) | instid1(VALU_DEP_4)
	v_and_b32_e32 v179, v182, v179
	v_bfe_u32 v40, v183, 20, 1
	s_delay_alu instid0(VALU_DEP_2) | instskip(NEXT) | instid1(VALU_DEP_2)
	v_cmp_eq_u32_e64 s13, v179, v41
	v_add_nc_u32_e32 v182, -1, v40
	s_delay_alu instid0(VALU_DEP_1) | instskip(SKIP_2) | instid1(VALU_DEP_2)
	v_cndmask_b32_e64 v179, 0, v182, s13
	v_lshrrev_b32_e32 v182, 23, v183
	s_mov_b32 s13, exec_lo
	v_add_nc_u32_e32 v179, v179, v183
	s_delay_alu instid0(VALU_DEP_2) | instskip(NEXT) | instid1(VALU_DEP_2)
	v_xor_b32_e32 v182, 1, v182
	v_and_b32_e32 v162, 0xfffff, v179
	s_delay_alu instid0(VALU_DEP_1) | instskip(NEXT) | instid1(VALU_DEP_3)
	v_add_nc_u32_e32 v179, v162, v183
                                        ; implicit-def: $vgpr162
	v_cmpx_ne_u32_e64 v181, v182
	s_xor_b32 s13, exec_lo, s13
; %bb.5922:                             ;   in Loop: Header=BB4_5753 Depth=3
	s_delay_alu instid0(VALU_DEP_2) | instskip(SKIP_2) | instid1(VALU_DEP_2)
	v_cmp_lt_u32_e32 vcc_lo, 0xffffff, v179
	v_sub_nc_u32_e32 v162, v181, v182
	v_cndmask_b32_e64 v181, 0, 1, vcc_lo
	v_add_co_ci_u32_e32 v162, vcc_lo, 0, v162, vcc_lo
	s_delay_alu instid0(VALU_DEP_2)
	v_lshrrev_b32_e32 v179, v181, v179
; %bb.5923:                             ;   in Loop: Header=BB4_5753 Depth=3
	s_and_not1_saveexec_b32 s13, s13
; %bb.5924:                             ;   in Loop: Header=BB4_5753 Depth=3
	s_delay_alu instid0(VALU_DEP_1)
	v_bfe_u32 v162, v179, 23, 1
; %bb.5925:                             ;   in Loop: Header=BB4_5753 Depth=3
	s_or_b32 exec_lo, exec_lo, s13
	v_lshrrev_b32_e32 v179, 20, v179
	s_delay_alu instid0(VALU_DEP_2) | instskip(SKIP_2) | instid1(VALU_DEP_2)
	v_cmp_gt_i32_e32 vcc_lo, 16, v162
	v_lshrrev_b32_e32 v180, 24, v180
	v_min_i32_e32 v181, 15, v162
	v_dual_cndmask_b32 v179, 7, v179 :: v_dual_and_b32 v180, 0x80, v180
	s_delay_alu instid0(VALU_DEP_1) | instskip(SKIP_1) | instid1(VALU_DEP_2)
	v_or_b32_e32 v162, v162, v179
	v_and_b32_e32 v182, 7, v179
	v_cmp_ne_u32_e32 vcc_lo, 0, v162
	v_lshlrev_b32_e32 v181, 3, v181
	s_delay_alu instid0(VALU_DEP_1) | instskip(NEXT) | instid1(VALU_DEP_1)
	v_or3_b32 v179, v181, v180, v182
	v_cndmask_b32_e32 v162, 0, v179, vcc_lo
.LBB4_5926:                             ;   in Loop: Header=BB4_5753 Depth=3
	s_or_b32 exec_lo, exec_lo, s34
.LBB4_5927:                             ;   in Loop: Header=BB4_5753 Depth=3
	s_delay_alu instid0(SALU_CYCLE_1) | instskip(NEXT) | instid1(SALU_CYCLE_1)
	s_or_b32 exec_lo, exec_lo, s31
	s_and_not1_b32 vcc_lo, exec_lo, s17
	s_cbranch_vccnz .LBB4_5937
; %bb.5928:                             ;   in Loop: Header=BB4_5753 Depth=3
	v_and_b32_e32 v180, 0xff, v178
	s_mov_b32 s13, 0
	s_mov_b32 s34, exec_lo
                                        ; implicit-def: $sgpr31
	s_delay_alu instid0(VALU_DEP_1)
	v_cmpx_lt_i16_e64 0x7f, v180
	s_xor_b32 s34, exec_lo, s34
	s_cbranch_execnz .LBB4_6311
; %bb.5929:                             ;   in Loop: Header=BB4_5753 Depth=3
	s_or_saveexec_b32 s34, s34
	v_mov_b32_e32 v179, s31
	s_xor_b32 exec_lo, exec_lo, s34
	s_cbranch_execnz .LBB4_6314
.LBB4_5930:                             ;   in Loop: Header=BB4_5753 Depth=3
	s_or_b32 exec_lo, exec_lo, s34
	s_and_saveexec_b32 s31, s13
	s_cbranch_execz .LBB4_5932
.LBB4_5931:                             ;   in Loop: Header=BB4_5753 Depth=3
	v_lshrrev_b16 v182, 3, v178
	v_lshlrev_b32_e32 v183, 24, v178
	s_delay_alu instid0(VALU_DEP_2) | instskip(NEXT) | instid1(VALU_DEP_1)
	v_and_b32_e32 v182, 15, v182
	v_cmp_eq_u32_e32 vcc_lo, 0, v182
	v_and_b32_e32 v179, 7, v178
	s_delay_alu instid0(VALU_DEP_1) | instskip(NEXT) | instid1(VALU_DEP_1)
	v_clz_i32_u32_e32 v180, v179
	v_min_u32_e32 v180, 32, v180
	s_delay_alu instid0(VALU_DEP_1) | instskip(SKIP_1) | instid1(VALU_DEP_1)
	v_subrev_nc_u32_e32 v181, 28, v180
	v_sub_nc_u32_e32 v180, 29, v180
	v_dual_cndmask_b32 v180, v182, v180 :: v_dual_lshlrev_b32 v181, v181, v178
	s_delay_alu instid0(VALU_DEP_1) | instskip(NEXT) | instid1(VALU_DEP_2)
	v_and_b32_e32 v181, 7, v181
	v_lshl_add_u32 v180, v180, 23, 0x3b800000
	s_delay_alu instid0(VALU_DEP_2) | instskip(SKIP_1) | instid1(VALU_DEP_2)
	v_cndmask_b32_e32 v179, v179, v181, vcc_lo
	v_and_b32_e32 v181, 0x80000000, v183
	v_lshlrev_b32_e32 v179, 20, v179
	s_delay_alu instid0(VALU_DEP_1)
	v_or3_b32 v179, v181, v180, v179
.LBB4_5932:                             ;   in Loop: Header=BB4_5753 Depth=3
	s_or_b32 exec_lo, exec_lo, s31
	s_waitcnt vmcnt(9) lgkmcnt(9)
	v_and_b32_e32 v181, 0xff, v165
	s_mov_b32 s13, 0
	s_mov_b32 s34, exec_lo
                                        ; implicit-def: $sgpr31
	s_delay_alu instid0(VALU_DEP_1)
	v_cmpx_lt_i16_e64 0x7f, v181
	s_xor_b32 s34, exec_lo, s34
	s_cbranch_execnz .LBB4_6315
; %bb.5933:                             ;   in Loop: Header=BB4_5753 Depth=3
	s_or_saveexec_b32 s34, s34
	v_mov_b32_e32 v180, s31
	s_xor_b32 exec_lo, exec_lo, s34
	s_cbranch_execnz .LBB4_6318
.LBB4_5934:                             ;   in Loop: Header=BB4_5753 Depth=3
	s_or_b32 exec_lo, exec_lo, s34
	s_and_saveexec_b32 s31, s13
	s_cbranch_execz .LBB4_5936
.LBB4_5935:                             ;   in Loop: Header=BB4_5753 Depth=3
	v_and_b32_e32 v180, 7, v165
	v_lshrrev_b16 v183, 3, v165
	v_lshlrev_b32_e32 v40, 24, v165
	s_delay_alu instid0(VALU_DEP_3) | instskip(NEXT) | instid1(VALU_DEP_1)
	v_clz_i32_u32_e32 v181, v180
	v_min_u32_e32 v181, 32, v181
	s_delay_alu instid0(VALU_DEP_1) | instskip(SKIP_1) | instid1(VALU_DEP_2)
	v_subrev_nc_u32_e32 v182, 28, v181
	v_sub_nc_u32_e32 v181, 29, v181
	v_lshlrev_b32_e32 v182, v182, v165
	s_delay_alu instid0(VALU_DEP_1) | instskip(SKIP_1) | instid1(VALU_DEP_1)
	v_and_b32_e32 v182, 7, v182
	v_and_b32_e32 v183, 15, v183
	v_cmp_eq_u32_e32 vcc_lo, 0, v183
	s_delay_alu instid0(VALU_DEP_3) | instskip(SKIP_1) | instid1(VALU_DEP_2)
	v_dual_cndmask_b32 v180, v180, v182 :: v_dual_cndmask_b32 v181, v183, v181
	v_and_b32_e32 v182, 0x80000000, v40
	v_lshlrev_b32_e32 v180, 20, v180
	s_delay_alu instid0(VALU_DEP_3) | instskip(NEXT) | instid1(VALU_DEP_1)
	v_lshl_add_u32 v181, v181, 23, 0x3b800000
	v_or3_b32 v180, v182, v181, v180
.LBB4_5936:                             ;   in Loop: Header=BB4_5753 Depth=3
	s_or_b32 exec_lo, exec_lo, s31
	s_delay_alu instid0(VALU_DEP_1) | instskip(SKIP_1) | instid1(VALU_DEP_1)
	v_dual_max_f32 v180, v180, v180 :: v_dual_max_f32 v179, v179, v179
	s_mov_b32 s13, 0
	v_max_f32_e32 v179, v179, v180
	s_branch .LBB4_5938
.LBB4_5937:                             ;   in Loop: Header=BB4_5753 Depth=3
	s_mov_b32 s13, -1
                                        ; implicit-def: $vgpr179
.LBB4_5938:                             ;   in Loop: Header=BB4_5753 Depth=3
	s_delay_alu instid0(SALU_CYCLE_1)
	s_and_b32 vcc_lo, exec_lo, s13
	s_cbranch_vccz .LBB4_5948
; %bb.5939:                             ;   in Loop: Header=BB4_5753 Depth=3
	v_and_b32_e32 v180, 0xff, v178
	s_mov_b32 s13, 0
	s_mov_b32 s34, exec_lo
                                        ; implicit-def: $sgpr31
	s_delay_alu instid0(VALU_DEP_1)
	v_cmpx_lt_i16_e64 0x7f, v180
	s_xor_b32 s34, exec_lo, s34
	s_cbranch_execnz .LBB4_6319
; %bb.5940:                             ;   in Loop: Header=BB4_5753 Depth=3
	s_or_saveexec_b32 s34, s34
	v_mov_b32_e32 v179, s31
	s_xor_b32 exec_lo, exec_lo, s34
	s_cbranch_execnz .LBB4_6322
.LBB4_5941:                             ;   in Loop: Header=BB4_5753 Depth=3
	s_or_b32 exec_lo, exec_lo, s34
	s_and_saveexec_b32 s31, s13
	s_cbranch_execz .LBB4_5943
.LBB4_5942:                             ;   in Loop: Header=BB4_5753 Depth=3
	v_lshrrev_b16 v182, 3, v178
	s_delay_alu instid0(VALU_DEP_1) | instskip(NEXT) | instid1(VALU_DEP_1)
	v_and_b32_e32 v182, 15, v182
	v_cmp_eq_u32_e32 vcc_lo, 0, v182
	v_and_b32_e32 v179, 7, v178
	s_delay_alu instid0(VALU_DEP_1) | instskip(NEXT) | instid1(VALU_DEP_1)
	v_clz_i32_u32_e32 v180, v179
	v_min_u32_e32 v180, 32, v180
	s_delay_alu instid0(VALU_DEP_1) | instskip(SKIP_1) | instid1(VALU_DEP_1)
	v_subrev_nc_u32_e32 v181, 28, v180
	v_sub_nc_u32_e32 v180, 29, v180
	v_dual_cndmask_b32 v180, v182, v180 :: v_dual_lshlrev_b32 v181, v181, v178
	v_lshlrev_b32_e32 v178, 24, v178
	s_delay_alu instid0(VALU_DEP_2) | instskip(NEXT) | instid1(VALU_DEP_3)
	v_and_b32_e32 v181, 7, v181
	v_lshl_add_u32 v180, v180, 23, 0x3b800000
	s_delay_alu instid0(VALU_DEP_2) | instskip(NEXT) | instid1(VALU_DEP_1)
	v_dual_cndmask_b32 v179, v179, v181 :: v_dual_and_b32 v178, 0x80000000, v178
	v_lshlrev_b32_e32 v179, 20, v179
	s_delay_alu instid0(VALU_DEP_1)
	v_or3_b32 v179, v178, v180, v179
.LBB4_5943:                             ;   in Loop: Header=BB4_5753 Depth=3
	s_or_b32 exec_lo, exec_lo, s31
	s_waitcnt vmcnt(9) lgkmcnt(9)
	v_and_b32_e32 v180, 0xff, v165
	s_mov_b32 s13, 0
	s_mov_b32 s34, exec_lo
                                        ; implicit-def: $sgpr31
	s_delay_alu instid0(VALU_DEP_1)
	v_cmpx_lt_i16_e64 0x7f, v180
	s_xor_b32 s34, exec_lo, s34
	s_cbranch_execnz .LBB4_6323
; %bb.5944:                             ;   in Loop: Header=BB4_5753 Depth=3
	s_or_saveexec_b32 s34, s34
	v_mov_b32_e32 v178, s31
	s_xor_b32 exec_lo, exec_lo, s34
	s_cbranch_execnz .LBB4_6326
.LBB4_5945:                             ;   in Loop: Header=BB4_5753 Depth=3
	s_or_b32 exec_lo, exec_lo, s34
	s_and_saveexec_b32 s31, s13
	s_cbranch_execz .LBB4_5947
.LBB4_5946:                             ;   in Loop: Header=BB4_5753 Depth=3
	v_and_b32_e32 v178, 7, v165
	v_lshrrev_b16 v182, 3, v165
	s_delay_alu instid0(VALU_DEP_2) | instskip(NEXT) | instid1(VALU_DEP_2)
	v_clz_i32_u32_e32 v180, v178
	v_and_b32_e32 v182, 15, v182
	s_delay_alu instid0(VALU_DEP_2) | instskip(NEXT) | instid1(VALU_DEP_2)
	v_min_u32_e32 v180, 32, v180
	v_cmp_eq_u32_e32 vcc_lo, 0, v182
	s_delay_alu instid0(VALU_DEP_2) | instskip(SKIP_1) | instid1(VALU_DEP_1)
	v_subrev_nc_u32_e32 v181, 28, v180
	v_sub_nc_u32_e32 v180, 29, v180
	v_dual_cndmask_b32 v180, v182, v180 :: v_dual_lshlrev_b32 v181, v181, v165
	v_lshlrev_b32_e32 v165, 24, v165
	s_delay_alu instid0(VALU_DEP_2) | instskip(NEXT) | instid1(VALU_DEP_3)
	v_and_b32_e32 v181, 7, v181
	v_lshl_add_u32 v180, v180, 23, 0x3b800000
	s_delay_alu instid0(VALU_DEP_3) | instskip(NEXT) | instid1(VALU_DEP_3)
	v_and_b32_e32 v165, 0x80000000, v165
	v_cndmask_b32_e32 v178, v178, v181, vcc_lo
	s_delay_alu instid0(VALU_DEP_1) | instskip(NEXT) | instid1(VALU_DEP_1)
	v_lshlrev_b32_e32 v178, 20, v178
	v_or3_b32 v178, v165, v180, v178
.LBB4_5947:                             ;   in Loop: Header=BB4_5753 Depth=3
	s_or_b32 exec_lo, exec_lo, s31
	s_delay_alu instid0(VALU_DEP_1) | instskip(NEXT) | instid1(VALU_DEP_1)
	v_dual_max_f32 v165, v178, v178 :: v_dual_max_f32 v178, v179, v179
	v_min_f32_e32 v179, v178, v165
.LBB4_5948:                             ;   in Loop: Header=BB4_5753 Depth=3
	s_waitcnt vmcnt(9) lgkmcnt(9)
	s_delay_alu instid0(VALU_DEP_1) | instskip(NEXT) | instid1(VALU_DEP_1)
	v_and_b32_e32 v165, 0x7f800000, v179
	v_cmp_ne_u32_e32 vcc_lo, 0x7f800000, v165
	v_mov_b32_e32 v165, 0x80
	s_and_saveexec_b32 s31, vcc_lo
	s_cbranch_execz .LBB4_5956
; %bb.5949:                             ;   in Loop: Header=BB4_5753 Depth=3
	v_mov_b32_e32 v165, 0
	s_mov_b32 s34, exec_lo
	v_cmpx_ne_u32_e32 0, v179
	s_cbranch_execz .LBB4_5955
; %bb.5950:                             ;   in Loop: Header=BB4_5753 Depth=3
	v_bfe_u32 v165, v179, 23, 8
	v_and_b32_e32 v178, 0x7fffff, v179
	s_delay_alu instid0(VALU_DEP_2) | instskip(SKIP_1) | instid1(VALU_DEP_3)
	v_sub_nc_u32_e32 v180, 0x78, v165
	v_cmp_gt_u32_e32 vcc_lo, 0x79, v165
	v_or_b32_e32 v181, 0x800000, v178
	s_delay_alu instid0(VALU_DEP_3) | instskip(SKIP_2) | instid1(VALU_DEP_3)
	v_cndmask_b32_e32 v180, 0, v180, vcc_lo
	v_cmp_eq_u32_e32 vcc_lo, 0, v165
	v_add_nc_u32_e32 v165, 0xffffff89, v165
	v_cndmask_b32_e64 v180, v180, 0x77, vcc_lo
	v_cndmask_b32_e32 v178, v181, v178, vcc_lo
	s_delay_alu instid0(VALU_DEP_3) | instskip(NEXT) | instid1(VALU_DEP_3)
	v_cndmask_b32_e64 v165, v165, 0xffffff8a, vcc_lo
	v_lshl_add_u32 v181, 0x100000, v180, -1
	s_delay_alu instid0(VALU_DEP_3) | instskip(SKIP_1) | instid1(VALU_DEP_4)
	v_lshrrev_b32_e32 v182, v180, v178
	v_lshlrev_b32_e64 v40, v180, 0x80000
	v_add_nc_u32_e32 v180, v180, v165
	s_delay_alu instid0(VALU_DEP_4) | instskip(NEXT) | instid1(VALU_DEP_4)
	v_and_b32_e32 v178, v181, v178
	v_bfe_u32 v183, v182, 20, 1
	s_delay_alu instid0(VALU_DEP_2) | instskip(NEXT) | instid1(VALU_DEP_2)
	v_cmp_eq_u32_e64 s13, v178, v40
	v_add_nc_u32_e32 v181, -1, v183
	s_delay_alu instid0(VALU_DEP_1) | instskip(SKIP_2) | instid1(VALU_DEP_2)
	v_cndmask_b32_e64 v178, 0, v181, s13
	v_lshrrev_b32_e32 v181, 23, v182
	s_mov_b32 s13, exec_lo
	v_add_nc_u32_e32 v178, v178, v182
	s_delay_alu instid0(VALU_DEP_2) | instskip(NEXT) | instid1(VALU_DEP_2)
	v_xor_b32_e32 v181, 1, v181
	v_and_b32_e32 v165, 0xfffff, v178
	s_delay_alu instid0(VALU_DEP_1) | instskip(NEXT) | instid1(VALU_DEP_3)
	v_add_nc_u32_e32 v178, v165, v182
                                        ; implicit-def: $vgpr165
	v_cmpx_ne_u32_e64 v180, v181
	s_xor_b32 s13, exec_lo, s13
; %bb.5951:                             ;   in Loop: Header=BB4_5753 Depth=3
	s_delay_alu instid0(VALU_DEP_2) | instskip(SKIP_2) | instid1(VALU_DEP_2)
	v_cmp_lt_u32_e32 vcc_lo, 0xffffff, v178
	v_sub_nc_u32_e32 v165, v180, v181
	v_cndmask_b32_e64 v180, 0, 1, vcc_lo
	v_add_co_ci_u32_e32 v165, vcc_lo, 0, v165, vcc_lo
	s_delay_alu instid0(VALU_DEP_2)
	v_lshrrev_b32_e32 v178, v180, v178
; %bb.5952:                             ;   in Loop: Header=BB4_5753 Depth=3
	s_and_not1_saveexec_b32 s13, s13
; %bb.5953:                             ;   in Loop: Header=BB4_5753 Depth=3
	s_delay_alu instid0(VALU_DEP_1)
	v_bfe_u32 v165, v178, 23, 1
; %bb.5954:                             ;   in Loop: Header=BB4_5753 Depth=3
	s_or_b32 exec_lo, exec_lo, s13
	v_lshrrev_b32_e32 v178, 20, v178
	s_delay_alu instid0(VALU_DEP_2) | instskip(SKIP_2) | instid1(VALU_DEP_2)
	v_cmp_gt_i32_e32 vcc_lo, 16, v165
	v_lshrrev_b32_e32 v179, 24, v179
	v_min_i32_e32 v180, 15, v165
	v_dual_cndmask_b32 v178, 7, v178 :: v_dual_and_b32 v179, 0x80, v179
	s_delay_alu instid0(VALU_DEP_1) | instskip(SKIP_1) | instid1(VALU_DEP_2)
	v_or_b32_e32 v165, v165, v178
	v_and_b32_e32 v181, 7, v178
	v_cmp_ne_u32_e32 vcc_lo, 0, v165
	v_lshlrev_b32_e32 v180, 3, v180
	s_delay_alu instid0(VALU_DEP_1) | instskip(NEXT) | instid1(VALU_DEP_1)
	v_or3_b32 v178, v180, v179, v181
	v_cndmask_b32_e32 v165, 0, v178, vcc_lo
.LBB4_5955:                             ;   in Loop: Header=BB4_5753 Depth=3
	s_or_b32 exec_lo, exec_lo, s34
.LBB4_5956:                             ;   in Loop: Header=BB4_5753 Depth=3
	s_delay_alu instid0(SALU_CYCLE_1) | instskip(NEXT) | instid1(SALU_CYCLE_1)
	s_or_b32 exec_lo, exec_lo, s31
	s_and_not1_b32 vcc_lo, exec_lo, s17
	s_cbranch_vccnz .LBB4_5966
; %bb.5957:                             ;   in Loop: Header=BB4_5753 Depth=3
	v_and_b32_e32 v179, 0xff, v177
	s_mov_b32 s13, 0
	s_mov_b32 s34, exec_lo
                                        ; implicit-def: $sgpr31
	s_delay_alu instid0(VALU_DEP_1)
	v_cmpx_lt_i16_e64 0x7f, v179
	s_xor_b32 s34, exec_lo, s34
	s_cbranch_execnz .LBB4_6327
; %bb.5958:                             ;   in Loop: Header=BB4_5753 Depth=3
	s_or_saveexec_b32 s34, s34
	v_mov_b32_e32 v178, s31
	s_xor_b32 exec_lo, exec_lo, s34
	s_cbranch_execnz .LBB4_6330
.LBB4_5959:                             ;   in Loop: Header=BB4_5753 Depth=3
	s_or_b32 exec_lo, exec_lo, s34
	s_and_saveexec_b32 s31, s13
	s_cbranch_execz .LBB4_5961
.LBB4_5960:                             ;   in Loop: Header=BB4_5753 Depth=3
	v_lshrrev_b16 v181, 3, v177
	v_lshlrev_b32_e32 v182, 24, v177
	s_delay_alu instid0(VALU_DEP_2) | instskip(NEXT) | instid1(VALU_DEP_1)
	v_and_b32_e32 v181, 15, v181
	v_cmp_eq_u32_e32 vcc_lo, 0, v181
	v_and_b32_e32 v178, 7, v177
	s_delay_alu instid0(VALU_DEP_1) | instskip(NEXT) | instid1(VALU_DEP_1)
	v_clz_i32_u32_e32 v179, v178
	v_min_u32_e32 v179, 32, v179
	s_delay_alu instid0(VALU_DEP_1) | instskip(SKIP_1) | instid1(VALU_DEP_1)
	v_subrev_nc_u32_e32 v180, 28, v179
	v_sub_nc_u32_e32 v179, 29, v179
	v_dual_cndmask_b32 v179, v181, v179 :: v_dual_lshlrev_b32 v180, v180, v177
	s_delay_alu instid0(VALU_DEP_1) | instskip(NEXT) | instid1(VALU_DEP_2)
	v_and_b32_e32 v180, 7, v180
	v_lshl_add_u32 v179, v179, 23, 0x3b800000
	s_delay_alu instid0(VALU_DEP_2) | instskip(SKIP_1) | instid1(VALU_DEP_2)
	v_cndmask_b32_e32 v178, v178, v180, vcc_lo
	v_and_b32_e32 v180, 0x80000000, v182
	v_lshlrev_b32_e32 v178, 20, v178
	s_delay_alu instid0(VALU_DEP_1)
	v_or3_b32 v178, v180, v179, v178
.LBB4_5961:                             ;   in Loop: Header=BB4_5753 Depth=3
	s_or_b32 exec_lo, exec_lo, s31
	s_waitcnt vmcnt(8) lgkmcnt(8)
	v_and_b32_e32 v180, 0xff, v176
	s_mov_b32 s13, 0
	s_mov_b32 s34, exec_lo
                                        ; implicit-def: $sgpr31
	s_delay_alu instid0(VALU_DEP_1)
	v_cmpx_lt_i16_e64 0x7f, v180
	s_xor_b32 s34, exec_lo, s34
	s_cbranch_execnz .LBB4_6331
; %bb.5962:                             ;   in Loop: Header=BB4_5753 Depth=3
	s_or_saveexec_b32 s34, s34
	v_mov_b32_e32 v179, s31
	s_xor_b32 exec_lo, exec_lo, s34
	s_cbranch_execnz .LBB4_6334
.LBB4_5963:                             ;   in Loop: Header=BB4_5753 Depth=3
	s_or_b32 exec_lo, exec_lo, s34
	s_and_saveexec_b32 s31, s13
	s_cbranch_execz .LBB4_5965
.LBB4_5964:                             ;   in Loop: Header=BB4_5753 Depth=3
	v_and_b32_e32 v179, 7, v176
	v_lshrrev_b16 v182, 3, v176
	v_lshlrev_b32_e32 v183, 24, v176
	s_delay_alu instid0(VALU_DEP_3) | instskip(NEXT) | instid1(VALU_DEP_1)
	v_clz_i32_u32_e32 v180, v179
	v_min_u32_e32 v180, 32, v180
	s_delay_alu instid0(VALU_DEP_1) | instskip(SKIP_1) | instid1(VALU_DEP_2)
	v_subrev_nc_u32_e32 v181, 28, v180
	v_sub_nc_u32_e32 v180, 29, v180
	v_lshlrev_b32_e32 v181, v181, v176
	s_delay_alu instid0(VALU_DEP_1) | instskip(SKIP_1) | instid1(VALU_DEP_1)
	v_and_b32_e32 v181, 7, v181
	v_and_b32_e32 v182, 15, v182
	v_cmp_eq_u32_e32 vcc_lo, 0, v182
	s_delay_alu instid0(VALU_DEP_3) | instskip(SKIP_1) | instid1(VALU_DEP_2)
	v_dual_cndmask_b32 v179, v179, v181 :: v_dual_cndmask_b32 v180, v182, v180
	v_and_b32_e32 v181, 0x80000000, v183
	v_lshlrev_b32_e32 v179, 20, v179
	s_delay_alu instid0(VALU_DEP_3) | instskip(NEXT) | instid1(VALU_DEP_1)
	v_lshl_add_u32 v180, v180, 23, 0x3b800000
	v_or3_b32 v179, v181, v180, v179
.LBB4_5965:                             ;   in Loop: Header=BB4_5753 Depth=3
	s_or_b32 exec_lo, exec_lo, s31
	s_delay_alu instid0(VALU_DEP_1) | instskip(SKIP_1) | instid1(VALU_DEP_1)
	v_dual_max_f32 v179, v179, v179 :: v_dual_max_f32 v178, v178, v178
	s_mov_b32 s13, 0
	v_max_f32_e32 v178, v178, v179
	s_branch .LBB4_5967
.LBB4_5966:                             ;   in Loop: Header=BB4_5753 Depth=3
	s_mov_b32 s13, -1
                                        ; implicit-def: $vgpr178
.LBB4_5967:                             ;   in Loop: Header=BB4_5753 Depth=3
	s_delay_alu instid0(SALU_CYCLE_1)
	s_and_b32 vcc_lo, exec_lo, s13
	s_cbranch_vccz .LBB4_5977
; %bb.5968:                             ;   in Loop: Header=BB4_5753 Depth=3
	v_and_b32_e32 v179, 0xff, v177
	s_mov_b32 s13, 0
	s_mov_b32 s34, exec_lo
                                        ; implicit-def: $sgpr31
	s_delay_alu instid0(VALU_DEP_1)
	v_cmpx_lt_i16_e64 0x7f, v179
	s_xor_b32 s34, exec_lo, s34
	s_cbranch_execnz .LBB4_6335
; %bb.5969:                             ;   in Loop: Header=BB4_5753 Depth=3
	s_or_saveexec_b32 s34, s34
	v_mov_b32_e32 v178, s31
	s_xor_b32 exec_lo, exec_lo, s34
	s_cbranch_execnz .LBB4_6338
.LBB4_5970:                             ;   in Loop: Header=BB4_5753 Depth=3
	s_or_b32 exec_lo, exec_lo, s34
	s_and_saveexec_b32 s31, s13
	s_cbranch_execz .LBB4_5972
.LBB4_5971:                             ;   in Loop: Header=BB4_5753 Depth=3
	v_lshrrev_b16 v181, 3, v177
	s_delay_alu instid0(VALU_DEP_1) | instskip(NEXT) | instid1(VALU_DEP_1)
	v_and_b32_e32 v181, 15, v181
	v_cmp_eq_u32_e32 vcc_lo, 0, v181
	v_and_b32_e32 v178, 7, v177
	s_delay_alu instid0(VALU_DEP_1) | instskip(NEXT) | instid1(VALU_DEP_1)
	v_clz_i32_u32_e32 v179, v178
	v_min_u32_e32 v179, 32, v179
	s_delay_alu instid0(VALU_DEP_1) | instskip(SKIP_1) | instid1(VALU_DEP_1)
	v_subrev_nc_u32_e32 v180, 28, v179
	v_sub_nc_u32_e32 v179, 29, v179
	v_dual_cndmask_b32 v179, v181, v179 :: v_dual_lshlrev_b32 v180, v180, v177
	v_lshlrev_b32_e32 v177, 24, v177
	s_delay_alu instid0(VALU_DEP_2) | instskip(NEXT) | instid1(VALU_DEP_3)
	v_and_b32_e32 v180, 7, v180
	v_lshl_add_u32 v179, v179, 23, 0x3b800000
	s_delay_alu instid0(VALU_DEP_2) | instskip(NEXT) | instid1(VALU_DEP_1)
	v_dual_cndmask_b32 v178, v178, v180 :: v_dual_and_b32 v177, 0x80000000, v177
	v_lshlrev_b32_e32 v178, 20, v178
	s_delay_alu instid0(VALU_DEP_1)
	v_or3_b32 v178, v177, v179, v178
.LBB4_5972:                             ;   in Loop: Header=BB4_5753 Depth=3
	s_or_b32 exec_lo, exec_lo, s31
	s_waitcnt vmcnt(8) lgkmcnt(8)
	v_and_b32_e32 v179, 0xff, v176
	s_mov_b32 s13, 0
	s_mov_b32 s34, exec_lo
                                        ; implicit-def: $sgpr31
	s_delay_alu instid0(VALU_DEP_1)
	v_cmpx_lt_i16_e64 0x7f, v179
	s_xor_b32 s34, exec_lo, s34
	s_cbranch_execnz .LBB4_6339
; %bb.5973:                             ;   in Loop: Header=BB4_5753 Depth=3
	s_or_saveexec_b32 s34, s34
	v_mov_b32_e32 v177, s31
	s_xor_b32 exec_lo, exec_lo, s34
	s_cbranch_execnz .LBB4_6342
.LBB4_5974:                             ;   in Loop: Header=BB4_5753 Depth=3
	s_or_b32 exec_lo, exec_lo, s34
	s_and_saveexec_b32 s31, s13
	s_cbranch_execz .LBB4_5976
.LBB4_5975:                             ;   in Loop: Header=BB4_5753 Depth=3
	v_and_b32_e32 v177, 7, v176
	v_lshrrev_b16 v181, 3, v176
	s_delay_alu instid0(VALU_DEP_2) | instskip(NEXT) | instid1(VALU_DEP_2)
	v_clz_i32_u32_e32 v179, v177
	v_and_b32_e32 v181, 15, v181
	s_delay_alu instid0(VALU_DEP_2) | instskip(NEXT) | instid1(VALU_DEP_2)
	v_min_u32_e32 v179, 32, v179
	v_cmp_eq_u32_e32 vcc_lo, 0, v181
	s_delay_alu instid0(VALU_DEP_2) | instskip(SKIP_1) | instid1(VALU_DEP_1)
	v_subrev_nc_u32_e32 v180, 28, v179
	v_sub_nc_u32_e32 v179, 29, v179
	v_dual_cndmask_b32 v179, v181, v179 :: v_dual_lshlrev_b32 v180, v180, v176
	v_lshlrev_b32_e32 v176, 24, v176
	s_delay_alu instid0(VALU_DEP_2) | instskip(NEXT) | instid1(VALU_DEP_3)
	v_and_b32_e32 v180, 7, v180
	v_lshl_add_u32 v179, v179, 23, 0x3b800000
	s_delay_alu instid0(VALU_DEP_3) | instskip(NEXT) | instid1(VALU_DEP_3)
	v_and_b32_e32 v176, 0x80000000, v176
	v_cndmask_b32_e32 v177, v177, v180, vcc_lo
	s_delay_alu instid0(VALU_DEP_1) | instskip(NEXT) | instid1(VALU_DEP_1)
	v_lshlrev_b32_e32 v177, 20, v177
	v_or3_b32 v177, v176, v179, v177
.LBB4_5976:                             ;   in Loop: Header=BB4_5753 Depth=3
	s_or_b32 exec_lo, exec_lo, s31
	s_delay_alu instid0(VALU_DEP_1) | instskip(NEXT) | instid1(VALU_DEP_1)
	v_dual_max_f32 v176, v177, v177 :: v_dual_max_f32 v177, v178, v178
	v_min_f32_e32 v178, v177, v176
.LBB4_5977:                             ;   in Loop: Header=BB4_5753 Depth=3
	s_waitcnt vmcnt(8) lgkmcnt(8)
	s_delay_alu instid0(VALU_DEP_1) | instskip(NEXT) | instid1(VALU_DEP_1)
	v_and_b32_e32 v176, 0x7f800000, v178
	v_cmp_ne_u32_e32 vcc_lo, 0x7f800000, v176
	v_mov_b32_e32 v176, 0x80
	s_and_saveexec_b32 s31, vcc_lo
	s_cbranch_execz .LBB4_5985
; %bb.5978:                             ;   in Loop: Header=BB4_5753 Depth=3
	v_mov_b32_e32 v176, 0
	s_mov_b32 s34, exec_lo
	v_cmpx_ne_u32_e32 0, v178
	s_cbranch_execz .LBB4_5984
; %bb.5979:                             ;   in Loop: Header=BB4_5753 Depth=3
	v_bfe_u32 v176, v178, 23, 8
	v_and_b32_e32 v177, 0x7fffff, v178
	s_delay_alu instid0(VALU_DEP_2) | instskip(SKIP_1) | instid1(VALU_DEP_3)
	v_sub_nc_u32_e32 v179, 0x78, v176
	v_cmp_gt_u32_e32 vcc_lo, 0x79, v176
	v_or_b32_e32 v180, 0x800000, v177
	s_delay_alu instid0(VALU_DEP_3) | instskip(SKIP_2) | instid1(VALU_DEP_3)
	v_cndmask_b32_e32 v179, 0, v179, vcc_lo
	v_cmp_eq_u32_e32 vcc_lo, 0, v176
	v_add_nc_u32_e32 v176, 0xffffff89, v176
	v_cndmask_b32_e64 v179, v179, 0x77, vcc_lo
	v_cndmask_b32_e32 v177, v180, v177, vcc_lo
	s_delay_alu instid0(VALU_DEP_3) | instskip(NEXT) | instid1(VALU_DEP_3)
	v_cndmask_b32_e64 v176, v176, 0xffffff8a, vcc_lo
	v_lshl_add_u32 v180, 0x100000, v179, -1
	s_delay_alu instid0(VALU_DEP_3) | instskip(SKIP_1) | instid1(VALU_DEP_4)
	v_lshrrev_b32_e32 v181, v179, v177
	v_lshlrev_b32_e64 v183, v179, 0x80000
	v_add_nc_u32_e32 v179, v179, v176
	s_delay_alu instid0(VALU_DEP_4) | instskip(NEXT) | instid1(VALU_DEP_4)
	v_and_b32_e32 v177, v180, v177
	v_bfe_u32 v182, v181, 20, 1
	s_delay_alu instid0(VALU_DEP_2) | instskip(NEXT) | instid1(VALU_DEP_2)
	v_cmp_eq_u32_e64 s13, v177, v183
	v_add_nc_u32_e32 v180, -1, v182
	s_delay_alu instid0(VALU_DEP_1) | instskip(SKIP_2) | instid1(VALU_DEP_2)
	v_cndmask_b32_e64 v177, 0, v180, s13
	v_lshrrev_b32_e32 v180, 23, v181
	s_mov_b32 s13, exec_lo
	v_add_nc_u32_e32 v177, v177, v181
	s_delay_alu instid0(VALU_DEP_2) | instskip(NEXT) | instid1(VALU_DEP_2)
	v_xor_b32_e32 v180, 1, v180
	v_and_b32_e32 v176, 0xfffff, v177
	s_delay_alu instid0(VALU_DEP_1) | instskip(NEXT) | instid1(VALU_DEP_3)
	v_add_nc_u32_e32 v177, v176, v181
                                        ; implicit-def: $vgpr176
	v_cmpx_ne_u32_e64 v179, v180
	s_xor_b32 s13, exec_lo, s13
; %bb.5980:                             ;   in Loop: Header=BB4_5753 Depth=3
	s_delay_alu instid0(VALU_DEP_2) | instskip(SKIP_2) | instid1(VALU_DEP_2)
	v_cmp_lt_u32_e32 vcc_lo, 0xffffff, v177
	v_sub_nc_u32_e32 v176, v179, v180
	v_cndmask_b32_e64 v179, 0, 1, vcc_lo
	v_add_co_ci_u32_e32 v176, vcc_lo, 0, v176, vcc_lo
	s_delay_alu instid0(VALU_DEP_2)
	v_lshrrev_b32_e32 v177, v179, v177
; %bb.5981:                             ;   in Loop: Header=BB4_5753 Depth=3
	s_and_not1_saveexec_b32 s13, s13
; %bb.5982:                             ;   in Loop: Header=BB4_5753 Depth=3
	s_delay_alu instid0(VALU_DEP_1)
	v_bfe_u32 v176, v177, 23, 1
; %bb.5983:                             ;   in Loop: Header=BB4_5753 Depth=3
	s_or_b32 exec_lo, exec_lo, s13
	v_lshrrev_b32_e32 v177, 20, v177
	s_delay_alu instid0(VALU_DEP_2) | instskip(SKIP_2) | instid1(VALU_DEP_2)
	v_cmp_gt_i32_e32 vcc_lo, 16, v176
	v_lshrrev_b32_e32 v178, 24, v178
	v_min_i32_e32 v179, 15, v176
	v_dual_cndmask_b32 v177, 7, v177 :: v_dual_and_b32 v178, 0x80, v178
	s_delay_alu instid0(VALU_DEP_1) | instskip(SKIP_1) | instid1(VALU_DEP_2)
	v_or_b32_e32 v176, v176, v177
	v_and_b32_e32 v180, 7, v177
	v_cmp_ne_u32_e32 vcc_lo, 0, v176
	v_lshlrev_b32_e32 v179, 3, v179
	s_delay_alu instid0(VALU_DEP_1) | instskip(NEXT) | instid1(VALU_DEP_1)
	v_or3_b32 v177, v179, v178, v180
	v_cndmask_b32_e32 v176, 0, v177, vcc_lo
.LBB4_5984:                             ;   in Loop: Header=BB4_5753 Depth=3
	s_or_b32 exec_lo, exec_lo, s34
.LBB4_5985:                             ;   in Loop: Header=BB4_5753 Depth=3
	s_delay_alu instid0(SALU_CYCLE_1) | instskip(NEXT) | instid1(SALU_CYCLE_1)
	s_or_b32 exec_lo, exec_lo, s31
	s_and_not1_b32 vcc_lo, exec_lo, s17
	s_cbranch_vccnz .LBB4_5995
; %bb.5986:                             ;   in Loop: Header=BB4_5753 Depth=3
	v_and_b32_e32 v178, 0xff, v167
	s_mov_b32 s13, 0
	s_mov_b32 s34, exec_lo
                                        ; implicit-def: $sgpr31
	s_delay_alu instid0(VALU_DEP_1)
	v_cmpx_lt_i16_e64 0x7f, v178
	s_xor_b32 s34, exec_lo, s34
	s_cbranch_execnz .LBB4_6343
; %bb.5987:                             ;   in Loop: Header=BB4_5753 Depth=3
	s_or_saveexec_b32 s34, s34
	v_mov_b32_e32 v177, s31
	s_xor_b32 exec_lo, exec_lo, s34
	s_cbranch_execnz .LBB4_6346
.LBB4_5988:                             ;   in Loop: Header=BB4_5753 Depth=3
	s_or_b32 exec_lo, exec_lo, s34
	s_and_saveexec_b32 s31, s13
	s_cbranch_execz .LBB4_5990
.LBB4_5989:                             ;   in Loop: Header=BB4_5753 Depth=3
	v_lshrrev_b16 v180, 3, v167
	v_lshlrev_b32_e32 v181, 24, v167
	s_delay_alu instid0(VALU_DEP_2) | instskip(NEXT) | instid1(VALU_DEP_1)
	v_and_b32_e32 v180, 15, v180
	v_cmp_eq_u32_e32 vcc_lo, 0, v180
	v_and_b32_e32 v177, 7, v167
	s_delay_alu instid0(VALU_DEP_1) | instskip(NEXT) | instid1(VALU_DEP_1)
	v_clz_i32_u32_e32 v178, v177
	v_min_u32_e32 v178, 32, v178
	s_delay_alu instid0(VALU_DEP_1) | instskip(SKIP_1) | instid1(VALU_DEP_1)
	v_subrev_nc_u32_e32 v179, 28, v178
	v_sub_nc_u32_e32 v178, 29, v178
	v_dual_cndmask_b32 v178, v180, v178 :: v_dual_lshlrev_b32 v179, v179, v167
	s_delay_alu instid0(VALU_DEP_1) | instskip(NEXT) | instid1(VALU_DEP_2)
	v_and_b32_e32 v179, 7, v179
	v_lshl_add_u32 v178, v178, 23, 0x3b800000
	s_delay_alu instid0(VALU_DEP_2) | instskip(SKIP_1) | instid1(VALU_DEP_2)
	v_cndmask_b32_e32 v177, v177, v179, vcc_lo
	v_and_b32_e32 v179, 0x80000000, v181
	v_lshlrev_b32_e32 v177, 20, v177
	s_delay_alu instid0(VALU_DEP_1)
	v_or3_b32 v177, v179, v178, v177
.LBB4_5990:                             ;   in Loop: Header=BB4_5753 Depth=3
	s_or_b32 exec_lo, exec_lo, s31
	s_waitcnt vmcnt(7) lgkmcnt(7)
	v_and_b32_e32 v179, 0xff, v166
	s_mov_b32 s13, 0
	s_mov_b32 s34, exec_lo
                                        ; implicit-def: $sgpr31
	s_delay_alu instid0(VALU_DEP_1)
	v_cmpx_lt_i16_e64 0x7f, v179
	s_xor_b32 s34, exec_lo, s34
	s_cbranch_execnz .LBB4_6347
; %bb.5991:                             ;   in Loop: Header=BB4_5753 Depth=3
	s_or_saveexec_b32 s34, s34
	v_mov_b32_e32 v178, s31
	s_xor_b32 exec_lo, exec_lo, s34
	s_cbranch_execnz .LBB4_6350
.LBB4_5992:                             ;   in Loop: Header=BB4_5753 Depth=3
	s_or_b32 exec_lo, exec_lo, s34
	s_and_saveexec_b32 s31, s13
	s_cbranch_execz .LBB4_5994
.LBB4_5993:                             ;   in Loop: Header=BB4_5753 Depth=3
	v_lshrrev_b16 v181, 3, v166
	v_lshlrev_b32_e32 v182, 24, v166
	s_delay_alu instid0(VALU_DEP_2) | instskip(NEXT) | instid1(VALU_DEP_1)
	v_and_b32_e32 v181, 15, v181
	v_cmp_eq_u32_e32 vcc_lo, 0, v181
	v_and_b32_e32 v178, 7, v166
	s_delay_alu instid0(VALU_DEP_1) | instskip(NEXT) | instid1(VALU_DEP_1)
	v_clz_i32_u32_e32 v179, v178
	v_min_u32_e32 v179, 32, v179
	s_delay_alu instid0(VALU_DEP_1) | instskip(SKIP_1) | instid1(VALU_DEP_1)
	v_subrev_nc_u32_e32 v180, 28, v179
	v_sub_nc_u32_e32 v179, 29, v179
	v_dual_cndmask_b32 v179, v181, v179 :: v_dual_lshlrev_b32 v180, v180, v166
	s_delay_alu instid0(VALU_DEP_1) | instskip(NEXT) | instid1(VALU_DEP_2)
	v_and_b32_e32 v180, 7, v180
	v_lshl_add_u32 v179, v179, 23, 0x3b800000
	s_delay_alu instid0(VALU_DEP_2) | instskip(SKIP_1) | instid1(VALU_DEP_2)
	v_cndmask_b32_e32 v178, v178, v180, vcc_lo
	v_and_b32_e32 v180, 0x80000000, v182
	v_lshlrev_b32_e32 v178, 20, v178
	s_delay_alu instid0(VALU_DEP_1)
	v_or3_b32 v178, v180, v179, v178
.LBB4_5994:                             ;   in Loop: Header=BB4_5753 Depth=3
	s_or_b32 exec_lo, exec_lo, s31
	s_delay_alu instid0(VALU_DEP_1) | instskip(SKIP_1) | instid1(VALU_DEP_1)
	v_dual_max_f32 v178, v178, v178 :: v_dual_max_f32 v177, v177, v177
	s_mov_b32 s13, 0
	v_max_f32_e32 v177, v177, v178
	s_branch .LBB4_5996
.LBB4_5995:                             ;   in Loop: Header=BB4_5753 Depth=3
	s_mov_b32 s13, -1
                                        ; implicit-def: $vgpr177
.LBB4_5996:                             ;   in Loop: Header=BB4_5753 Depth=3
	s_delay_alu instid0(SALU_CYCLE_1)
	s_and_b32 vcc_lo, exec_lo, s13
	s_cbranch_vccz .LBB4_6006
; %bb.5997:                             ;   in Loop: Header=BB4_5753 Depth=3
	v_and_b32_e32 v178, 0xff, v167
	s_mov_b32 s13, 0
	s_mov_b32 s34, exec_lo
                                        ; implicit-def: $sgpr31
	s_delay_alu instid0(VALU_DEP_1)
	v_cmpx_lt_i16_e64 0x7f, v178
	s_xor_b32 s34, exec_lo, s34
	s_cbranch_execnz .LBB4_6351
; %bb.5998:                             ;   in Loop: Header=BB4_5753 Depth=3
	s_or_saveexec_b32 s34, s34
	v_mov_b32_e32 v177, s31
	s_xor_b32 exec_lo, exec_lo, s34
	s_cbranch_execnz .LBB4_6354
.LBB4_5999:                             ;   in Loop: Header=BB4_5753 Depth=3
	s_or_b32 exec_lo, exec_lo, s34
	s_and_saveexec_b32 s31, s13
	s_cbranch_execz .LBB4_6001
.LBB4_6000:                             ;   in Loop: Header=BB4_5753 Depth=3
	v_lshrrev_b16 v180, 3, v167
	s_delay_alu instid0(VALU_DEP_1) | instskip(NEXT) | instid1(VALU_DEP_1)
	v_and_b32_e32 v180, 15, v180
	v_cmp_eq_u32_e32 vcc_lo, 0, v180
	v_and_b32_e32 v177, 7, v167
	s_delay_alu instid0(VALU_DEP_1) | instskip(NEXT) | instid1(VALU_DEP_1)
	v_clz_i32_u32_e32 v178, v177
	v_min_u32_e32 v178, 32, v178
	s_delay_alu instid0(VALU_DEP_1) | instskip(SKIP_1) | instid1(VALU_DEP_1)
	v_subrev_nc_u32_e32 v179, 28, v178
	v_sub_nc_u32_e32 v178, 29, v178
	v_dual_cndmask_b32 v178, v180, v178 :: v_dual_lshlrev_b32 v179, v179, v167
	v_lshlrev_b32_e32 v167, 24, v167
	s_delay_alu instid0(VALU_DEP_2) | instskip(NEXT) | instid1(VALU_DEP_3)
	v_and_b32_e32 v179, 7, v179
	v_lshl_add_u32 v178, v178, 23, 0x3b800000
	s_delay_alu instid0(VALU_DEP_3) | instskip(NEXT) | instid1(VALU_DEP_3)
	v_and_b32_e32 v167, 0x80000000, v167
	v_cndmask_b32_e32 v177, v177, v179, vcc_lo
	s_delay_alu instid0(VALU_DEP_1) | instskip(NEXT) | instid1(VALU_DEP_1)
	v_lshlrev_b32_e32 v177, 20, v177
	v_or3_b32 v177, v167, v178, v177
.LBB4_6001:                             ;   in Loop: Header=BB4_5753 Depth=3
	s_or_b32 exec_lo, exec_lo, s31
	s_waitcnt vmcnt(7) lgkmcnt(7)
	v_and_b32_e32 v178, 0xff, v166
	s_mov_b32 s13, 0
	s_mov_b32 s34, exec_lo
                                        ; implicit-def: $sgpr31
	s_delay_alu instid0(VALU_DEP_1)
	v_cmpx_lt_i16_e64 0x7f, v178
	s_xor_b32 s34, exec_lo, s34
	s_cbranch_execnz .LBB4_6355
; %bb.6002:                             ;   in Loop: Header=BB4_5753 Depth=3
	s_or_saveexec_b32 s34, s34
	v_mov_b32_e32 v167, s31
	s_xor_b32 exec_lo, exec_lo, s34
	s_cbranch_execnz .LBB4_6358
.LBB4_6003:                             ;   in Loop: Header=BB4_5753 Depth=3
	s_or_b32 exec_lo, exec_lo, s34
	s_and_saveexec_b32 s31, s13
	s_cbranch_execz .LBB4_6005
.LBB4_6004:                             ;   in Loop: Header=BB4_5753 Depth=3
	v_and_b32_e32 v167, 7, v166
	v_lshrrev_b16 v180, 3, v166
	s_delay_alu instid0(VALU_DEP_2) | instskip(NEXT) | instid1(VALU_DEP_1)
	v_clz_i32_u32_e32 v178, v167
	v_min_u32_e32 v178, 32, v178
	s_delay_alu instid0(VALU_DEP_1) | instskip(SKIP_1) | instid1(VALU_DEP_2)
	v_subrev_nc_u32_e32 v179, 28, v178
	v_sub_nc_u32_e32 v178, 29, v178
	v_lshlrev_b32_e32 v179, v179, v166
	v_lshlrev_b32_e32 v166, 24, v166
	s_delay_alu instid0(VALU_DEP_2) | instskip(SKIP_1) | instid1(VALU_DEP_3)
	v_and_b32_e32 v179, 7, v179
	v_and_b32_e32 v180, 15, v180
	;; [unrolled: 1-line block ×3, first 2 shown]
	s_delay_alu instid0(VALU_DEP_2) | instskip(NEXT) | instid1(VALU_DEP_4)
	v_cmp_eq_u32_e32 vcc_lo, 0, v180
	v_dual_cndmask_b32 v167, v167, v179 :: v_dual_cndmask_b32 v178, v180, v178
	s_delay_alu instid0(VALU_DEP_1) | instskip(NEXT) | instid1(VALU_DEP_2)
	v_lshlrev_b32_e32 v167, 20, v167
	v_lshl_add_u32 v178, v178, 23, 0x3b800000
	s_delay_alu instid0(VALU_DEP_1)
	v_or3_b32 v167, v166, v178, v167
.LBB4_6005:                             ;   in Loop: Header=BB4_5753 Depth=3
	s_or_b32 exec_lo, exec_lo, s31
	s_delay_alu instid0(VALU_DEP_1) | instskip(NEXT) | instid1(VALU_DEP_1)
	v_dual_max_f32 v166, v167, v167 :: v_dual_max_f32 v167, v177, v177
	v_min_f32_e32 v177, v167, v166
.LBB4_6006:                             ;   in Loop: Header=BB4_5753 Depth=3
	s_waitcnt vmcnt(7) lgkmcnt(7)
	s_delay_alu instid0(VALU_DEP_1) | instskip(NEXT) | instid1(VALU_DEP_1)
	v_and_b32_e32 v166, 0x7f800000, v177
	v_cmp_ne_u32_e32 vcc_lo, 0x7f800000, v166
	v_mov_b32_e32 v166, 0x80
	s_and_saveexec_b32 s31, vcc_lo
	s_cbranch_execz .LBB4_6014
; %bb.6007:                             ;   in Loop: Header=BB4_5753 Depth=3
	v_mov_b32_e32 v166, 0
	s_mov_b32 s34, exec_lo
	v_cmpx_ne_u32_e32 0, v177
	s_cbranch_execz .LBB4_6013
; %bb.6008:                             ;   in Loop: Header=BB4_5753 Depth=3
	v_bfe_u32 v166, v177, 23, 8
	s_delay_alu instid0(VALU_DEP_1) | instskip(SKIP_1) | instid1(VALU_DEP_2)
	v_sub_nc_u32_e32 v178, 0x78, v166
	v_cmp_gt_u32_e32 vcc_lo, 0x79, v166
	v_dual_cndmask_b32 v178, 0, v178 :: v_dual_and_b32 v167, 0x7fffff, v177
	s_delay_alu instid0(VALU_DEP_1) | instskip(SKIP_2) | instid1(VALU_DEP_4)
	v_or_b32_e32 v179, 0x800000, v167
	v_cmp_eq_u32_e32 vcc_lo, 0, v166
	v_add_nc_u32_e32 v166, 0xffffff89, v166
	v_cndmask_b32_e64 v178, v178, 0x77, vcc_lo
	s_delay_alu instid0(VALU_DEP_4) | instskip(NEXT) | instid1(VALU_DEP_3)
	v_cndmask_b32_e32 v167, v179, v167, vcc_lo
	v_cndmask_b32_e64 v166, v166, 0xffffff8a, vcc_lo
	s_delay_alu instid0(VALU_DEP_3) | instskip(NEXT) | instid1(VALU_DEP_3)
	v_lshl_add_u32 v179, 0x100000, v178, -1
	v_lshrrev_b32_e32 v180, v178, v167
	v_lshlrev_b32_e64 v182, v178, 0x80000
	s_delay_alu instid0(VALU_DEP_4) | instskip(NEXT) | instid1(VALU_DEP_4)
	v_add_nc_u32_e32 v178, v178, v166
	v_and_b32_e32 v167, v179, v167
	s_delay_alu instid0(VALU_DEP_4) | instskip(NEXT) | instid1(VALU_DEP_2)
	v_bfe_u32 v181, v180, 20, 1
	v_cmp_eq_u32_e64 s13, v167, v182
	s_delay_alu instid0(VALU_DEP_2) | instskip(NEXT) | instid1(VALU_DEP_1)
	v_add_nc_u32_e32 v179, -1, v181
	v_cndmask_b32_e64 v167, 0, v179, s13
	v_lshrrev_b32_e32 v179, 23, v180
	s_mov_b32 s13, exec_lo
	s_delay_alu instid0(VALU_DEP_2) | instskip(NEXT) | instid1(VALU_DEP_2)
	v_add_nc_u32_e32 v167, v167, v180
	v_xor_b32_e32 v179, 1, v179
	s_delay_alu instid0(VALU_DEP_2) | instskip(NEXT) | instid1(VALU_DEP_1)
	v_and_b32_e32 v166, 0xfffff, v167
	v_add_nc_u32_e32 v167, v166, v180
                                        ; implicit-def: $vgpr166
	s_delay_alu instid0(VALU_DEP_3)
	v_cmpx_ne_u32_e64 v178, v179
	s_xor_b32 s13, exec_lo, s13
; %bb.6009:                             ;   in Loop: Header=BB4_5753 Depth=3
	s_delay_alu instid0(VALU_DEP_2) | instskip(SKIP_2) | instid1(VALU_DEP_2)
	v_cmp_lt_u32_e32 vcc_lo, 0xffffff, v167
	v_sub_nc_u32_e32 v166, v178, v179
	v_cndmask_b32_e64 v178, 0, 1, vcc_lo
	v_add_co_ci_u32_e32 v166, vcc_lo, 0, v166, vcc_lo
	s_delay_alu instid0(VALU_DEP_2)
	v_lshrrev_b32_e32 v167, v178, v167
; %bb.6010:                             ;   in Loop: Header=BB4_5753 Depth=3
	s_and_not1_saveexec_b32 s13, s13
; %bb.6011:                             ;   in Loop: Header=BB4_5753 Depth=3
	s_delay_alu instid0(VALU_DEP_1)
	v_bfe_u32 v166, v167, 23, 1
; %bb.6012:                             ;   in Loop: Header=BB4_5753 Depth=3
	s_or_b32 exec_lo, exec_lo, s13
	v_lshrrev_b32_e32 v167, 20, v167
	s_delay_alu instid0(VALU_DEP_2) | instskip(SKIP_2) | instid1(VALU_DEP_2)
	v_cmp_gt_i32_e32 vcc_lo, 16, v166
	v_min_i32_e32 v178, 15, v166
	v_lshrrev_b32_e32 v177, 24, v177
	v_dual_cndmask_b32 v167, 7, v167 :: v_dual_lshlrev_b32 v178, 3, v178
	s_delay_alu instid0(VALU_DEP_1) | instskip(SKIP_1) | instid1(VALU_DEP_2)
	v_or_b32_e32 v166, v166, v167
	v_and_b32_e32 v179, 7, v167
	v_cmp_ne_u32_e32 vcc_lo, 0, v166
	v_and_b32_e32 v177, 0x80, v177
	s_delay_alu instid0(VALU_DEP_1) | instskip(NEXT) | instid1(VALU_DEP_1)
	v_or3_b32 v167, v178, v177, v179
	v_cndmask_b32_e32 v166, 0, v167, vcc_lo
.LBB4_6013:                             ;   in Loop: Header=BB4_5753 Depth=3
	s_or_b32 exec_lo, exec_lo, s34
.LBB4_6014:                             ;   in Loop: Header=BB4_5753 Depth=3
	s_delay_alu instid0(SALU_CYCLE_1) | instskip(NEXT) | instid1(SALU_CYCLE_1)
	s_or_b32 exec_lo, exec_lo, s31
	s_and_not1_b32 vcc_lo, exec_lo, s17
	s_cbranch_vccnz .LBB4_6024
; %bb.6015:                             ;   in Loop: Header=BB4_5753 Depth=3
	v_and_b32_e32 v177, 0xff, v164
	s_mov_b32 s13, 0
	s_mov_b32 s34, exec_lo
                                        ; implicit-def: $sgpr31
	s_delay_alu instid0(VALU_DEP_1)
	v_cmpx_lt_i16_e64 0x7f, v177
	s_xor_b32 s34, exec_lo, s34
	s_cbranch_execnz .LBB4_6359
; %bb.6016:                             ;   in Loop: Header=BB4_5753 Depth=3
	s_or_saveexec_b32 s34, s34
	v_mov_b32_e32 v167, s31
	s_xor_b32 exec_lo, exec_lo, s34
	s_cbranch_execnz .LBB4_6362
.LBB4_6017:                             ;   in Loop: Header=BB4_5753 Depth=3
	s_or_b32 exec_lo, exec_lo, s34
	s_and_saveexec_b32 s31, s13
	s_cbranch_execz .LBB4_6019
.LBB4_6018:                             ;   in Loop: Header=BB4_5753 Depth=3
	v_and_b32_e32 v167, 7, v164
	v_lshrrev_b16 v179, 3, v164
	s_delay_alu instid0(VALU_DEP_2) | instskip(NEXT) | instid1(VALU_DEP_2)
	v_clz_i32_u32_e32 v177, v167
	v_and_b32_e32 v179, 15, v179
	s_delay_alu instid0(VALU_DEP_2) | instskip(NEXT) | instid1(VALU_DEP_2)
	v_min_u32_e32 v177, 32, v177
	v_cmp_eq_u32_e32 vcc_lo, 0, v179
	s_delay_alu instid0(VALU_DEP_2) | instskip(SKIP_1) | instid1(VALU_DEP_1)
	v_subrev_nc_u32_e32 v178, 28, v177
	v_sub_nc_u32_e32 v177, 29, v177
	v_dual_cndmask_b32 v177, v179, v177 :: v_dual_lshlrev_b32 v178, v178, v164
	s_delay_alu instid0(VALU_DEP_1) | instskip(SKIP_1) | instid1(VALU_DEP_3)
	v_and_b32_e32 v178, 7, v178
	v_lshlrev_b32_e32 v180, 24, v164
	v_lshl_add_u32 v177, v177, 23, 0x3b800000
	s_delay_alu instid0(VALU_DEP_2) | instskip(NEXT) | instid1(VALU_DEP_1)
	v_dual_cndmask_b32 v167, v167, v178 :: v_dual_and_b32 v178, 0x80000000, v180
	v_lshlrev_b32_e32 v167, 20, v167
	s_delay_alu instid0(VALU_DEP_1)
	v_or3_b32 v167, v178, v177, v167
.LBB4_6019:                             ;   in Loop: Header=BB4_5753 Depth=3
	s_or_b32 exec_lo, exec_lo, s31
	s_waitcnt vmcnt(6) lgkmcnt(6)
	v_and_b32_e32 v178, 0xff, v163
	s_mov_b32 s13, 0
	s_mov_b32 s34, exec_lo
                                        ; implicit-def: $sgpr31
	s_delay_alu instid0(VALU_DEP_1)
	v_cmpx_lt_i16_e64 0x7f, v178
	s_xor_b32 s34, exec_lo, s34
	s_cbranch_execnz .LBB4_6363
; %bb.6020:                             ;   in Loop: Header=BB4_5753 Depth=3
	s_or_saveexec_b32 s34, s34
	v_mov_b32_e32 v177, s31
	s_xor_b32 exec_lo, exec_lo, s34
	s_cbranch_execnz .LBB4_6366
.LBB4_6021:                             ;   in Loop: Header=BB4_5753 Depth=3
	s_or_b32 exec_lo, exec_lo, s34
	s_and_saveexec_b32 s31, s13
	s_cbranch_execz .LBB4_6023
.LBB4_6022:                             ;   in Loop: Header=BB4_5753 Depth=3
	v_lshrrev_b16 v180, 3, v163
	v_lshlrev_b32_e32 v181, 24, v163
	s_delay_alu instid0(VALU_DEP_2) | instskip(NEXT) | instid1(VALU_DEP_1)
	v_and_b32_e32 v180, 15, v180
	v_cmp_eq_u32_e32 vcc_lo, 0, v180
	v_and_b32_e32 v177, 7, v163
	s_delay_alu instid0(VALU_DEP_1) | instskip(NEXT) | instid1(VALU_DEP_1)
	v_clz_i32_u32_e32 v178, v177
	v_min_u32_e32 v178, 32, v178
	s_delay_alu instid0(VALU_DEP_1) | instskip(SKIP_1) | instid1(VALU_DEP_1)
	v_subrev_nc_u32_e32 v179, 28, v178
	v_sub_nc_u32_e32 v178, 29, v178
	v_dual_cndmask_b32 v178, v180, v178 :: v_dual_lshlrev_b32 v179, v179, v163
	s_delay_alu instid0(VALU_DEP_1) | instskip(NEXT) | instid1(VALU_DEP_2)
	v_and_b32_e32 v179, 7, v179
	v_lshl_add_u32 v178, v178, 23, 0x3b800000
	s_delay_alu instid0(VALU_DEP_2) | instskip(SKIP_1) | instid1(VALU_DEP_2)
	v_cndmask_b32_e32 v177, v177, v179, vcc_lo
	v_and_b32_e32 v179, 0x80000000, v181
	v_lshlrev_b32_e32 v177, 20, v177
	s_delay_alu instid0(VALU_DEP_1)
	v_or3_b32 v177, v179, v178, v177
.LBB4_6023:                             ;   in Loop: Header=BB4_5753 Depth=3
	s_or_b32 exec_lo, exec_lo, s31
	s_delay_alu instid0(VALU_DEP_1) | instskip(SKIP_2) | instid1(VALU_DEP_1)
	v_max_f32_e32 v177, v177, v177
	v_max_f32_e32 v167, v167, v167
	s_mov_b32 s13, 0
	v_max_f32_e32 v167, v167, v177
	s_branch .LBB4_6025
.LBB4_6024:                             ;   in Loop: Header=BB4_5753 Depth=3
	s_mov_b32 s13, -1
                                        ; implicit-def: $vgpr167
.LBB4_6025:                             ;   in Loop: Header=BB4_5753 Depth=3
	s_delay_alu instid0(SALU_CYCLE_1)
	s_and_b32 vcc_lo, exec_lo, s13
	s_cbranch_vccz .LBB4_6035
; %bb.6026:                             ;   in Loop: Header=BB4_5753 Depth=3
	v_and_b32_e32 v177, 0xff, v164
	s_mov_b32 s13, 0
	s_mov_b32 s34, exec_lo
                                        ; implicit-def: $sgpr31
	s_delay_alu instid0(VALU_DEP_1)
	v_cmpx_lt_i16_e64 0x7f, v177
	s_xor_b32 s34, exec_lo, s34
	s_cbranch_execnz .LBB4_6367
; %bb.6027:                             ;   in Loop: Header=BB4_5753 Depth=3
	s_or_saveexec_b32 s34, s34
	v_mov_b32_e32 v167, s31
	s_xor_b32 exec_lo, exec_lo, s34
	s_cbranch_execnz .LBB4_6370
.LBB4_6028:                             ;   in Loop: Header=BB4_5753 Depth=3
	s_or_b32 exec_lo, exec_lo, s34
	s_and_saveexec_b32 s31, s13
	s_cbranch_execz .LBB4_6030
.LBB4_6029:                             ;   in Loop: Header=BB4_5753 Depth=3
	v_and_b32_e32 v167, 7, v164
	v_lshrrev_b16 v179, 3, v164
	s_delay_alu instid0(VALU_DEP_2) | instskip(NEXT) | instid1(VALU_DEP_2)
	v_clz_i32_u32_e32 v177, v167
	v_and_b32_e32 v179, 15, v179
	s_delay_alu instid0(VALU_DEP_2) | instskip(NEXT) | instid1(VALU_DEP_2)
	v_min_u32_e32 v177, 32, v177
	v_cmp_eq_u32_e32 vcc_lo, 0, v179
	s_delay_alu instid0(VALU_DEP_2) | instskip(SKIP_1) | instid1(VALU_DEP_1)
	v_subrev_nc_u32_e32 v178, 28, v177
	v_sub_nc_u32_e32 v177, 29, v177
	v_dual_cndmask_b32 v177, v179, v177 :: v_dual_lshlrev_b32 v178, v178, v164
	s_delay_alu instid0(VALU_DEP_1) | instskip(SKIP_1) | instid1(VALU_DEP_3)
	v_and_b32_e32 v178, 7, v178
	v_lshlrev_b32_e32 v164, 24, v164
	v_lshl_add_u32 v177, v177, 23, 0x3b800000
	s_delay_alu instid0(VALU_DEP_2) | instskip(NEXT) | instid1(VALU_DEP_1)
	v_dual_cndmask_b32 v167, v167, v178 :: v_dual_and_b32 v164, 0x80000000, v164
	v_lshlrev_b32_e32 v167, 20, v167
	s_delay_alu instid0(VALU_DEP_1)
	v_or3_b32 v167, v164, v177, v167
.LBB4_6030:                             ;   in Loop: Header=BB4_5753 Depth=3
	s_or_b32 exec_lo, exec_lo, s31
	s_waitcnt vmcnt(6) lgkmcnt(6)
	v_and_b32_e32 v177, 0xff, v163
	s_mov_b32 s13, 0
	s_mov_b32 s34, exec_lo
                                        ; implicit-def: $sgpr31
	s_delay_alu instid0(VALU_DEP_1)
	v_cmpx_lt_i16_e64 0x7f, v177
	s_xor_b32 s34, exec_lo, s34
	s_cbranch_execnz .LBB4_6371
; %bb.6031:                             ;   in Loop: Header=BB4_5753 Depth=3
	s_or_saveexec_b32 s34, s34
	v_mov_b32_e32 v164, s31
	s_xor_b32 exec_lo, exec_lo, s34
	s_cbranch_execnz .LBB4_6374
.LBB4_6032:                             ;   in Loop: Header=BB4_5753 Depth=3
	s_or_b32 exec_lo, exec_lo, s34
	s_and_saveexec_b32 s31, s13
	s_cbranch_execz .LBB4_6034
.LBB4_6033:                             ;   in Loop: Header=BB4_5753 Depth=3
	v_lshrrev_b16 v179, 3, v163
	s_delay_alu instid0(VALU_DEP_1) | instskip(NEXT) | instid1(VALU_DEP_1)
	v_and_b32_e32 v179, 15, v179
	v_cmp_eq_u32_e32 vcc_lo, 0, v179
	v_and_b32_e32 v164, 7, v163
	s_delay_alu instid0(VALU_DEP_1) | instskip(NEXT) | instid1(VALU_DEP_1)
	v_clz_i32_u32_e32 v177, v164
	v_min_u32_e32 v177, 32, v177
	s_delay_alu instid0(VALU_DEP_1) | instskip(SKIP_1) | instid1(VALU_DEP_1)
	v_subrev_nc_u32_e32 v178, 28, v177
	v_sub_nc_u32_e32 v177, 29, v177
	v_dual_cndmask_b32 v177, v179, v177 :: v_dual_lshlrev_b32 v178, v178, v163
	v_lshlrev_b32_e32 v163, 24, v163
	s_delay_alu instid0(VALU_DEP_2) | instskip(NEXT) | instid1(VALU_DEP_3)
	v_and_b32_e32 v178, 7, v178
	v_lshl_add_u32 v177, v177, 23, 0x3b800000
	s_delay_alu instid0(VALU_DEP_2) | instskip(NEXT) | instid1(VALU_DEP_1)
	v_dual_cndmask_b32 v164, v164, v178 :: v_dual_and_b32 v163, 0x80000000, v163
	v_lshlrev_b32_e32 v164, 20, v164
	s_delay_alu instid0(VALU_DEP_1)
	v_or3_b32 v164, v163, v177, v164
.LBB4_6034:                             ;   in Loop: Header=BB4_5753 Depth=3
	s_or_b32 exec_lo, exec_lo, s31
	s_delay_alu instid0(VALU_DEP_1) | instskip(NEXT) | instid1(VALU_DEP_1)
	v_dual_max_f32 v163, v164, v164 :: v_dual_max_f32 v164, v167, v167
	v_min_f32_e32 v167, v164, v163
.LBB4_6035:                             ;   in Loop: Header=BB4_5753 Depth=3
	s_waitcnt vmcnt(6) lgkmcnt(6)
	s_delay_alu instid0(VALU_DEP_1) | instskip(NEXT) | instid1(VALU_DEP_1)
	v_and_b32_e32 v163, 0x7f800000, v167
	v_cmp_ne_u32_e32 vcc_lo, 0x7f800000, v163
	v_mov_b32_e32 v163, 0x80
	s_and_saveexec_b32 s31, vcc_lo
	s_cbranch_execz .LBB4_6043
; %bb.6036:                             ;   in Loop: Header=BB4_5753 Depth=3
	v_mov_b32_e32 v163, 0
	s_mov_b32 s34, exec_lo
	v_cmpx_ne_u32_e32 0, v167
	s_cbranch_execz .LBB4_6042
; %bb.6037:                             ;   in Loop: Header=BB4_5753 Depth=3
	v_bfe_u32 v163, v167, 23, 8
	s_delay_alu instid0(VALU_DEP_1) | instskip(SKIP_1) | instid1(VALU_DEP_2)
	v_sub_nc_u32_e32 v177, 0x78, v163
	v_cmp_gt_u32_e32 vcc_lo, 0x79, v163
	v_dual_cndmask_b32 v177, 0, v177 :: v_dual_and_b32 v164, 0x7fffff, v167
	s_delay_alu instid0(VALU_DEP_1) | instskip(SKIP_2) | instid1(VALU_DEP_4)
	v_or_b32_e32 v178, 0x800000, v164
	v_cmp_eq_u32_e32 vcc_lo, 0, v163
	v_add_nc_u32_e32 v163, 0xffffff89, v163
	v_cndmask_b32_e64 v177, v177, 0x77, vcc_lo
	s_delay_alu instid0(VALU_DEP_4) | instskip(NEXT) | instid1(VALU_DEP_3)
	v_cndmask_b32_e32 v164, v178, v164, vcc_lo
	v_cndmask_b32_e64 v163, v163, 0xffffff8a, vcc_lo
	s_delay_alu instid0(VALU_DEP_3) | instskip(NEXT) | instid1(VALU_DEP_3)
	v_lshl_add_u32 v178, 0x100000, v177, -1
	v_lshrrev_b32_e32 v179, v177, v164
	v_lshlrev_b32_e64 v181, v177, 0x80000
	s_delay_alu instid0(VALU_DEP_4) | instskip(NEXT) | instid1(VALU_DEP_4)
	v_add_nc_u32_e32 v177, v177, v163
	v_and_b32_e32 v164, v178, v164
	s_delay_alu instid0(VALU_DEP_4) | instskip(NEXT) | instid1(VALU_DEP_2)
	v_bfe_u32 v180, v179, 20, 1
	v_cmp_eq_u32_e64 s13, v164, v181
	s_delay_alu instid0(VALU_DEP_2) | instskip(NEXT) | instid1(VALU_DEP_1)
	v_add_nc_u32_e32 v178, -1, v180
	v_cndmask_b32_e64 v164, 0, v178, s13
	v_lshrrev_b32_e32 v178, 23, v179
	s_mov_b32 s13, exec_lo
	s_delay_alu instid0(VALU_DEP_2) | instskip(NEXT) | instid1(VALU_DEP_2)
	v_add_nc_u32_e32 v164, v164, v179
	v_xor_b32_e32 v178, 1, v178
	s_delay_alu instid0(VALU_DEP_2) | instskip(NEXT) | instid1(VALU_DEP_1)
	v_and_b32_e32 v163, 0xfffff, v164
	v_add_nc_u32_e32 v164, v163, v179
                                        ; implicit-def: $vgpr163
	s_delay_alu instid0(VALU_DEP_3)
	v_cmpx_ne_u32_e64 v177, v178
	s_xor_b32 s13, exec_lo, s13
; %bb.6038:                             ;   in Loop: Header=BB4_5753 Depth=3
	s_delay_alu instid0(VALU_DEP_2) | instskip(SKIP_2) | instid1(VALU_DEP_2)
	v_cmp_lt_u32_e32 vcc_lo, 0xffffff, v164
	v_sub_nc_u32_e32 v163, v177, v178
	v_cndmask_b32_e64 v177, 0, 1, vcc_lo
	v_add_co_ci_u32_e32 v163, vcc_lo, 0, v163, vcc_lo
	s_delay_alu instid0(VALU_DEP_2)
	v_lshrrev_b32_e32 v164, v177, v164
; %bb.6039:                             ;   in Loop: Header=BB4_5753 Depth=3
	s_and_not1_saveexec_b32 s13, s13
; %bb.6040:                             ;   in Loop: Header=BB4_5753 Depth=3
	s_delay_alu instid0(VALU_DEP_1)
	v_bfe_u32 v163, v164, 23, 1
; %bb.6041:                             ;   in Loop: Header=BB4_5753 Depth=3
	s_or_b32 exec_lo, exec_lo, s13
	v_lshrrev_b32_e32 v164, 20, v164
	s_delay_alu instid0(VALU_DEP_2) | instskip(SKIP_2) | instid1(VALU_DEP_2)
	v_cmp_gt_i32_e32 vcc_lo, 16, v163
	v_lshrrev_b32_e32 v167, 24, v167
	v_min_i32_e32 v177, 15, v163
	v_dual_cndmask_b32 v164, 7, v164 :: v_dual_and_b32 v167, 0x80, v167
	s_delay_alu instid0(VALU_DEP_2) | instskip(NEXT) | instid1(VALU_DEP_2)
	v_lshlrev_b32_e32 v177, 3, v177
	v_and_b32_e32 v178, 7, v164
	v_or_b32_e32 v163, v163, v164
	s_delay_alu instid0(VALU_DEP_2) | instskip(NEXT) | instid1(VALU_DEP_2)
	v_or3_b32 v164, v177, v167, v178
	v_cmp_ne_u32_e32 vcc_lo, 0, v163
	s_delay_alu instid0(VALU_DEP_2)
	v_cndmask_b32_e32 v163, 0, v164, vcc_lo
.LBB4_6042:                             ;   in Loop: Header=BB4_5753 Depth=3
	s_or_b32 exec_lo, exec_lo, s34
.LBB4_6043:                             ;   in Loop: Header=BB4_5753 Depth=3
	s_delay_alu instid0(SALU_CYCLE_1) | instskip(NEXT) | instid1(SALU_CYCLE_1)
	s_or_b32 exec_lo, exec_lo, s31
	s_and_not1_b32 vcc_lo, exec_lo, s17
	s_cbranch_vccnz .LBB4_6053
; %bb.6044:                             ;   in Loop: Header=BB4_5753 Depth=3
	v_and_b32_e32 v167, 0xff, v161
	s_mov_b32 s13, 0
	s_mov_b32 s34, exec_lo
                                        ; implicit-def: $sgpr31
	s_delay_alu instid0(VALU_DEP_1)
	v_cmpx_lt_i16_e64 0x7f, v167
	s_xor_b32 s34, exec_lo, s34
	s_cbranch_execnz .LBB4_6375
; %bb.6045:                             ;   in Loop: Header=BB4_5753 Depth=3
	s_or_saveexec_b32 s34, s34
	v_mov_b32_e32 v164, s31
	s_xor_b32 exec_lo, exec_lo, s34
	s_cbranch_execnz .LBB4_6378
.LBB4_6046:                             ;   in Loop: Header=BB4_5753 Depth=3
	s_or_b32 exec_lo, exec_lo, s34
	s_and_saveexec_b32 s31, s13
	s_cbranch_execz .LBB4_6048
.LBB4_6047:                             ;   in Loop: Header=BB4_5753 Depth=3
	v_lshrrev_b16 v178, 3, v161
	v_lshlrev_b32_e32 v179, 24, v161
	s_delay_alu instid0(VALU_DEP_2) | instskip(NEXT) | instid1(VALU_DEP_1)
	v_and_b32_e32 v178, 15, v178
	v_cmp_eq_u32_e32 vcc_lo, 0, v178
	v_and_b32_e32 v164, 7, v161
	s_delay_alu instid0(VALU_DEP_1) | instskip(NEXT) | instid1(VALU_DEP_1)
	v_clz_i32_u32_e32 v167, v164
	v_min_u32_e32 v167, 32, v167
	s_delay_alu instid0(VALU_DEP_1) | instskip(SKIP_1) | instid1(VALU_DEP_2)
	v_subrev_nc_u32_e32 v177, 28, v167
	v_sub_nc_u32_e32 v167, 29, v167
	v_lshlrev_b32_e32 v177, v177, v161
	s_delay_alu instid0(VALU_DEP_2) | instskip(NEXT) | instid1(VALU_DEP_2)
	v_cndmask_b32_e32 v167, v178, v167, vcc_lo
	v_and_b32_e32 v177, 7, v177
	s_delay_alu instid0(VALU_DEP_2) | instskip(NEXT) | instid1(VALU_DEP_2)
	v_lshl_add_u32 v167, v167, 23, 0x3b800000
	v_dual_cndmask_b32 v164, v164, v177 :: v_dual_and_b32 v177, 0x80000000, v179
	s_delay_alu instid0(VALU_DEP_1) | instskip(NEXT) | instid1(VALU_DEP_1)
	v_lshlrev_b32_e32 v164, 20, v164
	v_or3_b32 v164, v177, v167, v164
.LBB4_6048:                             ;   in Loop: Header=BB4_5753 Depth=3
	s_or_b32 exec_lo, exec_lo, s31
	s_waitcnt vmcnt(5) lgkmcnt(5)
	v_and_b32_e32 v177, 0xff, v160
	s_mov_b32 s13, 0
	s_mov_b32 s34, exec_lo
                                        ; implicit-def: $sgpr31
	s_delay_alu instid0(VALU_DEP_1)
	v_cmpx_lt_i16_e64 0x7f, v177
	s_xor_b32 s34, exec_lo, s34
	s_cbranch_execnz .LBB4_6379
; %bb.6049:                             ;   in Loop: Header=BB4_5753 Depth=3
	s_or_saveexec_b32 s34, s34
	v_mov_b32_e32 v167, s31
	s_xor_b32 exec_lo, exec_lo, s34
	s_cbranch_execnz .LBB4_6382
.LBB4_6050:                             ;   in Loop: Header=BB4_5753 Depth=3
	s_or_b32 exec_lo, exec_lo, s34
	s_and_saveexec_b32 s31, s13
	s_cbranch_execz .LBB4_6052
.LBB4_6051:                             ;   in Loop: Header=BB4_5753 Depth=3
	v_and_b32_e32 v167, 7, v160
	v_lshrrev_b16 v179, 3, v160
	s_delay_alu instid0(VALU_DEP_2) | instskip(NEXT) | instid1(VALU_DEP_2)
	v_clz_i32_u32_e32 v177, v167
	v_and_b32_e32 v179, 15, v179
	s_delay_alu instid0(VALU_DEP_2) | instskip(NEXT) | instid1(VALU_DEP_2)
	v_min_u32_e32 v177, 32, v177
	v_cmp_eq_u32_e32 vcc_lo, 0, v179
	s_delay_alu instid0(VALU_DEP_2) | instskip(SKIP_1) | instid1(VALU_DEP_1)
	v_subrev_nc_u32_e32 v178, 28, v177
	v_sub_nc_u32_e32 v177, 29, v177
	v_dual_cndmask_b32 v177, v179, v177 :: v_dual_lshlrev_b32 v178, v178, v160
	s_delay_alu instid0(VALU_DEP_1) | instskip(SKIP_1) | instid1(VALU_DEP_3)
	v_and_b32_e32 v178, 7, v178
	v_lshlrev_b32_e32 v180, 24, v160
	v_lshl_add_u32 v177, v177, 23, 0x3b800000
	s_delay_alu instid0(VALU_DEP_2) | instskip(NEXT) | instid1(VALU_DEP_1)
	v_dual_cndmask_b32 v167, v167, v178 :: v_dual_and_b32 v178, 0x80000000, v180
	v_lshlrev_b32_e32 v167, 20, v167
	s_delay_alu instid0(VALU_DEP_1)
	v_or3_b32 v167, v178, v177, v167
.LBB4_6052:                             ;   in Loop: Header=BB4_5753 Depth=3
	s_or_b32 exec_lo, exec_lo, s31
	s_delay_alu instid0(VALU_DEP_1) | instskip(SKIP_1) | instid1(VALU_DEP_1)
	v_dual_max_f32 v167, v167, v167 :: v_dual_max_f32 v164, v164, v164
	s_mov_b32 s13, 0
	v_max_f32_e32 v164, v164, v167
	s_branch .LBB4_6054
.LBB4_6053:                             ;   in Loop: Header=BB4_5753 Depth=3
	s_mov_b32 s13, -1
                                        ; implicit-def: $vgpr164
.LBB4_6054:                             ;   in Loop: Header=BB4_5753 Depth=3
	s_delay_alu instid0(SALU_CYCLE_1)
	s_and_b32 vcc_lo, exec_lo, s13
	s_cbranch_vccz .LBB4_6064
; %bb.6055:                             ;   in Loop: Header=BB4_5753 Depth=3
	v_and_b32_e32 v167, 0xff, v161
	s_mov_b32 s13, 0
	s_mov_b32 s34, exec_lo
                                        ; implicit-def: $sgpr31
	s_delay_alu instid0(VALU_DEP_1)
	v_cmpx_lt_i16_e64 0x7f, v167
	s_xor_b32 s34, exec_lo, s34
	s_cbranch_execnz .LBB4_6383
; %bb.6056:                             ;   in Loop: Header=BB4_5753 Depth=3
	s_or_saveexec_b32 s34, s34
	v_mov_b32_e32 v164, s31
	s_xor_b32 exec_lo, exec_lo, s34
	s_cbranch_execnz .LBB4_6386
.LBB4_6057:                             ;   in Loop: Header=BB4_5753 Depth=3
	s_or_b32 exec_lo, exec_lo, s34
	s_and_saveexec_b32 s31, s13
	s_cbranch_execz .LBB4_6059
.LBB4_6058:                             ;   in Loop: Header=BB4_5753 Depth=3
	v_lshrrev_b16 v178, 3, v161
	s_delay_alu instid0(VALU_DEP_1) | instskip(NEXT) | instid1(VALU_DEP_1)
	v_and_b32_e32 v178, 15, v178
	v_cmp_eq_u32_e32 vcc_lo, 0, v178
	v_and_b32_e32 v164, 7, v161
	s_delay_alu instid0(VALU_DEP_1) | instskip(NEXT) | instid1(VALU_DEP_1)
	v_clz_i32_u32_e32 v167, v164
	v_min_u32_e32 v167, 32, v167
	s_delay_alu instid0(VALU_DEP_1) | instskip(SKIP_1) | instid1(VALU_DEP_2)
	v_subrev_nc_u32_e32 v177, 28, v167
	v_sub_nc_u32_e32 v167, 29, v167
	v_lshlrev_b32_e32 v177, v177, v161
	s_delay_alu instid0(VALU_DEP_2) | instskip(SKIP_1) | instid1(VALU_DEP_3)
	v_cndmask_b32_e32 v167, v178, v167, vcc_lo
	v_lshlrev_b32_e32 v161, 24, v161
	v_and_b32_e32 v177, 7, v177
	s_delay_alu instid0(VALU_DEP_3) | instskip(NEXT) | instid1(VALU_DEP_3)
	v_lshl_add_u32 v167, v167, 23, 0x3b800000
	v_and_b32_e32 v161, 0x80000000, v161
	s_delay_alu instid0(VALU_DEP_3) | instskip(NEXT) | instid1(VALU_DEP_1)
	v_cndmask_b32_e32 v164, v164, v177, vcc_lo
	v_lshlrev_b32_e32 v164, 20, v164
	s_delay_alu instid0(VALU_DEP_1)
	v_or3_b32 v164, v161, v167, v164
.LBB4_6059:                             ;   in Loop: Header=BB4_5753 Depth=3
	s_or_b32 exec_lo, exec_lo, s31
	s_waitcnt vmcnt(5) lgkmcnt(5)
	v_and_b32_e32 v167, 0xff, v160
	s_mov_b32 s13, 0
	s_mov_b32 s34, exec_lo
                                        ; implicit-def: $sgpr31
	s_delay_alu instid0(VALU_DEP_1)
	v_cmpx_lt_i16_e64 0x7f, v167
	s_xor_b32 s34, exec_lo, s34
	s_cbranch_execnz .LBB4_6387
; %bb.6060:                             ;   in Loop: Header=BB4_5753 Depth=3
	s_or_saveexec_b32 s34, s34
	v_mov_b32_e32 v161, s31
	s_xor_b32 exec_lo, exec_lo, s34
	s_cbranch_execnz .LBB4_6390
.LBB4_6061:                             ;   in Loop: Header=BB4_5753 Depth=3
	s_or_b32 exec_lo, exec_lo, s34
	s_and_saveexec_b32 s31, s13
	s_cbranch_execz .LBB4_6063
.LBB4_6062:                             ;   in Loop: Header=BB4_5753 Depth=3
	v_and_b32_e32 v161, 7, v160
	v_lshrrev_b16 v178, 3, v160
	s_delay_alu instid0(VALU_DEP_2) | instskip(NEXT) | instid1(VALU_DEP_1)
	v_clz_i32_u32_e32 v167, v161
	v_min_u32_e32 v167, 32, v167
	s_delay_alu instid0(VALU_DEP_1) | instskip(SKIP_1) | instid1(VALU_DEP_2)
	v_subrev_nc_u32_e32 v177, 28, v167
	v_sub_nc_u32_e32 v167, 29, v167
	v_lshlrev_b32_e32 v177, v177, v160
	s_delay_alu instid0(VALU_DEP_1) | instskip(SKIP_1) | instid1(VALU_DEP_1)
	v_and_b32_e32 v177, 7, v177
	v_and_b32_e32 v178, 15, v178
	v_cmp_eq_u32_e32 vcc_lo, 0, v178
	s_delay_alu instid0(VALU_DEP_3) | instskip(SKIP_1) | instid1(VALU_DEP_2)
	v_dual_cndmask_b32 v161, v161, v177 :: v_dual_lshlrev_b32 v160, 24, v160
	v_cndmask_b32_e32 v167, v178, v167, vcc_lo
	v_lshlrev_b32_e32 v161, 20, v161
	s_delay_alu instid0(VALU_DEP_3) | instskip(NEXT) | instid1(VALU_DEP_3)
	v_and_b32_e32 v160, 0x80000000, v160
	v_lshl_add_u32 v167, v167, 23, 0x3b800000
	s_delay_alu instid0(VALU_DEP_1)
	v_or3_b32 v161, v160, v167, v161
.LBB4_6063:                             ;   in Loop: Header=BB4_5753 Depth=3
	s_or_b32 exec_lo, exec_lo, s31
	s_delay_alu instid0(VALU_DEP_1) | instskip(NEXT) | instid1(VALU_DEP_1)
	v_dual_max_f32 v160, v161, v161 :: v_dual_max_f32 v161, v164, v164
	v_min_f32_e32 v164, v161, v160
.LBB4_6064:                             ;   in Loop: Header=BB4_5753 Depth=3
	s_waitcnt vmcnt(5) lgkmcnt(5)
	s_delay_alu instid0(VALU_DEP_1) | instskip(NEXT) | instid1(VALU_DEP_1)
	v_and_b32_e32 v160, 0x7f800000, v164
	v_cmp_ne_u32_e32 vcc_lo, 0x7f800000, v160
	v_mov_b32_e32 v160, 0x80
	s_and_saveexec_b32 s31, vcc_lo
	s_cbranch_execz .LBB4_6072
; %bb.6065:                             ;   in Loop: Header=BB4_5753 Depth=3
	v_mov_b32_e32 v160, 0
	s_mov_b32 s34, exec_lo
	v_cmpx_ne_u32_e32 0, v164
	s_cbranch_execz .LBB4_6071
; %bb.6066:                             ;   in Loop: Header=BB4_5753 Depth=3
	v_bfe_u32 v160, v164, 23, 8
	v_and_b32_e32 v161, 0x7fffff, v164
	s_delay_alu instid0(VALU_DEP_2) | instskip(SKIP_1) | instid1(VALU_DEP_3)
	v_sub_nc_u32_e32 v167, 0x78, v160
	v_cmp_gt_u32_e32 vcc_lo, 0x79, v160
	v_or_b32_e32 v177, 0x800000, v161
	s_delay_alu instid0(VALU_DEP_3) | instskip(SKIP_2) | instid1(VALU_DEP_3)
	v_cndmask_b32_e32 v167, 0, v167, vcc_lo
	v_cmp_eq_u32_e32 vcc_lo, 0, v160
	v_add_nc_u32_e32 v160, 0xffffff89, v160
	v_cndmask_b32_e64 v167, v167, 0x77, vcc_lo
	v_cndmask_b32_e32 v161, v177, v161, vcc_lo
	s_delay_alu instid0(VALU_DEP_3) | instskip(NEXT) | instid1(VALU_DEP_3)
	v_cndmask_b32_e64 v160, v160, 0xffffff8a, vcc_lo
	v_lshl_add_u32 v177, 0x100000, v167, -1
	s_delay_alu instid0(VALU_DEP_3) | instskip(SKIP_1) | instid1(VALU_DEP_4)
	v_lshrrev_b32_e32 v178, v167, v161
	v_lshlrev_b32_e64 v180, v167, 0x80000
	v_add_nc_u32_e32 v167, v167, v160
	s_delay_alu instid0(VALU_DEP_4) | instskip(NEXT) | instid1(VALU_DEP_4)
	v_and_b32_e32 v161, v177, v161
	v_bfe_u32 v179, v178, 20, 1
	s_delay_alu instid0(VALU_DEP_2) | instskip(NEXT) | instid1(VALU_DEP_2)
	v_cmp_eq_u32_e64 s13, v161, v180
	v_add_nc_u32_e32 v177, -1, v179
	s_delay_alu instid0(VALU_DEP_1) | instskip(SKIP_2) | instid1(VALU_DEP_2)
	v_cndmask_b32_e64 v161, 0, v177, s13
	v_lshrrev_b32_e32 v177, 23, v178
	s_mov_b32 s13, exec_lo
	v_add_nc_u32_e32 v161, v161, v178
	s_delay_alu instid0(VALU_DEP_2) | instskip(NEXT) | instid1(VALU_DEP_2)
	v_xor_b32_e32 v177, 1, v177
	v_and_b32_e32 v160, 0xfffff, v161
	s_delay_alu instid0(VALU_DEP_1) | instskip(NEXT) | instid1(VALU_DEP_3)
	v_add_nc_u32_e32 v161, v160, v178
                                        ; implicit-def: $vgpr160
	v_cmpx_ne_u32_e64 v167, v177
	s_xor_b32 s13, exec_lo, s13
; %bb.6067:                             ;   in Loop: Header=BB4_5753 Depth=3
	s_delay_alu instid0(VALU_DEP_2) | instskip(SKIP_2) | instid1(VALU_DEP_2)
	v_cmp_lt_u32_e32 vcc_lo, 0xffffff, v161
	v_sub_nc_u32_e32 v160, v167, v177
	v_cndmask_b32_e64 v167, 0, 1, vcc_lo
	v_add_co_ci_u32_e32 v160, vcc_lo, 0, v160, vcc_lo
	s_delay_alu instid0(VALU_DEP_2)
	v_lshrrev_b32_e32 v161, v167, v161
; %bb.6068:                             ;   in Loop: Header=BB4_5753 Depth=3
	s_and_not1_saveexec_b32 s13, s13
; %bb.6069:                             ;   in Loop: Header=BB4_5753 Depth=3
	s_delay_alu instid0(VALU_DEP_1)
	v_bfe_u32 v160, v161, 23, 1
; %bb.6070:                             ;   in Loop: Header=BB4_5753 Depth=3
	s_or_b32 exec_lo, exec_lo, s13
	v_lshrrev_b32_e32 v161, 20, v161
	s_delay_alu instid0(VALU_DEP_2) | instskip(SKIP_2) | instid1(VALU_DEP_2)
	v_cmp_gt_i32_e32 vcc_lo, 16, v160
	v_lshrrev_b32_e32 v164, 24, v164
	v_min_i32_e32 v167, 15, v160
	v_dual_cndmask_b32 v161, 7, v161 :: v_dual_and_b32 v164, 0x80, v164
	s_delay_alu instid0(VALU_DEP_1) | instskip(SKIP_1) | instid1(VALU_DEP_2)
	v_or_b32_e32 v160, v160, v161
	v_and_b32_e32 v177, 7, v161
	v_cmp_ne_u32_e32 vcc_lo, 0, v160
	v_lshlrev_b32_e32 v167, 3, v167
	s_delay_alu instid0(VALU_DEP_1) | instskip(NEXT) | instid1(VALU_DEP_1)
	v_or3_b32 v161, v167, v164, v177
	v_cndmask_b32_e32 v160, 0, v161, vcc_lo
.LBB4_6071:                             ;   in Loop: Header=BB4_5753 Depth=3
	s_or_b32 exec_lo, exec_lo, s34
.LBB4_6072:                             ;   in Loop: Header=BB4_5753 Depth=3
	s_delay_alu instid0(SALU_CYCLE_1) | instskip(NEXT) | instid1(SALU_CYCLE_1)
	s_or_b32 exec_lo, exec_lo, s31
	s_and_not1_b32 vcc_lo, exec_lo, s17
	s_cbranch_vccnz .LBB4_6082
; %bb.6073:                             ;   in Loop: Header=BB4_5753 Depth=3
	v_and_b32_e32 v164, 0xff, v150
	s_mov_b32 s13, 0
	s_mov_b32 s34, exec_lo
                                        ; implicit-def: $sgpr31
	s_delay_alu instid0(VALU_DEP_1)
	v_cmpx_lt_i16_e64 0x7f, v164
	s_xor_b32 s34, exec_lo, s34
	s_cbranch_execnz .LBB4_6391
; %bb.6074:                             ;   in Loop: Header=BB4_5753 Depth=3
	s_or_saveexec_b32 s34, s34
	v_mov_b32_e32 v161, s31
	s_xor_b32 exec_lo, exec_lo, s34
	s_cbranch_execnz .LBB4_6394
.LBB4_6075:                             ;   in Loop: Header=BB4_5753 Depth=3
	s_or_b32 exec_lo, exec_lo, s34
	s_and_saveexec_b32 s31, s13
	s_cbranch_execz .LBB4_6077
.LBB4_6076:                             ;   in Loop: Header=BB4_5753 Depth=3
	v_lshrrev_b16 v177, 3, v150
	s_delay_alu instid0(VALU_DEP_1) | instskip(NEXT) | instid1(VALU_DEP_1)
	v_and_b32_e32 v177, 15, v177
	v_cmp_eq_u32_e32 vcc_lo, 0, v177
	v_and_b32_e32 v161, 7, v150
	s_delay_alu instid0(VALU_DEP_1) | instskip(NEXT) | instid1(VALU_DEP_1)
	v_clz_i32_u32_e32 v164, v161
	v_min_u32_e32 v164, 32, v164
	s_delay_alu instid0(VALU_DEP_1) | instskip(SKIP_1) | instid1(VALU_DEP_1)
	v_subrev_nc_u32_e32 v167, 28, v164
	v_sub_nc_u32_e32 v164, 29, v164
	v_dual_cndmask_b32 v164, v177, v164 :: v_dual_lshlrev_b32 v167, v167, v150
	s_delay_alu instid0(VALU_DEP_1) | instskip(SKIP_1) | instid1(VALU_DEP_3)
	v_and_b32_e32 v167, 7, v167
	v_lshlrev_b32_e32 v178, 24, v150
	v_lshl_add_u32 v164, v164, 23, 0x3b800000
	s_delay_alu instid0(VALU_DEP_3) | instskip(NEXT) | instid1(VALU_DEP_3)
	v_cndmask_b32_e32 v161, v161, v167, vcc_lo
	v_and_b32_e32 v167, 0x80000000, v178
	s_delay_alu instid0(VALU_DEP_2) | instskip(NEXT) | instid1(VALU_DEP_1)
	v_lshlrev_b32_e32 v161, 20, v161
	v_or3_b32 v161, v167, v164, v161
.LBB4_6077:                             ;   in Loop: Header=BB4_5753 Depth=3
	s_or_b32 exec_lo, exec_lo, s31
	s_waitcnt vmcnt(4) lgkmcnt(4)
	v_and_b32_e32 v167, 0xff, v149
	s_mov_b32 s13, 0
	s_mov_b32 s34, exec_lo
                                        ; implicit-def: $sgpr31
	s_delay_alu instid0(VALU_DEP_1)
	v_cmpx_lt_i16_e64 0x7f, v167
	s_xor_b32 s34, exec_lo, s34
	s_cbranch_execnz .LBB4_6395
; %bb.6078:                             ;   in Loop: Header=BB4_5753 Depth=3
	s_or_saveexec_b32 s34, s34
	v_mov_b32_e32 v164, s31
	s_xor_b32 exec_lo, exec_lo, s34
	s_cbranch_execnz .LBB4_6398
.LBB4_6079:                             ;   in Loop: Header=BB4_5753 Depth=3
	s_or_b32 exec_lo, exec_lo, s34
	s_and_saveexec_b32 s31, s13
	s_cbranch_execz .LBB4_6081
.LBB4_6080:                             ;   in Loop: Header=BB4_5753 Depth=3
	v_lshrrev_b16 v178, 3, v149
	v_lshlrev_b32_e32 v179, 24, v149
	s_delay_alu instid0(VALU_DEP_2) | instskip(NEXT) | instid1(VALU_DEP_1)
	v_and_b32_e32 v178, 15, v178
	v_cmp_eq_u32_e32 vcc_lo, 0, v178
	v_and_b32_e32 v164, 7, v149
	s_delay_alu instid0(VALU_DEP_1) | instskip(NEXT) | instid1(VALU_DEP_1)
	v_clz_i32_u32_e32 v167, v164
	v_min_u32_e32 v167, 32, v167
	s_delay_alu instid0(VALU_DEP_1) | instskip(SKIP_1) | instid1(VALU_DEP_2)
	v_subrev_nc_u32_e32 v177, 28, v167
	v_sub_nc_u32_e32 v167, 29, v167
	v_lshlrev_b32_e32 v177, v177, v149
	s_delay_alu instid0(VALU_DEP_2) | instskip(NEXT) | instid1(VALU_DEP_2)
	v_cndmask_b32_e32 v167, v178, v167, vcc_lo
	v_and_b32_e32 v177, 7, v177
	s_delay_alu instid0(VALU_DEP_2) | instskip(NEXT) | instid1(VALU_DEP_2)
	v_lshl_add_u32 v167, v167, 23, 0x3b800000
	v_dual_cndmask_b32 v164, v164, v177 :: v_dual_and_b32 v177, 0x80000000, v179
	s_delay_alu instid0(VALU_DEP_1) | instskip(NEXT) | instid1(VALU_DEP_1)
	v_lshlrev_b32_e32 v164, 20, v164
	v_or3_b32 v164, v177, v167, v164
.LBB4_6081:                             ;   in Loop: Header=BB4_5753 Depth=3
	s_or_b32 exec_lo, exec_lo, s31
	s_delay_alu instid0(VALU_DEP_1) | instskip(SKIP_1) | instid1(VALU_DEP_1)
	v_dual_max_f32 v164, v164, v164 :: v_dual_max_f32 v161, v161, v161
	s_mov_b32 s13, 0
	v_max_f32_e32 v161, v161, v164
	s_branch .LBB4_6083
.LBB4_6082:                             ;   in Loop: Header=BB4_5753 Depth=3
	s_mov_b32 s13, -1
                                        ; implicit-def: $vgpr161
.LBB4_6083:                             ;   in Loop: Header=BB4_5753 Depth=3
	s_delay_alu instid0(SALU_CYCLE_1)
	s_and_b32 vcc_lo, exec_lo, s13
	s_cbranch_vccz .LBB4_6093
; %bb.6084:                             ;   in Loop: Header=BB4_5753 Depth=3
	v_and_b32_e32 v164, 0xff, v150
	s_mov_b32 s13, 0
	s_mov_b32 s34, exec_lo
                                        ; implicit-def: $sgpr31
	s_delay_alu instid0(VALU_DEP_1)
	v_cmpx_lt_i16_e64 0x7f, v164
	s_xor_b32 s34, exec_lo, s34
	s_cbranch_execnz .LBB4_6399
; %bb.6085:                             ;   in Loop: Header=BB4_5753 Depth=3
	s_or_saveexec_b32 s34, s34
	v_mov_b32_e32 v161, s31
	s_xor_b32 exec_lo, exec_lo, s34
	s_cbranch_execnz .LBB4_6402
.LBB4_6086:                             ;   in Loop: Header=BB4_5753 Depth=3
	s_or_b32 exec_lo, exec_lo, s34
	s_and_saveexec_b32 s31, s13
	s_cbranch_execz .LBB4_6088
.LBB4_6087:                             ;   in Loop: Header=BB4_5753 Depth=3
	v_lshrrev_b16 v177, 3, v150
	s_delay_alu instid0(VALU_DEP_1) | instskip(NEXT) | instid1(VALU_DEP_1)
	v_and_b32_e32 v177, 15, v177
	v_cmp_eq_u32_e32 vcc_lo, 0, v177
	v_and_b32_e32 v161, 7, v150
	s_delay_alu instid0(VALU_DEP_1) | instskip(NEXT) | instid1(VALU_DEP_1)
	v_clz_i32_u32_e32 v164, v161
	v_min_u32_e32 v164, 32, v164
	s_delay_alu instid0(VALU_DEP_1) | instskip(SKIP_1) | instid1(VALU_DEP_1)
	v_subrev_nc_u32_e32 v167, 28, v164
	v_sub_nc_u32_e32 v164, 29, v164
	v_dual_cndmask_b32 v164, v177, v164 :: v_dual_lshlrev_b32 v167, v167, v150
	s_delay_alu instid0(VALU_DEP_1) | instskip(SKIP_1) | instid1(VALU_DEP_3)
	v_and_b32_e32 v167, 7, v167
	v_lshlrev_b32_e32 v150, 24, v150
	v_lshl_add_u32 v164, v164, 23, 0x3b800000
	s_delay_alu instid0(VALU_DEP_2) | instskip(NEXT) | instid1(VALU_DEP_1)
	v_dual_cndmask_b32 v161, v161, v167 :: v_dual_and_b32 v150, 0x80000000, v150
	v_lshlrev_b32_e32 v161, 20, v161
	s_delay_alu instid0(VALU_DEP_1)
	v_or3_b32 v161, v150, v164, v161
.LBB4_6088:                             ;   in Loop: Header=BB4_5753 Depth=3
	s_or_b32 exec_lo, exec_lo, s31
	s_waitcnt vmcnt(4) lgkmcnt(4)
	v_and_b32_e32 v164, 0xff, v149
	s_mov_b32 s13, 0
	s_mov_b32 s34, exec_lo
                                        ; implicit-def: $sgpr31
	s_delay_alu instid0(VALU_DEP_1)
	v_cmpx_lt_i16_e64 0x7f, v164
	s_xor_b32 s34, exec_lo, s34
	s_cbranch_execnz .LBB4_6403
; %bb.6089:                             ;   in Loop: Header=BB4_5753 Depth=3
	s_or_saveexec_b32 s34, s34
	v_mov_b32_e32 v150, s31
	s_xor_b32 exec_lo, exec_lo, s34
	s_cbranch_execnz .LBB4_6406
.LBB4_6090:                             ;   in Loop: Header=BB4_5753 Depth=3
	s_or_b32 exec_lo, exec_lo, s34
	s_and_saveexec_b32 s31, s13
	s_cbranch_execz .LBB4_6092
.LBB4_6091:                             ;   in Loop: Header=BB4_5753 Depth=3
	v_and_b32_e32 v150, 7, v149
	v_lshrrev_b16 v177, 3, v149
	s_delay_alu instid0(VALU_DEP_2) | instskip(NEXT) | instid1(VALU_DEP_2)
	v_clz_i32_u32_e32 v164, v150
	v_and_b32_e32 v177, 15, v177
	s_delay_alu instid0(VALU_DEP_2) | instskip(NEXT) | instid1(VALU_DEP_2)
	v_min_u32_e32 v164, 32, v164
	v_cmp_eq_u32_e32 vcc_lo, 0, v177
	s_delay_alu instid0(VALU_DEP_2) | instskip(SKIP_1) | instid1(VALU_DEP_1)
	v_subrev_nc_u32_e32 v167, 28, v164
	v_sub_nc_u32_e32 v164, 29, v164
	v_dual_cndmask_b32 v164, v177, v164 :: v_dual_lshlrev_b32 v167, v167, v149
	v_lshlrev_b32_e32 v149, 24, v149
	s_delay_alu instid0(VALU_DEP_2) | instskip(NEXT) | instid1(VALU_DEP_3)
	v_and_b32_e32 v167, 7, v167
	v_lshl_add_u32 v164, v164, 23, 0x3b800000
	s_delay_alu instid0(VALU_DEP_2) | instskip(NEXT) | instid1(VALU_DEP_1)
	v_dual_cndmask_b32 v150, v150, v167 :: v_dual_and_b32 v149, 0x80000000, v149
	v_lshlrev_b32_e32 v150, 20, v150
	s_delay_alu instid0(VALU_DEP_1)
	v_or3_b32 v150, v149, v164, v150
.LBB4_6092:                             ;   in Loop: Header=BB4_5753 Depth=3
	s_or_b32 exec_lo, exec_lo, s31
	s_delay_alu instid0(VALU_DEP_1) | instskip(NEXT) | instid1(VALU_DEP_1)
	v_dual_max_f32 v149, v150, v150 :: v_dual_max_f32 v150, v161, v161
	v_min_f32_e32 v161, v150, v149
.LBB4_6093:                             ;   in Loop: Header=BB4_5753 Depth=3
	s_waitcnt vmcnt(4) lgkmcnt(4)
	s_delay_alu instid0(VALU_DEP_1) | instskip(NEXT) | instid1(VALU_DEP_1)
	v_and_b32_e32 v149, 0x7f800000, v161
	v_cmp_ne_u32_e32 vcc_lo, 0x7f800000, v149
	v_mov_b32_e32 v149, 0x80
	s_and_saveexec_b32 s31, vcc_lo
	s_cbranch_execz .LBB4_6101
; %bb.6094:                             ;   in Loop: Header=BB4_5753 Depth=3
	v_mov_b32_e32 v149, 0
	s_mov_b32 s34, exec_lo
	v_cmpx_ne_u32_e32 0, v161
	s_cbranch_execz .LBB4_6100
; %bb.6095:                             ;   in Loop: Header=BB4_5753 Depth=3
	v_bfe_u32 v149, v161, 23, 8
	v_and_b32_e32 v150, 0x7fffff, v161
	s_delay_alu instid0(VALU_DEP_2) | instskip(SKIP_1) | instid1(VALU_DEP_3)
	v_sub_nc_u32_e32 v164, 0x78, v149
	v_cmp_gt_u32_e32 vcc_lo, 0x79, v149
	v_or_b32_e32 v167, 0x800000, v150
	s_delay_alu instid0(VALU_DEP_3) | instskip(SKIP_2) | instid1(VALU_DEP_3)
	v_cndmask_b32_e32 v164, 0, v164, vcc_lo
	v_cmp_eq_u32_e32 vcc_lo, 0, v149
	v_add_nc_u32_e32 v149, 0xffffff89, v149
	v_cndmask_b32_e64 v164, v164, 0x77, vcc_lo
	v_cndmask_b32_e32 v150, v167, v150, vcc_lo
	s_delay_alu instid0(VALU_DEP_3) | instskip(NEXT) | instid1(VALU_DEP_3)
	v_cndmask_b32_e64 v149, v149, 0xffffff8a, vcc_lo
	v_lshl_add_u32 v167, 0x100000, v164, -1
	s_delay_alu instid0(VALU_DEP_3) | instskip(SKIP_1) | instid1(VALU_DEP_4)
	v_lshrrev_b32_e32 v177, v164, v150
	v_lshlrev_b32_e64 v179, v164, 0x80000
	v_add_nc_u32_e32 v164, v164, v149
	s_delay_alu instid0(VALU_DEP_4) | instskip(NEXT) | instid1(VALU_DEP_4)
	v_and_b32_e32 v150, v167, v150
	v_bfe_u32 v178, v177, 20, 1
	s_delay_alu instid0(VALU_DEP_2) | instskip(NEXT) | instid1(VALU_DEP_2)
	v_cmp_eq_u32_e64 s13, v150, v179
	v_add_nc_u32_e32 v167, -1, v178
	s_delay_alu instid0(VALU_DEP_1) | instskip(SKIP_2) | instid1(VALU_DEP_2)
	v_cndmask_b32_e64 v150, 0, v167, s13
	v_lshrrev_b32_e32 v167, 23, v177
	s_mov_b32 s13, exec_lo
	v_add_nc_u32_e32 v150, v150, v177
	s_delay_alu instid0(VALU_DEP_2) | instskip(NEXT) | instid1(VALU_DEP_2)
	v_xor_b32_e32 v167, 1, v167
	v_and_b32_e32 v149, 0xfffff, v150
	s_delay_alu instid0(VALU_DEP_1) | instskip(NEXT) | instid1(VALU_DEP_3)
	v_add_nc_u32_e32 v150, v149, v177
                                        ; implicit-def: $vgpr149
	v_cmpx_ne_u32_e64 v164, v167
	s_xor_b32 s13, exec_lo, s13
; %bb.6096:                             ;   in Loop: Header=BB4_5753 Depth=3
	s_delay_alu instid0(VALU_DEP_2) | instskip(SKIP_2) | instid1(VALU_DEP_2)
	v_cmp_lt_u32_e32 vcc_lo, 0xffffff, v150
	v_sub_nc_u32_e32 v149, v164, v167
	v_cndmask_b32_e64 v164, 0, 1, vcc_lo
	v_add_co_ci_u32_e32 v149, vcc_lo, 0, v149, vcc_lo
	s_delay_alu instid0(VALU_DEP_2)
	v_lshrrev_b32_e32 v150, v164, v150
; %bb.6097:                             ;   in Loop: Header=BB4_5753 Depth=3
	s_and_not1_saveexec_b32 s13, s13
; %bb.6098:                             ;   in Loop: Header=BB4_5753 Depth=3
	s_delay_alu instid0(VALU_DEP_1)
	v_bfe_u32 v149, v150, 23, 1
; %bb.6099:                             ;   in Loop: Header=BB4_5753 Depth=3
	s_or_b32 exec_lo, exec_lo, s13
	v_lshrrev_b32_e32 v150, 20, v150
	s_delay_alu instid0(VALU_DEP_2) | instskip(SKIP_2) | instid1(VALU_DEP_2)
	v_cmp_gt_i32_e32 vcc_lo, 16, v149
	v_lshrrev_b32_e32 v161, 24, v161
	v_min_i32_e32 v164, 15, v149
	v_dual_cndmask_b32 v150, 7, v150 :: v_dual_and_b32 v161, 0x80, v161
	s_delay_alu instid0(VALU_DEP_1) | instskip(SKIP_1) | instid1(VALU_DEP_2)
	v_or_b32_e32 v149, v149, v150
	v_and_b32_e32 v167, 7, v150
	v_cmp_ne_u32_e32 vcc_lo, 0, v149
	v_lshlrev_b32_e32 v164, 3, v164
	s_delay_alu instid0(VALU_DEP_1) | instskip(NEXT) | instid1(VALU_DEP_1)
	v_or3_b32 v150, v164, v161, v167
	v_cndmask_b32_e32 v149, 0, v150, vcc_lo
.LBB4_6100:                             ;   in Loop: Header=BB4_5753 Depth=3
	s_or_b32 exec_lo, exec_lo, s34
.LBB4_6101:                             ;   in Loop: Header=BB4_5753 Depth=3
	s_delay_alu instid0(SALU_CYCLE_1) | instskip(NEXT) | instid1(SALU_CYCLE_1)
	s_or_b32 exec_lo, exec_lo, s31
	s_and_not1_b32 vcc_lo, exec_lo, s17
	s_cbranch_vccnz .LBB4_6111
; %bb.6102:                             ;   in Loop: Header=BB4_5753 Depth=3
	v_and_b32_e32 v161, 0xff, v84
	s_mov_b32 s13, 0
	s_mov_b32 s34, exec_lo
                                        ; implicit-def: $sgpr31
	s_delay_alu instid0(VALU_DEP_1)
	v_cmpx_lt_i16_e64 0x7f, v161
	s_xor_b32 s34, exec_lo, s34
	s_cbranch_execnz .LBB4_6407
; %bb.6103:                             ;   in Loop: Header=BB4_5753 Depth=3
	s_or_saveexec_b32 s34, s34
	v_mov_b32_e32 v150, s31
	s_xor_b32 exec_lo, exec_lo, s34
	s_cbranch_execnz .LBB4_6410
.LBB4_6104:                             ;   in Loop: Header=BB4_5753 Depth=3
	s_or_b32 exec_lo, exec_lo, s34
	s_and_saveexec_b32 s31, s13
	s_cbranch_execz .LBB4_6106
.LBB4_6105:                             ;   in Loop: Header=BB4_5753 Depth=3
	v_lshrrev_b16 v167, 3, v84
	v_lshlrev_b32_e32 v177, 24, v84
	s_delay_alu instid0(VALU_DEP_2) | instskip(NEXT) | instid1(VALU_DEP_1)
	v_and_b32_e32 v167, 15, v167
	v_cmp_eq_u32_e32 vcc_lo, 0, v167
	v_and_b32_e32 v150, 7, v84
	s_delay_alu instid0(VALU_DEP_1) | instskip(NEXT) | instid1(VALU_DEP_1)
	v_clz_i32_u32_e32 v161, v150
	v_min_u32_e32 v161, 32, v161
	s_delay_alu instid0(VALU_DEP_1) | instskip(SKIP_1) | instid1(VALU_DEP_1)
	v_subrev_nc_u32_e32 v164, 28, v161
	v_sub_nc_u32_e32 v161, 29, v161
	v_dual_cndmask_b32 v161, v167, v161 :: v_dual_lshlrev_b32 v164, v164, v84
	s_delay_alu instid0(VALU_DEP_1) | instskip(NEXT) | instid1(VALU_DEP_2)
	v_and_b32_e32 v164, 7, v164
	v_lshl_add_u32 v161, v161, 23, 0x3b800000
	s_delay_alu instid0(VALU_DEP_2) | instskip(SKIP_1) | instid1(VALU_DEP_2)
	v_cndmask_b32_e32 v150, v150, v164, vcc_lo
	v_and_b32_e32 v164, 0x80000000, v177
	v_lshlrev_b32_e32 v150, 20, v150
	s_delay_alu instid0(VALU_DEP_1)
	v_or3_b32 v150, v164, v161, v150
.LBB4_6106:                             ;   in Loop: Header=BB4_5753 Depth=3
	s_or_b32 exec_lo, exec_lo, s31
	s_waitcnt vmcnt(3) lgkmcnt(3)
	v_and_b32_e32 v164, 0xff, v83
	s_mov_b32 s13, 0
	s_mov_b32 s34, exec_lo
                                        ; implicit-def: $sgpr31
	s_delay_alu instid0(VALU_DEP_1)
	v_cmpx_lt_i16_e64 0x7f, v164
	s_xor_b32 s34, exec_lo, s34
	s_cbranch_execnz .LBB4_6411
; %bb.6107:                             ;   in Loop: Header=BB4_5753 Depth=3
	s_or_saveexec_b32 s34, s34
	v_mov_b32_e32 v161, s31
	s_xor_b32 exec_lo, exec_lo, s34
	s_cbranch_execnz .LBB4_6414
.LBB4_6108:                             ;   in Loop: Header=BB4_5753 Depth=3
	s_or_b32 exec_lo, exec_lo, s34
	s_and_saveexec_b32 s31, s13
	s_cbranch_execz .LBB4_6110
.LBB4_6109:                             ;   in Loop: Header=BB4_5753 Depth=3
	v_lshrrev_b16 v177, 3, v83
	v_lshlrev_b32_e32 v178, 24, v83
	s_delay_alu instid0(VALU_DEP_2) | instskip(NEXT) | instid1(VALU_DEP_1)
	v_and_b32_e32 v177, 15, v177
	v_cmp_eq_u32_e32 vcc_lo, 0, v177
	v_and_b32_e32 v161, 7, v83
	s_delay_alu instid0(VALU_DEP_1) | instskip(NEXT) | instid1(VALU_DEP_1)
	v_clz_i32_u32_e32 v164, v161
	v_min_u32_e32 v164, 32, v164
	s_delay_alu instid0(VALU_DEP_1) | instskip(SKIP_1) | instid1(VALU_DEP_1)
	v_subrev_nc_u32_e32 v167, 28, v164
	v_sub_nc_u32_e32 v164, 29, v164
	v_dual_cndmask_b32 v164, v177, v164 :: v_dual_lshlrev_b32 v167, v167, v83
	s_delay_alu instid0(VALU_DEP_1) | instskip(NEXT) | instid1(VALU_DEP_2)
	v_and_b32_e32 v167, 7, v167
	v_lshl_add_u32 v164, v164, 23, 0x3b800000
	s_delay_alu instid0(VALU_DEP_2) | instskip(SKIP_1) | instid1(VALU_DEP_2)
	v_cndmask_b32_e32 v161, v161, v167, vcc_lo
	v_and_b32_e32 v167, 0x80000000, v178
	v_lshlrev_b32_e32 v161, 20, v161
	s_delay_alu instid0(VALU_DEP_1)
	v_or3_b32 v161, v167, v164, v161
.LBB4_6110:                             ;   in Loop: Header=BB4_5753 Depth=3
	s_or_b32 exec_lo, exec_lo, s31
	s_delay_alu instid0(VALU_DEP_1) | instskip(SKIP_1) | instid1(VALU_DEP_1)
	v_dual_max_f32 v161, v161, v161 :: v_dual_max_f32 v150, v150, v150
	s_mov_b32 s13, 0
	v_max_f32_e32 v150, v150, v161
	s_branch .LBB4_6112
.LBB4_6111:                             ;   in Loop: Header=BB4_5753 Depth=3
	s_mov_b32 s13, -1
                                        ; implicit-def: $vgpr150
.LBB4_6112:                             ;   in Loop: Header=BB4_5753 Depth=3
	s_delay_alu instid0(SALU_CYCLE_1)
	s_and_b32 vcc_lo, exec_lo, s13
	s_cbranch_vccz .LBB4_6122
; %bb.6113:                             ;   in Loop: Header=BB4_5753 Depth=3
	v_and_b32_e32 v161, 0xff, v84
	s_mov_b32 s13, 0
	s_mov_b32 s34, exec_lo
                                        ; implicit-def: $sgpr31
	s_delay_alu instid0(VALU_DEP_1)
	v_cmpx_lt_i16_e64 0x7f, v161
	s_xor_b32 s34, exec_lo, s34
	s_cbranch_execnz .LBB4_6415
; %bb.6114:                             ;   in Loop: Header=BB4_5753 Depth=3
	s_or_saveexec_b32 s34, s34
	v_mov_b32_e32 v150, s31
	s_xor_b32 exec_lo, exec_lo, s34
	s_cbranch_execnz .LBB4_6418
.LBB4_6115:                             ;   in Loop: Header=BB4_5753 Depth=3
	s_or_b32 exec_lo, exec_lo, s34
	s_and_saveexec_b32 s31, s13
	s_cbranch_execz .LBB4_6117
.LBB4_6116:                             ;   in Loop: Header=BB4_5753 Depth=3
	v_lshrrev_b16 v167, 3, v84
	s_delay_alu instid0(VALU_DEP_1) | instskip(NEXT) | instid1(VALU_DEP_1)
	v_and_b32_e32 v167, 15, v167
	v_cmp_eq_u32_e32 vcc_lo, 0, v167
	v_and_b32_e32 v150, 7, v84
	s_delay_alu instid0(VALU_DEP_1) | instskip(NEXT) | instid1(VALU_DEP_1)
	v_clz_i32_u32_e32 v161, v150
	v_min_u32_e32 v161, 32, v161
	s_delay_alu instid0(VALU_DEP_1) | instskip(SKIP_1) | instid1(VALU_DEP_1)
	v_subrev_nc_u32_e32 v164, 28, v161
	v_sub_nc_u32_e32 v161, 29, v161
	v_dual_cndmask_b32 v161, v167, v161 :: v_dual_lshlrev_b32 v164, v164, v84
	v_lshlrev_b32_e32 v84, 24, v84
	s_delay_alu instid0(VALU_DEP_2) | instskip(NEXT) | instid1(VALU_DEP_3)
	v_and_b32_e32 v164, 7, v164
	v_lshl_add_u32 v161, v161, 23, 0x3b800000
	s_delay_alu instid0(VALU_DEP_3) | instskip(NEXT) | instid1(VALU_DEP_3)
	v_and_b32_e32 v84, 0x80000000, v84
	v_cndmask_b32_e32 v150, v150, v164, vcc_lo
	s_delay_alu instid0(VALU_DEP_1) | instskip(NEXT) | instid1(VALU_DEP_1)
	v_lshlrev_b32_e32 v150, 20, v150
	v_or3_b32 v150, v84, v161, v150
.LBB4_6117:                             ;   in Loop: Header=BB4_5753 Depth=3
	s_or_b32 exec_lo, exec_lo, s31
	s_waitcnt vmcnt(3) lgkmcnt(3)
	v_and_b32_e32 v161, 0xff, v83
	s_mov_b32 s13, 0
	s_mov_b32 s34, exec_lo
                                        ; implicit-def: $sgpr31
	s_delay_alu instid0(VALU_DEP_1)
	v_cmpx_lt_i16_e64 0x7f, v161
	s_xor_b32 s34, exec_lo, s34
	s_cbranch_execnz .LBB4_6419
; %bb.6118:                             ;   in Loop: Header=BB4_5753 Depth=3
	s_or_saveexec_b32 s34, s34
	v_mov_b32_e32 v84, s31
	s_xor_b32 exec_lo, exec_lo, s34
	s_cbranch_execnz .LBB4_6422
.LBB4_6119:                             ;   in Loop: Header=BB4_5753 Depth=3
	s_or_b32 exec_lo, exec_lo, s34
	s_and_saveexec_b32 s31, s13
	s_cbranch_execz .LBB4_6121
.LBB4_6120:                             ;   in Loop: Header=BB4_5753 Depth=3
	v_lshrrev_b16 v167, 3, v83
	s_delay_alu instid0(VALU_DEP_1) | instskip(NEXT) | instid1(VALU_DEP_1)
	v_and_b32_e32 v167, 15, v167
	v_cmp_eq_u32_e32 vcc_lo, 0, v167
	v_and_b32_e32 v84, 7, v83
	s_delay_alu instid0(VALU_DEP_1) | instskip(NEXT) | instid1(VALU_DEP_1)
	v_clz_i32_u32_e32 v161, v84
	v_min_u32_e32 v161, 32, v161
	s_delay_alu instid0(VALU_DEP_1) | instskip(SKIP_1) | instid1(VALU_DEP_1)
	v_subrev_nc_u32_e32 v164, 28, v161
	v_sub_nc_u32_e32 v161, 29, v161
	v_dual_cndmask_b32 v161, v167, v161 :: v_dual_lshlrev_b32 v164, v164, v83
	v_lshlrev_b32_e32 v83, 24, v83
	s_delay_alu instid0(VALU_DEP_2) | instskip(NEXT) | instid1(VALU_DEP_3)
	v_and_b32_e32 v164, 7, v164
	v_lshl_add_u32 v161, v161, 23, 0x3b800000
	s_delay_alu instid0(VALU_DEP_2) | instskip(NEXT) | instid1(VALU_DEP_1)
	v_dual_cndmask_b32 v84, v84, v164 :: v_dual_and_b32 v83, 0x80000000, v83
	v_lshlrev_b32_e32 v84, 20, v84
	s_delay_alu instid0(VALU_DEP_1)
	v_or3_b32 v84, v83, v161, v84
.LBB4_6121:                             ;   in Loop: Header=BB4_5753 Depth=3
	s_or_b32 exec_lo, exec_lo, s31
	s_delay_alu instid0(VALU_DEP_1) | instskip(NEXT) | instid1(VALU_DEP_1)
	v_dual_max_f32 v83, v84, v84 :: v_dual_max_f32 v84, v150, v150
	v_min_f32_e32 v150, v84, v83
.LBB4_6122:                             ;   in Loop: Header=BB4_5753 Depth=3
	s_waitcnt vmcnt(3) lgkmcnt(3)
	s_delay_alu instid0(VALU_DEP_1) | instskip(NEXT) | instid1(VALU_DEP_1)
	v_and_b32_e32 v83, 0x7f800000, v150
	v_cmp_ne_u32_e32 vcc_lo, 0x7f800000, v83
	v_mov_b32_e32 v83, 0x80
	s_and_saveexec_b32 s31, vcc_lo
	s_cbranch_execz .LBB4_6130
; %bb.6123:                             ;   in Loop: Header=BB4_5753 Depth=3
	v_mov_b32_e32 v83, 0
	s_mov_b32 s34, exec_lo
	v_cmpx_ne_u32_e32 0, v150
	s_cbranch_execz .LBB4_6129
; %bb.6124:                             ;   in Loop: Header=BB4_5753 Depth=3
	v_bfe_u32 v83, v150, 23, 8
	s_delay_alu instid0(VALU_DEP_1) | instskip(SKIP_1) | instid1(VALU_DEP_2)
	v_sub_nc_u32_e32 v161, 0x78, v83
	v_cmp_gt_u32_e32 vcc_lo, 0x79, v83
	v_dual_cndmask_b32 v161, 0, v161 :: v_dual_and_b32 v84, 0x7fffff, v150
	s_delay_alu instid0(VALU_DEP_1) | instskip(SKIP_2) | instid1(VALU_DEP_4)
	v_or_b32_e32 v164, 0x800000, v84
	v_cmp_eq_u32_e32 vcc_lo, 0, v83
	v_add_nc_u32_e32 v83, 0xffffff89, v83
	v_cndmask_b32_e64 v161, v161, 0x77, vcc_lo
	s_delay_alu instid0(VALU_DEP_4) | instskip(NEXT) | instid1(VALU_DEP_3)
	v_cndmask_b32_e32 v84, v164, v84, vcc_lo
	v_cndmask_b32_e64 v83, v83, 0xffffff8a, vcc_lo
	s_delay_alu instid0(VALU_DEP_3) | instskip(NEXT) | instid1(VALU_DEP_3)
	v_lshl_add_u32 v164, 0x100000, v161, -1
	v_lshrrev_b32_e32 v167, v161, v84
	v_lshlrev_b32_e64 v178, v161, 0x80000
	s_delay_alu instid0(VALU_DEP_4) | instskip(NEXT) | instid1(VALU_DEP_4)
	v_add_nc_u32_e32 v161, v161, v83
	v_and_b32_e32 v84, v164, v84
	s_delay_alu instid0(VALU_DEP_4) | instskip(NEXT) | instid1(VALU_DEP_2)
	v_bfe_u32 v177, v167, 20, 1
	v_cmp_eq_u32_e64 s13, v84, v178
	s_delay_alu instid0(VALU_DEP_2) | instskip(NEXT) | instid1(VALU_DEP_1)
	v_add_nc_u32_e32 v164, -1, v177
	v_cndmask_b32_e64 v84, 0, v164, s13
	v_lshrrev_b32_e32 v164, 23, v167
	s_mov_b32 s13, exec_lo
	s_delay_alu instid0(VALU_DEP_2) | instskip(NEXT) | instid1(VALU_DEP_2)
	v_add_nc_u32_e32 v84, v84, v167
	v_xor_b32_e32 v164, 1, v164
	s_delay_alu instid0(VALU_DEP_2) | instskip(NEXT) | instid1(VALU_DEP_1)
	v_and_b32_e32 v83, 0xfffff, v84
	v_add_nc_u32_e32 v84, v83, v167
                                        ; implicit-def: $vgpr83
	s_delay_alu instid0(VALU_DEP_3)
	v_cmpx_ne_u32_e64 v161, v164
	s_xor_b32 s13, exec_lo, s13
; %bb.6125:                             ;   in Loop: Header=BB4_5753 Depth=3
	s_delay_alu instid0(VALU_DEP_2) | instskip(SKIP_2) | instid1(VALU_DEP_2)
	v_cmp_lt_u32_e32 vcc_lo, 0xffffff, v84
	v_sub_nc_u32_e32 v83, v161, v164
	v_cndmask_b32_e64 v161, 0, 1, vcc_lo
	v_add_co_ci_u32_e32 v83, vcc_lo, 0, v83, vcc_lo
	s_delay_alu instid0(VALU_DEP_2)
	v_lshrrev_b32_e32 v84, v161, v84
; %bb.6126:                             ;   in Loop: Header=BB4_5753 Depth=3
	s_and_not1_saveexec_b32 s13, s13
; %bb.6127:                             ;   in Loop: Header=BB4_5753 Depth=3
	s_delay_alu instid0(VALU_DEP_1)
	v_bfe_u32 v83, v84, 23, 1
; %bb.6128:                             ;   in Loop: Header=BB4_5753 Depth=3
	s_or_b32 exec_lo, exec_lo, s13
	v_lshrrev_b32_e32 v84, 20, v84
	s_delay_alu instid0(VALU_DEP_2) | instskip(SKIP_2) | instid1(VALU_DEP_2)
	v_cmp_gt_i32_e32 vcc_lo, 16, v83
	v_min_i32_e32 v161, 15, v83
	v_lshrrev_b32_e32 v150, 24, v150
	v_dual_cndmask_b32 v84, 7, v84 :: v_dual_lshlrev_b32 v161, 3, v161
	s_delay_alu instid0(VALU_DEP_1) | instskip(SKIP_1) | instid1(VALU_DEP_2)
	v_or_b32_e32 v83, v83, v84
	v_and_b32_e32 v164, 7, v84
	v_cmp_ne_u32_e32 vcc_lo, 0, v83
	v_and_b32_e32 v150, 0x80, v150
	s_delay_alu instid0(VALU_DEP_1) | instskip(NEXT) | instid1(VALU_DEP_1)
	v_or3_b32 v84, v161, v150, v164
	v_cndmask_b32_e32 v83, 0, v84, vcc_lo
.LBB4_6129:                             ;   in Loop: Header=BB4_5753 Depth=3
	s_or_b32 exec_lo, exec_lo, s34
.LBB4_6130:                             ;   in Loop: Header=BB4_5753 Depth=3
	s_delay_alu instid0(SALU_CYCLE_1) | instskip(NEXT) | instid1(SALU_CYCLE_1)
	s_or_b32 exec_lo, exec_lo, s31
	s_and_not1_b32 vcc_lo, exec_lo, s17
	s_cbranch_vccnz .LBB4_6140
; %bb.6131:                             ;   in Loop: Header=BB4_5753 Depth=3
	v_and_b32_e32 v150, 0xff, v81
	s_mov_b32 s13, 0
	s_mov_b32 s34, exec_lo
                                        ; implicit-def: $sgpr31
	s_delay_alu instid0(VALU_DEP_1)
	v_cmpx_lt_i16_e64 0x7f, v150
	s_xor_b32 s34, exec_lo, s34
	s_cbranch_execnz .LBB4_6423
; %bb.6132:                             ;   in Loop: Header=BB4_5753 Depth=3
	s_or_saveexec_b32 s34, s34
	v_mov_b32_e32 v84, s31
	s_xor_b32 exec_lo, exec_lo, s34
	s_cbranch_execnz .LBB4_6426
.LBB4_6133:                             ;   in Loop: Header=BB4_5753 Depth=3
	s_or_b32 exec_lo, exec_lo, s34
	s_and_saveexec_b32 s31, s13
	s_cbranch_execz .LBB4_6135
.LBB4_6134:                             ;   in Loop: Header=BB4_5753 Depth=3
	v_and_b32_e32 v84, 7, v81
	v_lshrrev_b16 v164, 3, v81
	v_lshlrev_b32_e32 v167, 24, v81
	s_delay_alu instid0(VALU_DEP_3) | instskip(NEXT) | instid1(VALU_DEP_3)
	v_clz_i32_u32_e32 v150, v84
	v_and_b32_e32 v164, 15, v164
	s_delay_alu instid0(VALU_DEP_2) | instskip(NEXT) | instid1(VALU_DEP_2)
	v_min_u32_e32 v150, 32, v150
	v_cmp_eq_u32_e32 vcc_lo, 0, v164
	s_delay_alu instid0(VALU_DEP_2) | instskip(SKIP_1) | instid1(VALU_DEP_1)
	v_subrev_nc_u32_e32 v161, 28, v150
	v_sub_nc_u32_e32 v150, 29, v150
	v_dual_cndmask_b32 v150, v164, v150 :: v_dual_lshlrev_b32 v161, v161, v81
	s_delay_alu instid0(VALU_DEP_1) | instskip(NEXT) | instid1(VALU_DEP_2)
	v_and_b32_e32 v161, 7, v161
	v_lshl_add_u32 v150, v150, 23, 0x3b800000
	s_delay_alu instid0(VALU_DEP_2) | instskip(NEXT) | instid1(VALU_DEP_1)
	v_dual_cndmask_b32 v84, v84, v161 :: v_dual_and_b32 v161, 0x80000000, v167
	v_lshlrev_b32_e32 v84, 20, v84
	s_delay_alu instid0(VALU_DEP_1)
	v_or3_b32 v84, v161, v150, v84
.LBB4_6135:                             ;   in Loop: Header=BB4_5753 Depth=3
	s_or_b32 exec_lo, exec_lo, s31
	s_waitcnt vmcnt(2) lgkmcnt(2)
	v_and_b32_e32 v161, 0xff, v80
	s_mov_b32 s13, 0
	s_mov_b32 s34, exec_lo
                                        ; implicit-def: $sgpr31
	s_delay_alu instid0(VALU_DEP_1)
	v_cmpx_lt_i16_e64 0x7f, v161
	s_xor_b32 s34, exec_lo, s34
	s_cbranch_execnz .LBB4_6427
; %bb.6136:                             ;   in Loop: Header=BB4_5753 Depth=3
	s_or_saveexec_b32 s34, s34
	v_mov_b32_e32 v150, s31
	s_xor_b32 exec_lo, exec_lo, s34
	s_cbranch_execnz .LBB4_6430
.LBB4_6137:                             ;   in Loop: Header=BB4_5753 Depth=3
	s_or_b32 exec_lo, exec_lo, s34
	s_and_saveexec_b32 s31, s13
	s_cbranch_execz .LBB4_6139
.LBB4_6138:                             ;   in Loop: Header=BB4_5753 Depth=3
	v_lshrrev_b16 v167, 3, v80
	v_lshlrev_b32_e32 v177, 24, v80
	s_delay_alu instid0(VALU_DEP_2) | instskip(NEXT) | instid1(VALU_DEP_1)
	v_and_b32_e32 v167, 15, v167
	v_cmp_eq_u32_e32 vcc_lo, 0, v167
	v_and_b32_e32 v150, 7, v80
	s_delay_alu instid0(VALU_DEP_1) | instskip(NEXT) | instid1(VALU_DEP_1)
	v_clz_i32_u32_e32 v161, v150
	v_min_u32_e32 v161, 32, v161
	s_delay_alu instid0(VALU_DEP_1) | instskip(SKIP_1) | instid1(VALU_DEP_1)
	v_subrev_nc_u32_e32 v164, 28, v161
	v_sub_nc_u32_e32 v161, 29, v161
	v_dual_cndmask_b32 v161, v167, v161 :: v_dual_lshlrev_b32 v164, v164, v80
	s_delay_alu instid0(VALU_DEP_1) | instskip(NEXT) | instid1(VALU_DEP_2)
	v_and_b32_e32 v164, 7, v164
	v_lshl_add_u32 v161, v161, 23, 0x3b800000
	s_delay_alu instid0(VALU_DEP_2) | instskip(SKIP_1) | instid1(VALU_DEP_2)
	v_cndmask_b32_e32 v150, v150, v164, vcc_lo
	v_and_b32_e32 v164, 0x80000000, v177
	v_lshlrev_b32_e32 v150, 20, v150
	s_delay_alu instid0(VALU_DEP_1)
	v_or3_b32 v150, v164, v161, v150
.LBB4_6139:                             ;   in Loop: Header=BB4_5753 Depth=3
	s_or_b32 exec_lo, exec_lo, s31
	s_delay_alu instid0(VALU_DEP_1) | instskip(SKIP_2) | instid1(VALU_DEP_1)
	v_max_f32_e32 v150, v150, v150
	v_max_f32_e32 v84, v84, v84
	s_mov_b32 s13, 0
	v_max_f32_e32 v84, v84, v150
	s_branch .LBB4_6141
.LBB4_6140:                             ;   in Loop: Header=BB4_5753 Depth=3
	s_mov_b32 s13, -1
                                        ; implicit-def: $vgpr84
.LBB4_6141:                             ;   in Loop: Header=BB4_5753 Depth=3
	s_delay_alu instid0(SALU_CYCLE_1)
	s_and_b32 vcc_lo, exec_lo, s13
	s_cbranch_vccz .LBB4_6151
; %bb.6142:                             ;   in Loop: Header=BB4_5753 Depth=3
	v_and_b32_e32 v150, 0xff, v81
	s_mov_b32 s13, 0
	s_mov_b32 s34, exec_lo
                                        ; implicit-def: $sgpr31
	s_delay_alu instid0(VALU_DEP_1)
	v_cmpx_lt_i16_e64 0x7f, v150
	s_xor_b32 s34, exec_lo, s34
	s_cbranch_execnz .LBB4_6431
; %bb.6143:                             ;   in Loop: Header=BB4_5753 Depth=3
	s_or_saveexec_b32 s34, s34
	v_mov_b32_e32 v84, s31
	s_xor_b32 exec_lo, exec_lo, s34
	s_cbranch_execnz .LBB4_6434
.LBB4_6144:                             ;   in Loop: Header=BB4_5753 Depth=3
	s_or_b32 exec_lo, exec_lo, s34
	s_and_saveexec_b32 s31, s13
	s_cbranch_execz .LBB4_6146
.LBB4_6145:                             ;   in Loop: Header=BB4_5753 Depth=3
	v_and_b32_e32 v84, 7, v81
	v_lshrrev_b16 v164, 3, v81
	s_delay_alu instid0(VALU_DEP_2) | instskip(NEXT) | instid1(VALU_DEP_2)
	v_clz_i32_u32_e32 v150, v84
	v_and_b32_e32 v164, 15, v164
	s_delay_alu instid0(VALU_DEP_2) | instskip(NEXT) | instid1(VALU_DEP_2)
	v_min_u32_e32 v150, 32, v150
	v_cmp_eq_u32_e32 vcc_lo, 0, v164
	s_delay_alu instid0(VALU_DEP_2) | instskip(SKIP_1) | instid1(VALU_DEP_1)
	v_subrev_nc_u32_e32 v161, 28, v150
	v_sub_nc_u32_e32 v150, 29, v150
	v_dual_cndmask_b32 v150, v164, v150 :: v_dual_lshlrev_b32 v161, v161, v81
	v_lshlrev_b32_e32 v81, 24, v81
	s_delay_alu instid0(VALU_DEP_2) | instskip(NEXT) | instid1(VALU_DEP_3)
	v_and_b32_e32 v161, 7, v161
	v_lshl_add_u32 v150, v150, 23, 0x3b800000
	s_delay_alu instid0(VALU_DEP_3) | instskip(NEXT) | instid1(VALU_DEP_3)
	v_and_b32_e32 v81, 0x80000000, v81
	v_cndmask_b32_e32 v84, v84, v161, vcc_lo
	s_delay_alu instid0(VALU_DEP_1) | instskip(NEXT) | instid1(VALU_DEP_1)
	v_lshlrev_b32_e32 v84, 20, v84
	v_or3_b32 v84, v81, v150, v84
.LBB4_6146:                             ;   in Loop: Header=BB4_5753 Depth=3
	s_or_b32 exec_lo, exec_lo, s31
	s_waitcnt vmcnt(2) lgkmcnt(2)
	v_and_b32_e32 v150, 0xff, v80
	s_mov_b32 s13, 0
	s_mov_b32 s34, exec_lo
                                        ; implicit-def: $sgpr31
	s_delay_alu instid0(VALU_DEP_1)
	v_cmpx_lt_i16_e64 0x7f, v150
	s_xor_b32 s34, exec_lo, s34
	s_cbranch_execnz .LBB4_6435
; %bb.6147:                             ;   in Loop: Header=BB4_5753 Depth=3
	s_or_saveexec_b32 s34, s34
	v_mov_b32_e32 v81, s31
	s_xor_b32 exec_lo, exec_lo, s34
	s_cbranch_execnz .LBB4_6438
.LBB4_6148:                             ;   in Loop: Header=BB4_5753 Depth=3
	s_or_b32 exec_lo, exec_lo, s34
	s_and_saveexec_b32 s31, s13
	s_cbranch_execz .LBB4_6150
.LBB4_6149:                             ;   in Loop: Header=BB4_5753 Depth=3
	v_lshrrev_b16 v164, 3, v80
	s_delay_alu instid0(VALU_DEP_1) | instskip(NEXT) | instid1(VALU_DEP_1)
	v_and_b32_e32 v164, 15, v164
	v_cmp_eq_u32_e32 vcc_lo, 0, v164
	v_and_b32_e32 v81, 7, v80
	s_delay_alu instid0(VALU_DEP_1) | instskip(NEXT) | instid1(VALU_DEP_1)
	v_clz_i32_u32_e32 v150, v81
	v_min_u32_e32 v150, 32, v150
	s_delay_alu instid0(VALU_DEP_1) | instskip(SKIP_1) | instid1(VALU_DEP_1)
	v_subrev_nc_u32_e32 v161, 28, v150
	v_sub_nc_u32_e32 v150, 29, v150
	v_dual_cndmask_b32 v150, v164, v150 :: v_dual_lshlrev_b32 v161, v161, v80
	v_lshlrev_b32_e32 v80, 24, v80
	s_delay_alu instid0(VALU_DEP_2) | instskip(NEXT) | instid1(VALU_DEP_3)
	v_and_b32_e32 v161, 7, v161
	v_lshl_add_u32 v150, v150, 23, 0x3b800000
	s_delay_alu instid0(VALU_DEP_2) | instskip(NEXT) | instid1(VALU_DEP_1)
	v_dual_cndmask_b32 v81, v81, v161 :: v_dual_and_b32 v80, 0x80000000, v80
	v_lshlrev_b32_e32 v81, 20, v81
	s_delay_alu instid0(VALU_DEP_1)
	v_or3_b32 v81, v80, v150, v81
.LBB4_6150:                             ;   in Loop: Header=BB4_5753 Depth=3
	s_or_b32 exec_lo, exec_lo, s31
	s_delay_alu instid0(VALU_DEP_1) | instskip(NEXT) | instid1(VALU_DEP_1)
	v_dual_max_f32 v80, v81, v81 :: v_dual_max_f32 v81, v84, v84
	v_min_f32_e32 v84, v81, v80
.LBB4_6151:                             ;   in Loop: Header=BB4_5753 Depth=3
	s_waitcnt vmcnt(2) lgkmcnt(2)
	s_delay_alu instid0(VALU_DEP_1) | instskip(NEXT) | instid1(VALU_DEP_1)
	v_and_b32_e32 v80, 0x7f800000, v84
	v_cmp_ne_u32_e32 vcc_lo, 0x7f800000, v80
	v_mov_b32_e32 v80, 0x80
	s_and_saveexec_b32 s31, vcc_lo
	s_cbranch_execz .LBB4_6159
; %bb.6152:                             ;   in Loop: Header=BB4_5753 Depth=3
	v_mov_b32_e32 v80, 0
	s_mov_b32 s34, exec_lo
	v_cmpx_ne_u32_e32 0, v84
	s_cbranch_execz .LBB4_6158
; %bb.6153:                             ;   in Loop: Header=BB4_5753 Depth=3
	v_bfe_u32 v80, v84, 23, 8
	s_delay_alu instid0(VALU_DEP_1) | instskip(SKIP_1) | instid1(VALU_DEP_2)
	v_sub_nc_u32_e32 v150, 0x78, v80
	v_cmp_gt_u32_e32 vcc_lo, 0x79, v80
	v_dual_cndmask_b32 v150, 0, v150 :: v_dual_and_b32 v81, 0x7fffff, v84
	s_delay_alu instid0(VALU_DEP_1) | instskip(SKIP_2) | instid1(VALU_DEP_4)
	v_or_b32_e32 v161, 0x800000, v81
	v_cmp_eq_u32_e32 vcc_lo, 0, v80
	v_add_nc_u32_e32 v80, 0xffffff89, v80
	v_cndmask_b32_e64 v150, v150, 0x77, vcc_lo
	s_delay_alu instid0(VALU_DEP_4) | instskip(NEXT) | instid1(VALU_DEP_3)
	v_cndmask_b32_e32 v81, v161, v81, vcc_lo
	v_cndmask_b32_e64 v80, v80, 0xffffff8a, vcc_lo
	s_delay_alu instid0(VALU_DEP_3) | instskip(NEXT) | instid1(VALU_DEP_3)
	v_lshl_add_u32 v161, 0x100000, v150, -1
	v_lshrrev_b32_e32 v164, v150, v81
	v_lshlrev_b32_e64 v177, v150, 0x80000
	s_delay_alu instid0(VALU_DEP_4) | instskip(NEXT) | instid1(VALU_DEP_4)
	v_add_nc_u32_e32 v150, v150, v80
	v_and_b32_e32 v81, v161, v81
	s_delay_alu instid0(VALU_DEP_4) | instskip(NEXT) | instid1(VALU_DEP_2)
	v_bfe_u32 v167, v164, 20, 1
	v_cmp_eq_u32_e64 s13, v81, v177
	s_delay_alu instid0(VALU_DEP_2) | instskip(NEXT) | instid1(VALU_DEP_1)
	v_add_nc_u32_e32 v161, -1, v167
	v_cndmask_b32_e64 v81, 0, v161, s13
	v_lshrrev_b32_e32 v161, 23, v164
	s_mov_b32 s13, exec_lo
	s_delay_alu instid0(VALU_DEP_2) | instskip(NEXT) | instid1(VALU_DEP_2)
	v_add_nc_u32_e32 v81, v81, v164
	v_xor_b32_e32 v161, 1, v161
	s_delay_alu instid0(VALU_DEP_2) | instskip(NEXT) | instid1(VALU_DEP_1)
	v_and_b32_e32 v80, 0xfffff, v81
	v_add_nc_u32_e32 v81, v80, v164
                                        ; implicit-def: $vgpr80
	s_delay_alu instid0(VALU_DEP_3)
	v_cmpx_ne_u32_e64 v150, v161
	s_xor_b32 s13, exec_lo, s13
; %bb.6154:                             ;   in Loop: Header=BB4_5753 Depth=3
	s_delay_alu instid0(VALU_DEP_2) | instskip(SKIP_2) | instid1(VALU_DEP_2)
	v_cmp_lt_u32_e32 vcc_lo, 0xffffff, v81
	v_sub_nc_u32_e32 v80, v150, v161
	v_cndmask_b32_e64 v150, 0, 1, vcc_lo
	v_add_co_ci_u32_e32 v80, vcc_lo, 0, v80, vcc_lo
	s_delay_alu instid0(VALU_DEP_2)
	v_lshrrev_b32_e32 v81, v150, v81
; %bb.6155:                             ;   in Loop: Header=BB4_5753 Depth=3
	s_and_not1_saveexec_b32 s13, s13
; %bb.6156:                             ;   in Loop: Header=BB4_5753 Depth=3
	s_delay_alu instid0(VALU_DEP_1)
	v_bfe_u32 v80, v81, 23, 1
; %bb.6157:                             ;   in Loop: Header=BB4_5753 Depth=3
	s_or_b32 exec_lo, exec_lo, s13
	v_lshrrev_b32_e32 v81, 20, v81
	s_delay_alu instid0(VALU_DEP_2) | instskip(SKIP_2) | instid1(VALU_DEP_2)
	v_cmp_gt_i32_e32 vcc_lo, 16, v80
	v_lshrrev_b32_e32 v84, 24, v84
	v_min_i32_e32 v150, 15, v80
	v_dual_cndmask_b32 v81, 7, v81 :: v_dual_and_b32 v84, 0x80, v84
	s_delay_alu instid0(VALU_DEP_2) | instskip(NEXT) | instid1(VALU_DEP_2)
	v_lshlrev_b32_e32 v150, 3, v150
	v_and_b32_e32 v161, 7, v81
	v_or_b32_e32 v80, v80, v81
	s_delay_alu instid0(VALU_DEP_2) | instskip(NEXT) | instid1(VALU_DEP_2)
	v_or3_b32 v81, v150, v84, v161
	v_cmp_ne_u32_e32 vcc_lo, 0, v80
	s_delay_alu instid0(VALU_DEP_2)
	v_cndmask_b32_e32 v80, 0, v81, vcc_lo
.LBB4_6158:                             ;   in Loop: Header=BB4_5753 Depth=3
	s_or_b32 exec_lo, exec_lo, s34
.LBB4_6159:                             ;   in Loop: Header=BB4_5753 Depth=3
	s_delay_alu instid0(SALU_CYCLE_1) | instskip(NEXT) | instid1(SALU_CYCLE_1)
	s_or_b32 exec_lo, exec_lo, s31
	s_and_not1_b32 vcc_lo, exec_lo, s17
	s_cbranch_vccnz .LBB4_6169
; %bb.6160:                             ;   in Loop: Header=BB4_5753 Depth=3
	v_and_b32_e32 v84, 0xff, v69
	s_mov_b32 s13, 0
	s_mov_b32 s34, exec_lo
                                        ; implicit-def: $sgpr31
	s_delay_alu instid0(VALU_DEP_1)
	v_cmpx_lt_i16_e32 0x7f, v84
	s_xor_b32 s34, exec_lo, s34
	s_cbranch_execnz .LBB4_6439
; %bb.6161:                             ;   in Loop: Header=BB4_5753 Depth=3
	s_or_saveexec_b32 s34, s34
	v_mov_b32_e32 v81, s31
	s_xor_b32 exec_lo, exec_lo, s34
	s_cbranch_execnz .LBB4_6442
.LBB4_6162:                             ;   in Loop: Header=BB4_5753 Depth=3
	s_or_b32 exec_lo, exec_lo, s34
	s_and_saveexec_b32 s31, s13
	s_cbranch_execz .LBB4_6164
.LBB4_6163:                             ;   in Loop: Header=BB4_5753 Depth=3
	v_lshrrev_b16 v161, 3, v69
	s_delay_alu instid0(VALU_DEP_1) | instskip(NEXT) | instid1(VALU_DEP_1)
	v_and_b32_e32 v161, 15, v161
	v_cmp_eq_u32_e32 vcc_lo, 0, v161
	v_and_b32_e32 v81, 7, v69
	s_delay_alu instid0(VALU_DEP_1) | instskip(NEXT) | instid1(VALU_DEP_1)
	v_clz_i32_u32_e32 v84, v81
	v_min_u32_e32 v84, 32, v84
	s_delay_alu instid0(VALU_DEP_1) | instskip(SKIP_1) | instid1(VALU_DEP_2)
	v_subrev_nc_u32_e32 v150, 28, v84
	v_sub_nc_u32_e32 v84, 29, v84
	v_lshlrev_b32_e32 v150, v150, v69
	s_delay_alu instid0(VALU_DEP_2) | instskip(NEXT) | instid1(VALU_DEP_2)
	v_cndmask_b32_e32 v84, v161, v84, vcc_lo
	v_and_b32_e32 v150, 7, v150
	v_lshlrev_b32_e32 v164, 24, v69
	s_delay_alu instid0(VALU_DEP_3) | instskip(NEXT) | instid1(VALU_DEP_2)
	v_lshl_add_u32 v84, v84, 23, 0x3b800000
	v_dual_cndmask_b32 v81, v81, v150 :: v_dual_and_b32 v150, 0x80000000, v164
	s_delay_alu instid0(VALU_DEP_1) | instskip(NEXT) | instid1(VALU_DEP_1)
	v_lshlrev_b32_e32 v81, 20, v81
	v_or3_b32 v81, v150, v84, v81
.LBB4_6164:                             ;   in Loop: Header=BB4_5753 Depth=3
	s_or_b32 exec_lo, exec_lo, s31
	s_waitcnt vmcnt(1) lgkmcnt(1)
	v_and_b32_e32 v150, 0xff, v23
	s_mov_b32 s13, 0
	s_mov_b32 s34, exec_lo
                                        ; implicit-def: $sgpr31
	s_delay_alu instid0(VALU_DEP_1)
	v_cmpx_lt_i16_e64 0x7f, v150
	s_xor_b32 s34, exec_lo, s34
	s_cbranch_execnz .LBB4_6443
; %bb.6165:                             ;   in Loop: Header=BB4_5753 Depth=3
	s_or_saveexec_b32 s34, s34
	v_mov_b32_e32 v84, s31
	s_xor_b32 exec_lo, exec_lo, s34
	s_cbranch_execnz .LBB4_6446
.LBB4_6166:                             ;   in Loop: Header=BB4_5753 Depth=3
	s_or_b32 exec_lo, exec_lo, s34
	s_and_saveexec_b32 s31, s13
	s_cbranch_execz .LBB4_6168
.LBB4_6167:                             ;   in Loop: Header=BB4_5753 Depth=3
	v_and_b32_e32 v84, 7, v23
	v_lshrrev_b16 v164, 3, v23
	s_delay_alu instid0(VALU_DEP_2) | instskip(NEXT) | instid1(VALU_DEP_2)
	v_clz_i32_u32_e32 v150, v84
	v_and_b32_e32 v164, 15, v164
	s_delay_alu instid0(VALU_DEP_2) | instskip(NEXT) | instid1(VALU_DEP_2)
	v_min_u32_e32 v150, 32, v150
	v_cmp_eq_u32_e32 vcc_lo, 0, v164
	s_delay_alu instid0(VALU_DEP_2) | instskip(SKIP_1) | instid1(VALU_DEP_1)
	v_subrev_nc_u32_e32 v161, 28, v150
	v_sub_nc_u32_e32 v150, 29, v150
	v_dual_cndmask_b32 v150, v164, v150 :: v_dual_lshlrev_b32 v161, v161, v23
	s_delay_alu instid0(VALU_DEP_1) | instskip(SKIP_1) | instid1(VALU_DEP_3)
	v_and_b32_e32 v161, 7, v161
	v_lshlrev_b32_e32 v167, 24, v23
	v_lshl_add_u32 v150, v150, 23, 0x3b800000
	s_delay_alu instid0(VALU_DEP_2) | instskip(NEXT) | instid1(VALU_DEP_1)
	v_dual_cndmask_b32 v84, v84, v161 :: v_dual_and_b32 v161, 0x80000000, v167
	v_lshlrev_b32_e32 v84, 20, v84
	s_delay_alu instid0(VALU_DEP_1)
	v_or3_b32 v84, v161, v150, v84
.LBB4_6168:                             ;   in Loop: Header=BB4_5753 Depth=3
	s_or_b32 exec_lo, exec_lo, s31
	s_delay_alu instid0(VALU_DEP_1) | instskip(SKIP_1) | instid1(VALU_DEP_1)
	v_dual_max_f32 v84, v84, v84 :: v_dual_max_f32 v81, v81, v81
	s_mov_b32 s13, 0
	v_max_f32_e32 v81, v81, v84
	s_branch .LBB4_6170
.LBB4_6169:                             ;   in Loop: Header=BB4_5753 Depth=3
	s_mov_b32 s13, -1
                                        ; implicit-def: $vgpr81
.LBB4_6170:                             ;   in Loop: Header=BB4_5753 Depth=3
	s_delay_alu instid0(SALU_CYCLE_1)
	s_and_b32 vcc_lo, exec_lo, s13
	s_cbranch_vccz .LBB4_6180
; %bb.6171:                             ;   in Loop: Header=BB4_5753 Depth=3
	v_and_b32_e32 v84, 0xff, v69
	s_mov_b32 s13, 0
	s_mov_b32 s34, exec_lo
                                        ; implicit-def: $sgpr31
	s_delay_alu instid0(VALU_DEP_1)
	v_cmpx_lt_i16_e32 0x7f, v84
	s_xor_b32 s34, exec_lo, s34
	s_cbranch_execnz .LBB4_6447
; %bb.6172:                             ;   in Loop: Header=BB4_5753 Depth=3
	s_or_saveexec_b32 s34, s34
	v_mov_b32_e32 v81, s31
	s_xor_b32 exec_lo, exec_lo, s34
	s_cbranch_execnz .LBB4_6450
.LBB4_6173:                             ;   in Loop: Header=BB4_5753 Depth=3
	s_or_b32 exec_lo, exec_lo, s34
	s_and_saveexec_b32 s31, s13
	s_cbranch_execz .LBB4_6175
.LBB4_6174:                             ;   in Loop: Header=BB4_5753 Depth=3
	v_lshrrev_b16 v161, 3, v69
	s_delay_alu instid0(VALU_DEP_1) | instskip(NEXT) | instid1(VALU_DEP_1)
	v_and_b32_e32 v161, 15, v161
	v_cmp_eq_u32_e32 vcc_lo, 0, v161
	v_and_b32_e32 v81, 7, v69
	s_delay_alu instid0(VALU_DEP_1) | instskip(NEXT) | instid1(VALU_DEP_1)
	v_clz_i32_u32_e32 v84, v81
	v_min_u32_e32 v84, 32, v84
	s_delay_alu instid0(VALU_DEP_1) | instskip(SKIP_1) | instid1(VALU_DEP_2)
	v_subrev_nc_u32_e32 v150, 28, v84
	v_sub_nc_u32_e32 v84, 29, v84
	v_lshlrev_b32_e32 v150, v150, v69
	s_delay_alu instid0(VALU_DEP_2) | instskip(NEXT) | instid1(VALU_DEP_2)
	v_dual_cndmask_b32 v84, v161, v84 :: v_dual_lshlrev_b32 v69, 24, v69
	v_and_b32_e32 v150, 7, v150
	s_delay_alu instid0(VALU_DEP_2) | instskip(NEXT) | instid1(VALU_DEP_3)
	v_lshl_add_u32 v84, v84, 23, 0x3b800000
	v_and_b32_e32 v69, 0x80000000, v69
	s_delay_alu instid0(VALU_DEP_3) | instskip(NEXT) | instid1(VALU_DEP_1)
	v_cndmask_b32_e32 v81, v81, v150, vcc_lo
	v_lshlrev_b32_e32 v81, 20, v81
	s_delay_alu instid0(VALU_DEP_1)
	v_or3_b32 v81, v69, v84, v81
.LBB4_6175:                             ;   in Loop: Header=BB4_5753 Depth=3
	s_or_b32 exec_lo, exec_lo, s31
	s_waitcnt vmcnt(1) lgkmcnt(1)
	v_and_b32_e32 v84, 0xff, v23
	s_mov_b32 s13, 0
	s_mov_b32 s34, exec_lo
                                        ; implicit-def: $sgpr31
	s_delay_alu instid0(VALU_DEP_1)
	v_cmpx_lt_i16_e32 0x7f, v84
	s_xor_b32 s34, exec_lo, s34
	s_cbranch_execnz .LBB4_6451
; %bb.6176:                             ;   in Loop: Header=BB4_5753 Depth=3
	s_or_saveexec_b32 s34, s34
	v_mov_b32_e32 v69, s31
	s_xor_b32 exec_lo, exec_lo, s34
	s_cbranch_execnz .LBB4_6454
.LBB4_6177:                             ;   in Loop: Header=BB4_5753 Depth=3
	s_or_b32 exec_lo, exec_lo, s34
	s_and_saveexec_b32 s31, s13
	s_cbranch_execz .LBB4_6179
.LBB4_6178:                             ;   in Loop: Header=BB4_5753 Depth=3
	v_lshrrev_b16 v161, 3, v23
	s_delay_alu instid0(VALU_DEP_1) | instskip(NEXT) | instid1(VALU_DEP_1)
	v_and_b32_e32 v161, 15, v161
	v_cmp_eq_u32_e32 vcc_lo, 0, v161
	v_and_b32_e32 v69, 7, v23
	s_delay_alu instid0(VALU_DEP_1) | instskip(NEXT) | instid1(VALU_DEP_1)
	v_clz_i32_u32_e32 v84, v69
	v_min_u32_e32 v84, 32, v84
	s_delay_alu instid0(VALU_DEP_1) | instskip(SKIP_1) | instid1(VALU_DEP_2)
	v_subrev_nc_u32_e32 v150, 28, v84
	v_sub_nc_u32_e32 v84, 29, v84
	v_lshlrev_b32_e32 v150, v150, v23
	s_delay_alu instid0(VALU_DEP_2) | instskip(NEXT) | instid1(VALU_DEP_2)
	v_dual_cndmask_b32 v84, v161, v84 :: v_dual_lshlrev_b32 v23, 24, v23
	v_and_b32_e32 v150, 7, v150
	s_delay_alu instid0(VALU_DEP_2) | instskip(NEXT) | instid1(VALU_DEP_3)
	v_lshl_add_u32 v84, v84, 23, 0x3b800000
	v_and_b32_e32 v23, 0x80000000, v23
	s_delay_alu instid0(VALU_DEP_3) | instskip(NEXT) | instid1(VALU_DEP_1)
	v_cndmask_b32_e32 v69, v69, v150, vcc_lo
	v_lshlrev_b32_e32 v69, 20, v69
	s_delay_alu instid0(VALU_DEP_1)
	v_or3_b32 v69, v23, v84, v69
.LBB4_6179:                             ;   in Loop: Header=BB4_5753 Depth=3
	s_or_b32 exec_lo, exec_lo, s31
	s_delay_alu instid0(VALU_DEP_1) | instskip(SKIP_1) | instid1(VALU_DEP_1)
	v_max_f32_e32 v23, v69, v69
	v_max_f32_e32 v69, v81, v81
	v_min_f32_e32 v81, v69, v23
.LBB4_6180:                             ;   in Loop: Header=BB4_5753 Depth=3
	s_waitcnt vmcnt(1) lgkmcnt(1)
	s_delay_alu instid0(VALU_DEP_1) | instskip(NEXT) | instid1(VALU_DEP_1)
	v_and_b32_e32 v23, 0x7f800000, v81
	v_cmp_ne_u32_e32 vcc_lo, 0x7f800000, v23
	v_mov_b32_e32 v23, 0x80
	s_and_saveexec_b32 s31, vcc_lo
	s_cbranch_execz .LBB4_6188
; %bb.6181:                             ;   in Loop: Header=BB4_5753 Depth=3
	v_mov_b32_e32 v23, 0
	s_mov_b32 s34, exec_lo
	v_cmpx_ne_u32_e32 0, v81
	s_cbranch_execz .LBB4_6187
; %bb.6182:                             ;   in Loop: Header=BB4_5753 Depth=3
	v_bfe_u32 v23, v81, 23, 8
	s_delay_alu instid0(VALU_DEP_1) | instskip(SKIP_1) | instid1(VALU_DEP_2)
	v_sub_nc_u32_e32 v84, 0x78, v23
	v_cmp_gt_u32_e32 vcc_lo, 0x79, v23
	v_dual_cndmask_b32 v84, 0, v84 :: v_dual_and_b32 v69, 0x7fffff, v81
	s_delay_alu instid0(VALU_DEP_1) | instskip(SKIP_2) | instid1(VALU_DEP_4)
	v_or_b32_e32 v150, 0x800000, v69
	v_cmp_eq_u32_e32 vcc_lo, 0, v23
	v_add_nc_u32_e32 v23, 0xffffff89, v23
	v_cndmask_b32_e64 v84, v84, 0x77, vcc_lo
	s_delay_alu instid0(VALU_DEP_4) | instskip(NEXT) | instid1(VALU_DEP_3)
	v_cndmask_b32_e32 v69, v150, v69, vcc_lo
	v_cndmask_b32_e64 v23, v23, 0xffffff8a, vcc_lo
	s_delay_alu instid0(VALU_DEP_3) | instskip(NEXT) | instid1(VALU_DEP_3)
	v_lshl_add_u32 v150, 0x100000, v84, -1
	v_lshrrev_b32_e32 v161, v84, v69
	v_lshlrev_b32_e64 v167, v84, 0x80000
	s_delay_alu instid0(VALU_DEP_4) | instskip(NEXT) | instid1(VALU_DEP_4)
	v_add_nc_u32_e32 v84, v84, v23
	v_and_b32_e32 v69, v150, v69
	s_delay_alu instid0(VALU_DEP_4) | instskip(NEXT) | instid1(VALU_DEP_2)
	v_bfe_u32 v164, v161, 20, 1
	v_cmp_eq_u32_e64 s13, v69, v167
	s_delay_alu instid0(VALU_DEP_2) | instskip(NEXT) | instid1(VALU_DEP_1)
	v_add_nc_u32_e32 v150, -1, v164
	v_cndmask_b32_e64 v69, 0, v150, s13
	v_lshrrev_b32_e32 v150, 23, v161
	s_mov_b32 s13, exec_lo
	s_delay_alu instid0(VALU_DEP_2) | instskip(NEXT) | instid1(VALU_DEP_2)
	v_add_nc_u32_e32 v69, v69, v161
	v_xor_b32_e32 v150, 1, v150
	s_delay_alu instid0(VALU_DEP_2) | instskip(NEXT) | instid1(VALU_DEP_1)
	v_and_b32_e32 v23, 0xfffff, v69
	v_add_nc_u32_e32 v69, v23, v161
                                        ; implicit-def: $vgpr23
	s_delay_alu instid0(VALU_DEP_3)
	v_cmpx_ne_u32_e64 v84, v150
	s_xor_b32 s13, exec_lo, s13
; %bb.6183:                             ;   in Loop: Header=BB4_5753 Depth=3
	s_delay_alu instid0(VALU_DEP_2) | instskip(SKIP_2) | instid1(VALU_DEP_2)
	v_cmp_lt_u32_e32 vcc_lo, 0xffffff, v69
	v_sub_nc_u32_e32 v23, v84, v150
	v_cndmask_b32_e64 v84, 0, 1, vcc_lo
	v_add_co_ci_u32_e32 v23, vcc_lo, 0, v23, vcc_lo
	s_delay_alu instid0(VALU_DEP_2)
	v_lshrrev_b32_e32 v69, v84, v69
; %bb.6184:                             ;   in Loop: Header=BB4_5753 Depth=3
	s_and_not1_saveexec_b32 s13, s13
; %bb.6185:                             ;   in Loop: Header=BB4_5753 Depth=3
	s_delay_alu instid0(VALU_DEP_1)
	v_bfe_u32 v23, v69, 23, 1
; %bb.6186:                             ;   in Loop: Header=BB4_5753 Depth=3
	s_or_b32 exec_lo, exec_lo, s13
	v_lshrrev_b32_e32 v69, 20, v69
	s_delay_alu instid0(VALU_DEP_2) | instskip(SKIP_2) | instid1(VALU_DEP_4)
	v_cmp_gt_i32_e32 vcc_lo, 16, v23
	v_lshrrev_b32_e32 v81, 24, v81
	v_min_i32_e32 v84, 15, v23
	v_cndmask_b32_e32 v69, 7, v69, vcc_lo
	s_delay_alu instid0(VALU_DEP_3) | instskip(NEXT) | instid1(VALU_DEP_3)
	v_and_b32_e32 v81, 0x80, v81
	v_lshlrev_b32_e32 v84, 3, v84
	s_delay_alu instid0(VALU_DEP_3) | instskip(SKIP_1) | instid1(VALU_DEP_2)
	v_and_b32_e32 v150, 7, v69
	v_or_b32_e32 v23, v23, v69
	v_or3_b32 v69, v84, v81, v150
	s_delay_alu instid0(VALU_DEP_2) | instskip(NEXT) | instid1(VALU_DEP_2)
	v_cmp_ne_u32_e32 vcc_lo, 0, v23
	v_cndmask_b32_e32 v23, 0, v69, vcc_lo
.LBB4_6187:                             ;   in Loop: Header=BB4_5753 Depth=3
	s_or_b32 exec_lo, exec_lo, s34
.LBB4_6188:                             ;   in Loop: Header=BB4_5753 Depth=3
	s_delay_alu instid0(SALU_CYCLE_1) | instskip(NEXT) | instid1(SALU_CYCLE_1)
	s_or_b32 exec_lo, exec_lo, s31
	s_and_not1_b32 vcc_lo, exec_lo, s17
	s_cbranch_vccnz .LBB4_6198
; %bb.6189:                             ;   in Loop: Header=BB4_5753 Depth=3
	v_and_b32_e32 v81, 0xff, v21
	s_mov_b32 s13, 0
	s_mov_b32 s34, exec_lo
                                        ; implicit-def: $sgpr31
	s_delay_alu instid0(VALU_DEP_1)
	v_cmpx_lt_i16_e32 0x7f, v81
	s_xor_b32 s34, exec_lo, s34
	s_cbranch_execnz .LBB4_6455
; %bb.6190:                             ;   in Loop: Header=BB4_5753 Depth=3
	s_or_saveexec_b32 s34, s34
	v_mov_b32_e32 v69, s31
	s_xor_b32 exec_lo, exec_lo, s34
	s_cbranch_execnz .LBB4_6458
.LBB4_6191:                             ;   in Loop: Header=BB4_5753 Depth=3
	s_or_b32 exec_lo, exec_lo, s34
	s_and_saveexec_b32 s31, s13
	s_cbranch_execz .LBB4_6193
.LBB4_6192:                             ;   in Loop: Header=BB4_5753 Depth=3
	v_and_b32_e32 v69, 7, v21
	v_lshrrev_b16 v150, 3, v21
	v_lshlrev_b32_e32 v161, 24, v21
	s_delay_alu instid0(VALU_DEP_3) | instskip(NEXT) | instid1(VALU_DEP_1)
	v_clz_i32_u32_e32 v81, v69
	v_min_u32_e32 v81, 32, v81
	s_delay_alu instid0(VALU_DEP_1) | instskip(SKIP_1) | instid1(VALU_DEP_2)
	v_subrev_nc_u32_e32 v84, 28, v81
	v_sub_nc_u32_e32 v81, 29, v81
	v_lshlrev_b32_e32 v84, v84, v21
	s_delay_alu instid0(VALU_DEP_1) | instskip(SKIP_1) | instid1(VALU_DEP_1)
	v_and_b32_e32 v84, 7, v84
	v_and_b32_e32 v150, 15, v150
	v_cmp_eq_u32_e32 vcc_lo, 0, v150
	s_delay_alu instid0(VALU_DEP_3) | instskip(SKIP_2) | instid1(VALU_DEP_3)
	v_cndmask_b32_e32 v69, v69, v84, vcc_lo
	v_cndmask_b32_e32 v81, v150, v81, vcc_lo
	v_and_b32_e32 v84, 0x80000000, v161
	v_lshlrev_b32_e32 v69, 20, v69
	s_delay_alu instid0(VALU_DEP_3) | instskip(NEXT) | instid1(VALU_DEP_1)
	v_lshl_add_u32 v81, v81, 23, 0x3b800000
	v_or3_b32 v69, v84, v81, v69
.LBB4_6193:                             ;   in Loop: Header=BB4_5753 Depth=3
	s_or_b32 exec_lo, exec_lo, s31
	s_waitcnt vmcnt(0) lgkmcnt(0)
	v_and_b32_e32 v84, 0xff, v20
	s_mov_b32 s13, 0
	s_mov_b32 s34, exec_lo
                                        ; implicit-def: $sgpr31
	s_delay_alu instid0(VALU_DEP_1)
	v_cmpx_lt_i16_e32 0x7f, v84
	s_xor_b32 s34, exec_lo, s34
	s_cbranch_execnz .LBB4_6459
; %bb.6194:                             ;   in Loop: Header=BB4_5753 Depth=3
	s_or_saveexec_b32 s34, s34
	v_mov_b32_e32 v81, s31
	s_xor_b32 exec_lo, exec_lo, s34
	s_cbranch_execnz .LBB4_6462
.LBB4_6195:                             ;   in Loop: Header=BB4_5753 Depth=3
	s_or_b32 exec_lo, exec_lo, s34
	s_and_saveexec_b32 s31, s13
	s_cbranch_execz .LBB4_6197
.LBB4_6196:                             ;   in Loop: Header=BB4_5753 Depth=3
	v_and_b32_e32 v81, 7, v20
	v_lshrrev_b16 v161, 3, v20
	s_delay_alu instid0(VALU_DEP_2) | instskip(NEXT) | instid1(VALU_DEP_2)
	v_clz_i32_u32_e32 v84, v81
	v_and_b32_e32 v161, 15, v161
	s_delay_alu instid0(VALU_DEP_2) | instskip(NEXT) | instid1(VALU_DEP_2)
	v_min_u32_e32 v84, 32, v84
	v_cmp_eq_u32_e32 vcc_lo, 0, v161
	s_delay_alu instid0(VALU_DEP_2) | instskip(SKIP_1) | instid1(VALU_DEP_2)
	v_subrev_nc_u32_e32 v150, 28, v84
	v_sub_nc_u32_e32 v84, 29, v84
	v_lshlrev_b32_e32 v150, v150, v20
	s_delay_alu instid0(VALU_DEP_1) | instskip(NEXT) | instid1(VALU_DEP_1)
	v_and_b32_e32 v150, 7, v150
	v_dual_cndmask_b32 v81, v81, v150 :: v_dual_lshlrev_b32 v164, 24, v20
	s_delay_alu instid0(VALU_DEP_4) | instskip(NEXT) | instid1(VALU_DEP_2)
	v_cndmask_b32_e32 v84, v161, v84, vcc_lo
	v_and_b32_e32 v150, 0x80000000, v164
	s_delay_alu instid0(VALU_DEP_3) | instskip(NEXT) | instid1(VALU_DEP_3)
	v_lshlrev_b32_e32 v81, 20, v81
	v_lshl_add_u32 v84, v84, 23, 0x3b800000
	s_delay_alu instid0(VALU_DEP_1)
	v_or3_b32 v81, v150, v84, v81
.LBB4_6197:                             ;   in Loop: Header=BB4_5753 Depth=3
	s_or_b32 exec_lo, exec_lo, s31
	s_delay_alu instid0(VALU_DEP_1) | instskip(SKIP_2) | instid1(VALU_DEP_1)
	v_max_f32_e32 v81, v81, v81
	v_max_f32_e32 v69, v69, v69
	s_mov_b32 s13, 0
	v_max_f32_e32 v69, v69, v81
	s_branch .LBB4_6199
.LBB4_6198:                             ;   in Loop: Header=BB4_5753 Depth=3
	s_mov_b32 s13, -1
                                        ; implicit-def: $vgpr69
.LBB4_6199:                             ;   in Loop: Header=BB4_5753 Depth=3
	s_delay_alu instid0(SALU_CYCLE_1)
	s_and_b32 vcc_lo, exec_lo, s13
	s_cbranch_vccz .LBB4_6209
; %bb.6200:                             ;   in Loop: Header=BB4_5753 Depth=3
	v_and_b32_e32 v81, 0xff, v21
	s_mov_b32 s13, 0
	s_mov_b32 s34, exec_lo
                                        ; implicit-def: $sgpr31
	s_delay_alu instid0(VALU_DEP_1)
	v_cmpx_lt_i16_e32 0x7f, v81
	s_xor_b32 s34, exec_lo, s34
	s_cbranch_execnz .LBB4_6463
; %bb.6201:                             ;   in Loop: Header=BB4_5753 Depth=3
	s_or_saveexec_b32 s34, s34
	v_mov_b32_e32 v69, s31
	s_xor_b32 exec_lo, exec_lo, s34
	s_cbranch_execnz .LBB4_6466
.LBB4_6202:                             ;   in Loop: Header=BB4_5753 Depth=3
	s_or_b32 exec_lo, exec_lo, s34
	s_and_saveexec_b32 s31, s13
	s_cbranch_execz .LBB4_6204
.LBB4_6203:                             ;   in Loop: Header=BB4_5753 Depth=3
	v_and_b32_e32 v69, 7, v21
	v_lshrrev_b16 v150, 3, v21
	s_delay_alu instid0(VALU_DEP_2) | instskip(NEXT) | instid1(VALU_DEP_1)
	v_clz_i32_u32_e32 v81, v69
	v_min_u32_e32 v81, 32, v81
	s_delay_alu instid0(VALU_DEP_1) | instskip(SKIP_1) | instid1(VALU_DEP_2)
	v_subrev_nc_u32_e32 v84, 28, v81
	v_sub_nc_u32_e32 v81, 29, v81
	v_lshlrev_b32_e32 v84, v84, v21
	v_lshlrev_b32_e32 v21, 24, v21
	s_delay_alu instid0(VALU_DEP_2) | instskip(SKIP_1) | instid1(VALU_DEP_3)
	v_and_b32_e32 v84, 7, v84
	v_and_b32_e32 v150, 15, v150
	;; [unrolled: 1-line block ×3, first 2 shown]
	s_delay_alu instid0(VALU_DEP_2) | instskip(NEXT) | instid1(VALU_DEP_4)
	v_cmp_eq_u32_e32 vcc_lo, 0, v150
	v_cndmask_b32_e32 v69, v69, v84, vcc_lo
	v_cndmask_b32_e32 v81, v150, v81, vcc_lo
	s_delay_alu instid0(VALU_DEP_2) | instskip(NEXT) | instid1(VALU_DEP_2)
	v_lshlrev_b32_e32 v69, 20, v69
	v_lshl_add_u32 v81, v81, 23, 0x3b800000
	s_delay_alu instid0(VALU_DEP_1)
	v_or3_b32 v69, v21, v81, v69
.LBB4_6204:                             ;   in Loop: Header=BB4_5753 Depth=3
	s_or_b32 exec_lo, exec_lo, s31
	s_waitcnt vmcnt(0) lgkmcnt(0)
	v_and_b32_e32 v81, 0xff, v20
	s_mov_b32 s13, 0
	s_mov_b32 s34, exec_lo
                                        ; implicit-def: $sgpr31
	s_delay_alu instid0(VALU_DEP_1)
	v_cmpx_lt_i16_e32 0x7f, v81
	s_xor_b32 s34, exec_lo, s34
	s_cbranch_execnz .LBB4_6467
; %bb.6205:                             ;   in Loop: Header=BB4_5753 Depth=3
	s_or_saveexec_b32 s34, s34
	v_mov_b32_e32 v21, s31
	s_xor_b32 exec_lo, exec_lo, s34
	s_cbranch_execnz .LBB4_6470
.LBB4_6206:                             ;   in Loop: Header=BB4_5753 Depth=3
	s_or_b32 exec_lo, exec_lo, s34
	s_and_saveexec_b32 s31, s13
	s_cbranch_execz .LBB4_6208
.LBB4_6207:                             ;   in Loop: Header=BB4_5753 Depth=3
	v_and_b32_e32 v21, 7, v20
	v_lshrrev_b16 v150, 3, v20
	s_delay_alu instid0(VALU_DEP_2) | instskip(NEXT) | instid1(VALU_DEP_2)
	v_clz_i32_u32_e32 v81, v21
	v_and_b32_e32 v150, 15, v150
	s_delay_alu instid0(VALU_DEP_2) | instskip(NEXT) | instid1(VALU_DEP_2)
	v_min_u32_e32 v81, 32, v81
	v_cmp_eq_u32_e32 vcc_lo, 0, v150
	s_delay_alu instid0(VALU_DEP_2) | instskip(SKIP_1) | instid1(VALU_DEP_1)
	v_subrev_nc_u32_e32 v84, 28, v81
	v_sub_nc_u32_e32 v81, 29, v81
	v_dual_cndmask_b32 v81, v150, v81 :: v_dual_lshlrev_b32 v84, v84, v20
	v_lshlrev_b32_e32 v20, 24, v20
	s_delay_alu instid0(VALU_DEP_2) | instskip(NEXT) | instid1(VALU_DEP_3)
	v_and_b32_e32 v84, 7, v84
	v_lshl_add_u32 v81, v81, 23, 0x3b800000
	s_delay_alu instid0(VALU_DEP_3) | instskip(NEXT) | instid1(VALU_DEP_3)
	v_and_b32_e32 v20, 0x80000000, v20
	v_cndmask_b32_e32 v21, v21, v84, vcc_lo
	s_delay_alu instid0(VALU_DEP_1) | instskip(NEXT) | instid1(VALU_DEP_1)
	v_lshlrev_b32_e32 v21, 20, v21
	v_or3_b32 v21, v20, v81, v21
.LBB4_6208:                             ;   in Loop: Header=BB4_5753 Depth=3
	s_or_b32 exec_lo, exec_lo, s31
	s_delay_alu instid0(VALU_DEP_1) | instskip(SKIP_1) | instid1(VALU_DEP_1)
	v_max_f32_e32 v20, v21, v21
	v_max_f32_e32 v21, v69, v69
	v_min_f32_e32 v69, v21, v20
.LBB4_6209:                             ;   in Loop: Header=BB4_5753 Depth=3
	s_waitcnt vmcnt(0) lgkmcnt(0)
	s_delay_alu instid0(VALU_DEP_1) | instskip(NEXT) | instid1(VALU_DEP_1)
	v_and_b32_e32 v20, 0x7f800000, v69
	v_cmp_ne_u32_e32 vcc_lo, 0x7f800000, v20
	v_mov_b32_e32 v20, 0x80
	s_and_saveexec_b32 s31, vcc_lo
	s_cbranch_execz .LBB4_5752
; %bb.6210:                             ;   in Loop: Header=BB4_5753 Depth=3
	v_mov_b32_e32 v20, 0
	s_mov_b32 s34, exec_lo
	v_cmpx_ne_u32_e32 0, v69
	s_cbranch_execz .LBB4_5751
; %bb.6211:                             ;   in Loop: Header=BB4_5753 Depth=3
	v_bfe_u32 v20, v69, 23, 8
	v_and_b32_e32 v21, 0x7fffff, v69
	s_delay_alu instid0(VALU_DEP_2) | instskip(SKIP_1) | instid1(VALU_DEP_3)
	v_sub_nc_u32_e32 v81, 0x78, v20
	v_cmp_gt_u32_e32 vcc_lo, 0x79, v20
	v_or_b32_e32 v84, 0x800000, v21
	s_delay_alu instid0(VALU_DEP_3) | instskip(SKIP_2) | instid1(VALU_DEP_3)
	v_cndmask_b32_e32 v81, 0, v81, vcc_lo
	v_cmp_eq_u32_e32 vcc_lo, 0, v20
	v_add_nc_u32_e32 v20, 0xffffff89, v20
	v_cndmask_b32_e64 v81, v81, 0x77, vcc_lo
	v_cndmask_b32_e32 v21, v84, v21, vcc_lo
	s_delay_alu instid0(VALU_DEP_3) | instskip(NEXT) | instid1(VALU_DEP_3)
	v_cndmask_b32_e64 v20, v20, 0xffffff8a, vcc_lo
	v_lshl_add_u32 v84, 0x100000, v81, -1
	s_delay_alu instid0(VALU_DEP_3) | instskip(SKIP_1) | instid1(VALU_DEP_4)
	v_lshrrev_b32_e32 v150, v81, v21
	v_lshlrev_b32_e64 v164, v81, 0x80000
	v_add_nc_u32_e32 v81, v81, v20
	s_delay_alu instid0(VALU_DEP_4) | instskip(NEXT) | instid1(VALU_DEP_4)
	v_and_b32_e32 v21, v84, v21
	v_bfe_u32 v161, v150, 20, 1
	s_delay_alu instid0(VALU_DEP_2) | instskip(NEXT) | instid1(VALU_DEP_2)
	v_cmp_eq_u32_e64 s13, v21, v164
	v_add_nc_u32_e32 v84, -1, v161
	s_delay_alu instid0(VALU_DEP_1) | instskip(SKIP_2) | instid1(VALU_DEP_2)
	v_cndmask_b32_e64 v21, 0, v84, s13
	v_lshrrev_b32_e32 v84, 23, v150
	s_mov_b32 s13, exec_lo
	v_add_nc_u32_e32 v21, v21, v150
	s_delay_alu instid0(VALU_DEP_2) | instskip(NEXT) | instid1(VALU_DEP_2)
	v_xor_b32_e32 v84, 1, v84
	v_and_b32_e32 v20, 0xfffff, v21
	s_delay_alu instid0(VALU_DEP_1) | instskip(NEXT) | instid1(VALU_DEP_3)
	v_add_nc_u32_e32 v21, v20, v150
                                        ; implicit-def: $vgpr20
	v_cmpx_ne_u32_e64 v81, v84
	s_xor_b32 s13, exec_lo, s13
; %bb.6212:                             ;   in Loop: Header=BB4_5753 Depth=3
	s_delay_alu instid0(VALU_DEP_2) | instskip(SKIP_2) | instid1(VALU_DEP_2)
	v_cmp_lt_u32_e32 vcc_lo, 0xffffff, v21
	v_sub_nc_u32_e32 v20, v81, v84
	v_cndmask_b32_e64 v81, 0, 1, vcc_lo
	v_add_co_ci_u32_e32 v20, vcc_lo, 0, v20, vcc_lo
	s_delay_alu instid0(VALU_DEP_2)
	v_lshrrev_b32_e32 v21, v81, v21
; %bb.6213:                             ;   in Loop: Header=BB4_5753 Depth=3
	s_and_not1_saveexec_b32 s13, s13
	s_cbranch_execz .LBB4_5750
; %bb.6214:                             ;   in Loop: Header=BB4_5753 Depth=3
	s_delay_alu instid0(VALU_DEP_1)
	v_bfe_u32 v20, v21, 23, 1
	s_branch .LBB4_5750
.LBB4_6215:                             ;   in Loop: Header=BB4_5753 Depth=3
	s_mov_b32 s13, -1
	s_mov_b32 s35, exec_lo
                                        ; implicit-def: $sgpr31
	v_cmpx_eq_u16_e32 0x80, v42
; %bb.6216:                             ;   in Loop: Header=BB4_5753 Depth=3
	s_mov_b32 s31, 0x7f800001
	s_xor_b32 s13, exec_lo, -1
; %bb.6217:                             ;   in Loop: Header=BB4_5753 Depth=3
	s_or_b32 exec_lo, exec_lo, s35
	s_delay_alu instid0(SALU_CYCLE_1)
	s_and_b32 s13, s13, exec_lo
                                        ; implicit-def: $vgpr42
	s_or_saveexec_b32 s34, s34
	v_mov_b32_e32 v41, s31
	s_xor_b32 exec_lo, exec_lo, s34
	s_cbranch_execz .LBB4_5756
.LBB4_6218:                             ;   in Loop: Header=BB4_5753 Depth=3
	v_cmp_ne_u16_e32 vcc_lo, 0, v42
	v_mov_b32_e32 v41, 0
	s_and_not1_b32 s13, s13, exec_lo
	s_and_b32 vcc_lo, vcc_lo, exec_lo
	s_delay_alu instid0(SALU_CYCLE_1)
	s_or_b32 s13, s13, vcc_lo
	s_or_b32 exec_lo, exec_lo, s34
	s_and_saveexec_b32 s31, s13
	s_cbranch_execnz .LBB4_5757
	s_branch .LBB4_5758
.LBB4_6219:                             ;   in Loop: Header=BB4_5753 Depth=3
	s_mov_b32 s13, -1
	s_mov_b32 s35, exec_lo
                                        ; implicit-def: $sgpr31
	v_cmpx_eq_u16_e32 0x80, v43
; %bb.6220:                             ;   in Loop: Header=BB4_5753 Depth=3
	s_mov_b32 s31, 0x7f800001
	s_xor_b32 s13, exec_lo, -1
; %bb.6221:                             ;   in Loop: Header=BB4_5753 Depth=3
	s_or_b32 exec_lo, exec_lo, s35
	s_delay_alu instid0(SALU_CYCLE_1)
	s_and_b32 s13, s13, exec_lo
                                        ; implicit-def: $vgpr43
	s_or_saveexec_b32 s34, s34
	v_mov_b32_e32 v42, s31
	s_xor_b32 exec_lo, exec_lo, s34
	s_cbranch_execz .LBB4_5760
.LBB4_6222:                             ;   in Loop: Header=BB4_5753 Depth=3
	v_cmp_ne_u16_e32 vcc_lo, 0, v43
	v_mov_b32_e32 v42, 0
	s_and_not1_b32 s13, s13, exec_lo
	s_and_b32 vcc_lo, vcc_lo, exec_lo
	s_delay_alu instid0(SALU_CYCLE_1)
	s_or_b32 s13, s13, vcc_lo
	s_or_b32 exec_lo, exec_lo, s34
	s_and_saveexec_b32 s31, s13
	s_cbranch_execnz .LBB4_5761
	s_branch .LBB4_5762
.LBB4_6223:                             ;   in Loop: Header=BB4_5753 Depth=3
	s_mov_b32 s13, -1
	s_mov_b32 s35, exec_lo
                                        ; implicit-def: $sgpr31
	v_cmpx_eq_u16_e32 0x80, v42
; %bb.6224:                             ;   in Loop: Header=BB4_5753 Depth=3
	s_mov_b32 s31, 0x7f800001
	s_xor_b32 s13, exec_lo, -1
; %bb.6225:                             ;   in Loop: Header=BB4_5753 Depth=3
	s_or_b32 exec_lo, exec_lo, s35
	s_delay_alu instid0(SALU_CYCLE_1)
	s_and_b32 s13, s13, exec_lo
                                        ; implicit-def: $vgpr42
	s_or_saveexec_b32 s34, s34
	v_mov_b32_e32 v41, s31
	s_xor_b32 exec_lo, exec_lo, s34
	s_cbranch_execz .LBB4_5767
.LBB4_6226:                             ;   in Loop: Header=BB4_5753 Depth=3
	v_cmp_ne_u16_e32 vcc_lo, 0, v42
	v_mov_b32_e32 v41, 0
	s_and_not1_b32 s13, s13, exec_lo
	s_and_b32 vcc_lo, vcc_lo, exec_lo
	s_delay_alu instid0(SALU_CYCLE_1)
	s_or_b32 s13, s13, vcc_lo
	s_or_b32 exec_lo, exec_lo, s34
	s_and_saveexec_b32 s31, s13
	s_cbranch_execnz .LBB4_5768
	s_branch .LBB4_5769
.LBB4_6227:                             ;   in Loop: Header=BB4_5753 Depth=3
	s_mov_b32 s13, -1
	s_mov_b32 s35, exec_lo
                                        ; implicit-def: $sgpr31
	v_cmpx_eq_u16_e32 0x80, v42
; %bb.6228:                             ;   in Loop: Header=BB4_5753 Depth=3
	s_mov_b32 s31, 0x7f800001
	s_xor_b32 s13, exec_lo, -1
; %bb.6229:                             ;   in Loop: Header=BB4_5753 Depth=3
	s_or_b32 exec_lo, exec_lo, s35
	s_delay_alu instid0(SALU_CYCLE_1)
	s_and_b32 s13, s13, exec_lo
                                        ; implicit-def: $vgpr42
	s_or_saveexec_b32 s34, s34
	v_mov_b32_e32 v40, s31
	s_xor_b32 exec_lo, exec_lo, s34
	s_cbranch_execz .LBB4_5771
.LBB4_6230:                             ;   in Loop: Header=BB4_5753 Depth=3
	v_cmp_ne_u16_e32 vcc_lo, 0, v42
	v_mov_b32_e32 v40, 0
	s_and_not1_b32 s13, s13, exec_lo
	s_and_b32 vcc_lo, vcc_lo, exec_lo
	s_delay_alu instid0(SALU_CYCLE_1)
	s_or_b32 s13, s13, vcc_lo
	s_or_b32 exec_lo, exec_lo, s34
	s_and_saveexec_b32 s31, s13
	s_cbranch_execnz .LBB4_5772
	s_branch .LBB4_5773
.LBB4_6231:                             ;   in Loop: Header=BB4_5753 Depth=3
	s_mov_b32 s13, -1
	s_mov_b32 s35, exec_lo
                                        ; implicit-def: $sgpr31
	v_cmpx_eq_u16_e32 0x80, v41
; %bb.6232:                             ;   in Loop: Header=BB4_5753 Depth=3
	s_mov_b32 s31, 0x7f800001
	s_xor_b32 s13, exec_lo, -1
; %bb.6233:                             ;   in Loop: Header=BB4_5753 Depth=3
	s_or_b32 exec_lo, exec_lo, s35
	s_delay_alu instid0(SALU_CYCLE_1)
	s_and_b32 s13, s13, exec_lo
                                        ; implicit-def: $vgpr41
	s_or_saveexec_b32 s34, s34
	v_mov_b32_e32 v40, s31
	s_xor_b32 exec_lo, exec_lo, s34
	s_cbranch_execz .LBB4_5785
.LBB4_6234:                             ;   in Loop: Header=BB4_5753 Depth=3
	v_cmp_ne_u16_e32 vcc_lo, 0, v41
	v_mov_b32_e32 v40, 0
	s_and_not1_b32 s13, s13, exec_lo
	s_and_b32 vcc_lo, vcc_lo, exec_lo
	s_delay_alu instid0(SALU_CYCLE_1)
	s_or_b32 s13, s13, vcc_lo
	s_or_b32 exec_lo, exec_lo, s34
	s_and_saveexec_b32 s31, s13
	s_cbranch_execnz .LBB4_5786
	s_branch .LBB4_5787
.LBB4_6235:                             ;   in Loop: Header=BB4_5753 Depth=3
	s_mov_b32 s13, -1
	s_mov_b32 s35, exec_lo
                                        ; implicit-def: $sgpr31
	v_cmpx_eq_u16_e32 0x80, v42
; %bb.6236:                             ;   in Loop: Header=BB4_5753 Depth=3
	s_mov_b32 s31, 0x7f800001
	s_xor_b32 s13, exec_lo, -1
; %bb.6237:                             ;   in Loop: Header=BB4_5753 Depth=3
	s_or_b32 exec_lo, exec_lo, s35
	s_delay_alu instid0(SALU_CYCLE_1)
	s_and_b32 s13, s13, exec_lo
                                        ; implicit-def: $vgpr42
	s_or_saveexec_b32 s34, s34
	v_mov_b32_e32 v41, s31
	s_xor_b32 exec_lo, exec_lo, s34
	s_cbranch_execz .LBB4_5789
.LBB4_6238:                             ;   in Loop: Header=BB4_5753 Depth=3
	v_cmp_ne_u16_e32 vcc_lo, 0, v42
	v_mov_b32_e32 v41, 0
	s_and_not1_b32 s13, s13, exec_lo
	s_and_b32 vcc_lo, vcc_lo, exec_lo
	s_delay_alu instid0(SALU_CYCLE_1)
	s_or_b32 s13, s13, vcc_lo
	s_or_b32 exec_lo, exec_lo, s34
	s_and_saveexec_b32 s31, s13
	s_cbranch_execnz .LBB4_5790
	s_branch .LBB4_5791
.LBB4_6239:                             ;   in Loop: Header=BB4_5753 Depth=3
	s_mov_b32 s13, -1
	s_mov_b32 s35, exec_lo
                                        ; implicit-def: $sgpr31
	v_cmpx_eq_u16_e32 0x80, v41
; %bb.6240:                             ;   in Loop: Header=BB4_5753 Depth=3
	s_mov_b32 s31, 0x7f800001
	s_xor_b32 s13, exec_lo, -1
; %bb.6241:                             ;   in Loop: Header=BB4_5753 Depth=3
	s_or_b32 exec_lo, exec_lo, s35
	s_delay_alu instid0(SALU_CYCLE_1)
	s_and_b32 s13, s13, exec_lo
                                        ; implicit-def: $vgpr41
	s_or_saveexec_b32 s34, s34
	v_mov_b32_e32 v40, s31
	s_xor_b32 exec_lo, exec_lo, s34
	s_cbranch_execz .LBB4_5796
.LBB4_6242:                             ;   in Loop: Header=BB4_5753 Depth=3
	v_cmp_ne_u16_e32 vcc_lo, 0, v41
	v_mov_b32_e32 v40, 0
	s_and_not1_b32 s13, s13, exec_lo
	s_and_b32 vcc_lo, vcc_lo, exec_lo
	s_delay_alu instid0(SALU_CYCLE_1)
	s_or_b32 s13, s13, vcc_lo
	s_or_b32 exec_lo, exec_lo, s34
	s_and_saveexec_b32 s31, s13
	s_cbranch_execnz .LBB4_5797
	s_branch .LBB4_5798
.LBB4_6243:                             ;   in Loop: Header=BB4_5753 Depth=3
	s_mov_b32 s13, -1
	s_mov_b32 s35, exec_lo
                                        ; implicit-def: $sgpr31
	v_cmpx_eq_u16_e32 0x80, v41
; %bb.6244:                             ;   in Loop: Header=BB4_5753 Depth=3
	s_mov_b32 s31, 0x7f800001
	s_xor_b32 s13, exec_lo, -1
; %bb.6245:                             ;   in Loop: Header=BB4_5753 Depth=3
	s_or_b32 exec_lo, exec_lo, s35
	s_delay_alu instid0(SALU_CYCLE_1)
	s_and_b32 s13, s13, exec_lo
                                        ; implicit-def: $vgpr41
	s_or_saveexec_b32 s34, s34
	v_mov_b32_e32 v183, s31
	s_xor_b32 exec_lo, exec_lo, s34
	s_cbranch_execz .LBB4_5800
.LBB4_6246:                             ;   in Loop: Header=BB4_5753 Depth=3
	v_cmp_ne_u16_e32 vcc_lo, 0, v41
	v_mov_b32_e32 v183, 0
	s_and_not1_b32 s13, s13, exec_lo
	s_and_b32 vcc_lo, vcc_lo, exec_lo
	s_delay_alu instid0(SALU_CYCLE_1)
	s_or_b32 s13, s13, vcc_lo
	s_or_b32 exec_lo, exec_lo, s34
	s_and_saveexec_b32 s31, s13
	s_cbranch_execnz .LBB4_5801
	s_branch .LBB4_5802
.LBB4_6247:                             ;   in Loop: Header=BB4_5753 Depth=3
	s_mov_b32 s13, -1
	s_mov_b32 s35, exec_lo
                                        ; implicit-def: $sgpr31
	v_cmpx_eq_u16_e32 0x80, v40
; %bb.6248:                             ;   in Loop: Header=BB4_5753 Depth=3
	s_mov_b32 s31, 0x7f800001
	s_xor_b32 s13, exec_lo, -1
; %bb.6249:                             ;   in Loop: Header=BB4_5753 Depth=3
	s_or_b32 exec_lo, exec_lo, s35
	s_delay_alu instid0(SALU_CYCLE_1)
	s_and_b32 s13, s13, exec_lo
                                        ; implicit-def: $vgpr40
	s_or_saveexec_b32 s34, s34
	v_mov_b32_e32 v183, s31
	s_xor_b32 exec_lo, exec_lo, s34
	s_cbranch_execz .LBB4_5814
.LBB4_6250:                             ;   in Loop: Header=BB4_5753 Depth=3
	v_cmp_ne_u16_e32 vcc_lo, 0, v40
	v_mov_b32_e32 v183, 0
	s_and_not1_b32 s13, s13, exec_lo
	s_and_b32 vcc_lo, vcc_lo, exec_lo
	s_delay_alu instid0(SALU_CYCLE_1)
	s_or_b32 s13, s13, vcc_lo
	s_or_b32 exec_lo, exec_lo, s34
	s_and_saveexec_b32 s31, s13
	s_cbranch_execnz .LBB4_5815
	s_branch .LBB4_5816
.LBB4_6251:                             ;   in Loop: Header=BB4_5753 Depth=3
	s_mov_b32 s13, -1
	s_mov_b32 s35, exec_lo
                                        ; implicit-def: $sgpr31
	v_cmpx_eq_u16_e32 0x80, v41
; %bb.6252:                             ;   in Loop: Header=BB4_5753 Depth=3
	s_mov_b32 s31, 0x7f800001
	s_xor_b32 s13, exec_lo, -1
; %bb.6253:                             ;   in Loop: Header=BB4_5753 Depth=3
	s_or_b32 exec_lo, exec_lo, s35
	s_delay_alu instid0(SALU_CYCLE_1)
	s_and_b32 s13, s13, exec_lo
                                        ; implicit-def: $vgpr41
	s_or_saveexec_b32 s34, s34
	v_mov_b32_e32 v40, s31
	s_xor_b32 exec_lo, exec_lo, s34
	s_cbranch_execz .LBB4_5818
.LBB4_6254:                             ;   in Loop: Header=BB4_5753 Depth=3
	v_cmp_ne_u16_e32 vcc_lo, 0, v41
	v_mov_b32_e32 v40, 0
	s_and_not1_b32 s13, s13, exec_lo
	s_and_b32 vcc_lo, vcc_lo, exec_lo
	s_delay_alu instid0(SALU_CYCLE_1)
	s_or_b32 s13, s13, vcc_lo
	s_or_b32 exec_lo, exec_lo, s34
	s_and_saveexec_b32 s31, s13
	s_cbranch_execnz .LBB4_5819
	s_branch .LBB4_5820
.LBB4_6255:                             ;   in Loop: Header=BB4_5753 Depth=3
	s_mov_b32 s13, -1
	s_mov_b32 s35, exec_lo
                                        ; implicit-def: $sgpr31
	v_cmpx_eq_u16_e32 0x80, v40
; %bb.6256:                             ;   in Loop: Header=BB4_5753 Depth=3
	s_mov_b32 s31, 0x7f800001
	s_xor_b32 s13, exec_lo, -1
; %bb.6257:                             ;   in Loop: Header=BB4_5753 Depth=3
	s_or_b32 exec_lo, exec_lo, s35
	s_delay_alu instid0(SALU_CYCLE_1)
	s_and_b32 s13, s13, exec_lo
                                        ; implicit-def: $vgpr40
	s_or_saveexec_b32 s34, s34
	v_mov_b32_e32 v183, s31
	s_xor_b32 exec_lo, exec_lo, s34
	s_cbranch_execz .LBB4_5825
.LBB4_6258:                             ;   in Loop: Header=BB4_5753 Depth=3
	v_cmp_ne_u16_e32 vcc_lo, 0, v40
	v_mov_b32_e32 v183, 0
	s_and_not1_b32 s13, s13, exec_lo
	s_and_b32 vcc_lo, vcc_lo, exec_lo
	s_delay_alu instid0(SALU_CYCLE_1)
	s_or_b32 s13, s13, vcc_lo
	s_or_b32 exec_lo, exec_lo, s34
	s_and_saveexec_b32 s31, s13
	s_cbranch_execnz .LBB4_5826
	s_branch .LBB4_5827
.LBB4_6259:                             ;   in Loop: Header=BB4_5753 Depth=3
	s_mov_b32 s13, -1
	s_mov_b32 s35, exec_lo
                                        ; implicit-def: $sgpr31
	v_cmpx_eq_u16_e32 0x80, v40
; %bb.6260:                             ;   in Loop: Header=BB4_5753 Depth=3
	s_mov_b32 s31, 0x7f800001
	s_xor_b32 s13, exec_lo, -1
; %bb.6261:                             ;   in Loop: Header=BB4_5753 Depth=3
	s_or_b32 exec_lo, exec_lo, s35
	s_delay_alu instid0(SALU_CYCLE_1)
	s_and_b32 s13, s13, exec_lo
                                        ; implicit-def: $vgpr40
	s_or_saveexec_b32 s34, s34
	v_mov_b32_e32 v182, s31
	s_xor_b32 exec_lo, exec_lo, s34
	s_cbranch_execz .LBB4_5829
.LBB4_6262:                             ;   in Loop: Header=BB4_5753 Depth=3
	v_cmp_ne_u16_e32 vcc_lo, 0, v40
	v_mov_b32_e32 v182, 0
	s_and_not1_b32 s13, s13, exec_lo
	s_and_b32 vcc_lo, vcc_lo, exec_lo
	s_delay_alu instid0(SALU_CYCLE_1)
	s_or_b32 s13, s13, vcc_lo
	s_or_b32 exec_lo, exec_lo, s34
	s_and_saveexec_b32 s31, s13
	s_cbranch_execnz .LBB4_5830
	s_branch .LBB4_5831
.LBB4_6263:                             ;   in Loop: Header=BB4_5753 Depth=3
	s_mov_b32 s13, -1
	s_mov_b32 s35, exec_lo
                                        ; implicit-def: $sgpr31
	v_cmpx_eq_u16_e64 0x80, v183
; %bb.6264:                             ;   in Loop: Header=BB4_5753 Depth=3
	s_mov_b32 s31, 0x7f800001
	s_xor_b32 s13, exec_lo, -1
; %bb.6265:                             ;   in Loop: Header=BB4_5753 Depth=3
	s_or_b32 exec_lo, exec_lo, s35
	s_delay_alu instid0(SALU_CYCLE_1)
	s_and_b32 s13, s13, exec_lo
                                        ; implicit-def: $vgpr183
	s_or_saveexec_b32 s34, s34
	v_mov_b32_e32 v182, s31
	s_xor_b32 exec_lo, exec_lo, s34
	s_cbranch_execz .LBB4_5843
.LBB4_6266:                             ;   in Loop: Header=BB4_5753 Depth=3
	v_cmp_ne_u16_e64 vcc_lo, 0, v183
	v_mov_b32_e32 v182, 0
	s_and_not1_b32 s13, s13, exec_lo
	s_delay_alu instid0(VALU_DEP_2) | instskip(NEXT) | instid1(SALU_CYCLE_1)
	s_and_b32 vcc_lo, vcc_lo, exec_lo
	s_or_b32 s13, s13, vcc_lo
	s_or_b32 exec_lo, exec_lo, s34
	s_and_saveexec_b32 s31, s13
	s_cbranch_execnz .LBB4_5844
	s_branch .LBB4_5845
.LBB4_6267:                             ;   in Loop: Header=BB4_5753 Depth=3
	s_mov_b32 s13, -1
	s_mov_b32 s35, exec_lo
                                        ; implicit-def: $sgpr31
	v_cmpx_eq_u16_e32 0x80, v40
; %bb.6268:                             ;   in Loop: Header=BB4_5753 Depth=3
	s_mov_b32 s31, 0x7f800001
	s_xor_b32 s13, exec_lo, -1
; %bb.6269:                             ;   in Loop: Header=BB4_5753 Depth=3
	s_or_b32 exec_lo, exec_lo, s35
	s_delay_alu instid0(SALU_CYCLE_1)
	s_and_b32 s13, s13, exec_lo
                                        ; implicit-def: $vgpr40
	s_or_saveexec_b32 s34, s34
	v_mov_b32_e32 v183, s31
	s_xor_b32 exec_lo, exec_lo, s34
	s_cbranch_execz .LBB4_5847
.LBB4_6270:                             ;   in Loop: Header=BB4_5753 Depth=3
	v_cmp_ne_u16_e32 vcc_lo, 0, v40
	v_mov_b32_e32 v183, 0
	s_and_not1_b32 s13, s13, exec_lo
	s_and_b32 vcc_lo, vcc_lo, exec_lo
	s_delay_alu instid0(SALU_CYCLE_1)
	s_or_b32 s13, s13, vcc_lo
	s_or_b32 exec_lo, exec_lo, s34
	s_and_saveexec_b32 s31, s13
	s_cbranch_execnz .LBB4_5848
	s_branch .LBB4_5849
.LBB4_6271:                             ;   in Loop: Header=BB4_5753 Depth=3
	s_mov_b32 s13, -1
	s_mov_b32 s35, exec_lo
                                        ; implicit-def: $sgpr31
	v_cmpx_eq_u16_e64 0x80, v183
; %bb.6272:                             ;   in Loop: Header=BB4_5753 Depth=3
	s_mov_b32 s31, 0x7f800001
	s_xor_b32 s13, exec_lo, -1
; %bb.6273:                             ;   in Loop: Header=BB4_5753 Depth=3
	s_or_b32 exec_lo, exec_lo, s35
	s_delay_alu instid0(SALU_CYCLE_1)
	s_and_b32 s13, s13, exec_lo
                                        ; implicit-def: $vgpr183
	s_or_saveexec_b32 s34, s34
	v_mov_b32_e32 v182, s31
	s_xor_b32 exec_lo, exec_lo, s34
	s_cbranch_execz .LBB4_5854
.LBB4_6274:                             ;   in Loop: Header=BB4_5753 Depth=3
	v_cmp_ne_u16_e64 vcc_lo, 0, v183
	v_mov_b32_e32 v182, 0
	s_and_not1_b32 s13, s13, exec_lo
	s_delay_alu instid0(VALU_DEP_2) | instskip(NEXT) | instid1(SALU_CYCLE_1)
	s_and_b32 vcc_lo, vcc_lo, exec_lo
	s_or_b32 s13, s13, vcc_lo
	s_or_b32 exec_lo, exec_lo, s34
	s_and_saveexec_b32 s31, s13
	s_cbranch_execnz .LBB4_5855
	s_branch .LBB4_5856
.LBB4_6275:                             ;   in Loop: Header=BB4_5753 Depth=3
	s_mov_b32 s13, -1
	s_mov_b32 s35, exec_lo
                                        ; implicit-def: $sgpr31
	v_cmpx_eq_u16_e64 0x80, v183
; %bb.6276:                             ;   in Loop: Header=BB4_5753 Depth=3
	s_mov_b32 s31, 0x7f800001
	s_xor_b32 s13, exec_lo, -1
; %bb.6277:                             ;   in Loop: Header=BB4_5753 Depth=3
	s_or_b32 exec_lo, exec_lo, s35
	s_delay_alu instid0(SALU_CYCLE_1)
	s_and_b32 s13, s13, exec_lo
                                        ; implicit-def: $vgpr183
	s_or_saveexec_b32 s34, s34
	v_mov_b32_e32 v181, s31
	s_xor_b32 exec_lo, exec_lo, s34
	s_cbranch_execz .LBB4_5858
.LBB4_6278:                             ;   in Loop: Header=BB4_5753 Depth=3
	v_cmp_ne_u16_e64 vcc_lo, 0, v183
	v_mov_b32_e32 v181, 0
	s_and_not1_b32 s13, s13, exec_lo
	s_delay_alu instid0(VALU_DEP_2) | instskip(NEXT) | instid1(SALU_CYCLE_1)
	s_and_b32 vcc_lo, vcc_lo, exec_lo
	s_or_b32 s13, s13, vcc_lo
	s_or_b32 exec_lo, exec_lo, s34
	s_and_saveexec_b32 s31, s13
	s_cbranch_execnz .LBB4_5859
	s_branch .LBB4_5860
.LBB4_6279:                             ;   in Loop: Header=BB4_5753 Depth=3
	s_mov_b32 s13, -1
	s_mov_b32 s35, exec_lo
                                        ; implicit-def: $sgpr31
	v_cmpx_eq_u16_e64 0x80, v182
; %bb.6280:                             ;   in Loop: Header=BB4_5753 Depth=3
	s_mov_b32 s31, 0x7f800001
	s_xor_b32 s13, exec_lo, -1
; %bb.6281:                             ;   in Loop: Header=BB4_5753 Depth=3
	s_or_b32 exec_lo, exec_lo, s35
	s_delay_alu instid0(SALU_CYCLE_1)
	s_and_b32 s13, s13, exec_lo
                                        ; implicit-def: $vgpr182
	s_or_saveexec_b32 s34, s34
	v_mov_b32_e32 v181, s31
	s_xor_b32 exec_lo, exec_lo, s34
	s_cbranch_execz .LBB4_5872
.LBB4_6282:                             ;   in Loop: Header=BB4_5753 Depth=3
	v_cmp_ne_u16_e64 vcc_lo, 0, v182
	v_mov_b32_e32 v181, 0
	s_and_not1_b32 s13, s13, exec_lo
	s_delay_alu instid0(VALU_DEP_2) | instskip(NEXT) | instid1(SALU_CYCLE_1)
	s_and_b32 vcc_lo, vcc_lo, exec_lo
	s_or_b32 s13, s13, vcc_lo
	s_or_b32 exec_lo, exec_lo, s34
	s_and_saveexec_b32 s31, s13
	s_cbranch_execnz .LBB4_5873
	s_branch .LBB4_5874
.LBB4_6283:                             ;   in Loop: Header=BB4_5753 Depth=3
	s_mov_b32 s13, -1
	s_mov_b32 s35, exec_lo
                                        ; implicit-def: $sgpr31
	v_cmpx_eq_u16_e64 0x80, v183
; %bb.6284:                             ;   in Loop: Header=BB4_5753 Depth=3
	s_mov_b32 s31, 0x7f800001
	s_xor_b32 s13, exec_lo, -1
; %bb.6285:                             ;   in Loop: Header=BB4_5753 Depth=3
	s_or_b32 exec_lo, exec_lo, s35
	s_delay_alu instid0(SALU_CYCLE_1)
	s_and_b32 s13, s13, exec_lo
                                        ; implicit-def: $vgpr183
	s_or_saveexec_b32 s34, s34
	v_mov_b32_e32 v182, s31
	s_xor_b32 exec_lo, exec_lo, s34
	s_cbranch_execz .LBB4_5876
.LBB4_6286:                             ;   in Loop: Header=BB4_5753 Depth=3
	v_cmp_ne_u16_e64 vcc_lo, 0, v183
	v_mov_b32_e32 v182, 0
	s_and_not1_b32 s13, s13, exec_lo
	s_delay_alu instid0(VALU_DEP_2) | instskip(NEXT) | instid1(SALU_CYCLE_1)
	s_and_b32 vcc_lo, vcc_lo, exec_lo
	s_or_b32 s13, s13, vcc_lo
	s_or_b32 exec_lo, exec_lo, s34
	s_and_saveexec_b32 s31, s13
	s_cbranch_execnz .LBB4_5877
	s_branch .LBB4_5878
.LBB4_6287:                             ;   in Loop: Header=BB4_5753 Depth=3
	s_mov_b32 s13, -1
	s_mov_b32 s35, exec_lo
                                        ; implicit-def: $sgpr31
	v_cmpx_eq_u16_e64 0x80, v182
; %bb.6288:                             ;   in Loop: Header=BB4_5753 Depth=3
	s_mov_b32 s31, 0x7f800001
	s_xor_b32 s13, exec_lo, -1
; %bb.6289:                             ;   in Loop: Header=BB4_5753 Depth=3
	s_or_b32 exec_lo, exec_lo, s35
	s_delay_alu instid0(SALU_CYCLE_1)
	s_and_b32 s13, s13, exec_lo
                                        ; implicit-def: $vgpr182
	s_or_saveexec_b32 s34, s34
	v_mov_b32_e32 v181, s31
	s_xor_b32 exec_lo, exec_lo, s34
	s_cbranch_execz .LBB4_5883
.LBB4_6290:                             ;   in Loop: Header=BB4_5753 Depth=3
	v_cmp_ne_u16_e64 vcc_lo, 0, v182
	v_mov_b32_e32 v181, 0
	s_and_not1_b32 s13, s13, exec_lo
	s_delay_alu instid0(VALU_DEP_2) | instskip(NEXT) | instid1(SALU_CYCLE_1)
	s_and_b32 vcc_lo, vcc_lo, exec_lo
	s_or_b32 s13, s13, vcc_lo
	s_or_b32 exec_lo, exec_lo, s34
	s_and_saveexec_b32 s31, s13
	s_cbranch_execnz .LBB4_5884
	s_branch .LBB4_5885
.LBB4_6291:                             ;   in Loop: Header=BB4_5753 Depth=3
	s_mov_b32 s13, -1
	s_mov_b32 s35, exec_lo
                                        ; implicit-def: $sgpr31
	v_cmpx_eq_u16_e64 0x80, v182
; %bb.6292:                             ;   in Loop: Header=BB4_5753 Depth=3
	s_mov_b32 s31, 0x7f800001
	s_xor_b32 s13, exec_lo, -1
; %bb.6293:                             ;   in Loop: Header=BB4_5753 Depth=3
	s_or_b32 exec_lo, exec_lo, s35
	s_delay_alu instid0(SALU_CYCLE_1)
	s_and_b32 s13, s13, exec_lo
                                        ; implicit-def: $vgpr182
	s_or_saveexec_b32 s34, s34
	v_mov_b32_e32 v180, s31
	s_xor_b32 exec_lo, exec_lo, s34
	s_cbranch_execz .LBB4_5887
.LBB4_6294:                             ;   in Loop: Header=BB4_5753 Depth=3
	v_cmp_ne_u16_e64 vcc_lo, 0, v182
	v_mov_b32_e32 v180, 0
	s_and_not1_b32 s13, s13, exec_lo
	s_delay_alu instid0(VALU_DEP_2) | instskip(NEXT) | instid1(SALU_CYCLE_1)
	s_and_b32 vcc_lo, vcc_lo, exec_lo
	s_or_b32 s13, s13, vcc_lo
	s_or_b32 exec_lo, exec_lo, s34
	s_and_saveexec_b32 s31, s13
	s_cbranch_execnz .LBB4_5888
	s_branch .LBB4_5889
.LBB4_6295:                             ;   in Loop: Header=BB4_5753 Depth=3
	s_mov_b32 s13, -1
	s_mov_b32 s35, exec_lo
                                        ; implicit-def: $sgpr31
	v_cmpx_eq_u16_e64 0x80, v181
; %bb.6296:                             ;   in Loop: Header=BB4_5753 Depth=3
	s_mov_b32 s31, 0x7f800001
	s_xor_b32 s13, exec_lo, -1
; %bb.6297:                             ;   in Loop: Header=BB4_5753 Depth=3
	s_or_b32 exec_lo, exec_lo, s35
	s_delay_alu instid0(SALU_CYCLE_1)
	s_and_b32 s13, s13, exec_lo
                                        ; implicit-def: $vgpr181
	s_or_saveexec_b32 s34, s34
	v_mov_b32_e32 v180, s31
	s_xor_b32 exec_lo, exec_lo, s34
	s_cbranch_execz .LBB4_5901
.LBB4_6298:                             ;   in Loop: Header=BB4_5753 Depth=3
	v_cmp_ne_u16_e64 vcc_lo, 0, v181
	v_mov_b32_e32 v180, 0
	s_and_not1_b32 s13, s13, exec_lo
	s_delay_alu instid0(VALU_DEP_2) | instskip(NEXT) | instid1(SALU_CYCLE_1)
	s_and_b32 vcc_lo, vcc_lo, exec_lo
	s_or_b32 s13, s13, vcc_lo
	s_or_b32 exec_lo, exec_lo, s34
	s_and_saveexec_b32 s31, s13
	s_cbranch_execnz .LBB4_5902
	s_branch .LBB4_5903
.LBB4_6299:                             ;   in Loop: Header=BB4_5753 Depth=3
	s_mov_b32 s13, -1
	s_mov_b32 s35, exec_lo
                                        ; implicit-def: $sgpr31
	v_cmpx_eq_u16_e64 0x80, v182
; %bb.6300:                             ;   in Loop: Header=BB4_5753 Depth=3
	s_mov_b32 s31, 0x7f800001
	s_xor_b32 s13, exec_lo, -1
; %bb.6301:                             ;   in Loop: Header=BB4_5753 Depth=3
	s_or_b32 exec_lo, exec_lo, s35
	s_delay_alu instid0(SALU_CYCLE_1)
	s_and_b32 s13, s13, exec_lo
                                        ; implicit-def: $vgpr182
	s_or_saveexec_b32 s34, s34
	v_mov_b32_e32 v181, s31
	s_xor_b32 exec_lo, exec_lo, s34
	s_cbranch_execz .LBB4_5905
.LBB4_6302:                             ;   in Loop: Header=BB4_5753 Depth=3
	v_cmp_ne_u16_e64 vcc_lo, 0, v182
	v_mov_b32_e32 v181, 0
	s_and_not1_b32 s13, s13, exec_lo
	s_delay_alu instid0(VALU_DEP_2) | instskip(NEXT) | instid1(SALU_CYCLE_1)
	s_and_b32 vcc_lo, vcc_lo, exec_lo
	s_or_b32 s13, s13, vcc_lo
	s_or_b32 exec_lo, exec_lo, s34
	s_and_saveexec_b32 s31, s13
	s_cbranch_execnz .LBB4_5906
	s_branch .LBB4_5907
.LBB4_6303:                             ;   in Loop: Header=BB4_5753 Depth=3
	s_mov_b32 s13, -1
	s_mov_b32 s35, exec_lo
                                        ; implicit-def: $sgpr31
	v_cmpx_eq_u16_e64 0x80, v181
; %bb.6304:                             ;   in Loop: Header=BB4_5753 Depth=3
	s_mov_b32 s31, 0x7f800001
	s_xor_b32 s13, exec_lo, -1
; %bb.6305:                             ;   in Loop: Header=BB4_5753 Depth=3
	s_or_b32 exec_lo, exec_lo, s35
	s_delay_alu instid0(SALU_CYCLE_1)
	s_and_b32 s13, s13, exec_lo
                                        ; implicit-def: $vgpr181
	s_or_saveexec_b32 s34, s34
	v_mov_b32_e32 v180, s31
	s_xor_b32 exec_lo, exec_lo, s34
	s_cbranch_execz .LBB4_5912
.LBB4_6306:                             ;   in Loop: Header=BB4_5753 Depth=3
	v_cmp_ne_u16_e64 vcc_lo, 0, v181
	v_mov_b32_e32 v180, 0
	s_and_not1_b32 s13, s13, exec_lo
	s_delay_alu instid0(VALU_DEP_2) | instskip(NEXT) | instid1(SALU_CYCLE_1)
	s_and_b32 vcc_lo, vcc_lo, exec_lo
	s_or_b32 s13, s13, vcc_lo
	s_or_b32 exec_lo, exec_lo, s34
	s_and_saveexec_b32 s31, s13
	s_cbranch_execnz .LBB4_5913
	s_branch .LBB4_5914
.LBB4_6307:                             ;   in Loop: Header=BB4_5753 Depth=3
	s_mov_b32 s13, -1
	s_mov_b32 s35, exec_lo
                                        ; implicit-def: $sgpr31
	v_cmpx_eq_u16_e64 0x80, v181
; %bb.6308:                             ;   in Loop: Header=BB4_5753 Depth=3
	s_mov_b32 s31, 0x7f800001
	s_xor_b32 s13, exec_lo, -1
; %bb.6309:                             ;   in Loop: Header=BB4_5753 Depth=3
	s_or_b32 exec_lo, exec_lo, s35
	s_delay_alu instid0(SALU_CYCLE_1)
	s_and_b32 s13, s13, exec_lo
                                        ; implicit-def: $vgpr181
	s_or_saveexec_b32 s34, s34
	v_mov_b32_e32 v179, s31
	s_xor_b32 exec_lo, exec_lo, s34
	s_cbranch_execz .LBB4_5916
.LBB4_6310:                             ;   in Loop: Header=BB4_5753 Depth=3
	v_cmp_ne_u16_e64 vcc_lo, 0, v181
	v_mov_b32_e32 v179, 0
	s_and_not1_b32 s13, s13, exec_lo
	s_delay_alu instid0(VALU_DEP_2) | instskip(NEXT) | instid1(SALU_CYCLE_1)
	s_and_b32 vcc_lo, vcc_lo, exec_lo
	s_or_b32 s13, s13, vcc_lo
	s_or_b32 exec_lo, exec_lo, s34
	s_and_saveexec_b32 s31, s13
	s_cbranch_execnz .LBB4_5917
	s_branch .LBB4_5918
.LBB4_6311:                             ;   in Loop: Header=BB4_5753 Depth=3
	s_mov_b32 s13, -1
	s_mov_b32 s35, exec_lo
                                        ; implicit-def: $sgpr31
	v_cmpx_eq_u16_e64 0x80, v180
; %bb.6312:                             ;   in Loop: Header=BB4_5753 Depth=3
	s_mov_b32 s31, 0x7f800001
	s_xor_b32 s13, exec_lo, -1
; %bb.6313:                             ;   in Loop: Header=BB4_5753 Depth=3
	s_or_b32 exec_lo, exec_lo, s35
	s_delay_alu instid0(SALU_CYCLE_1)
	s_and_b32 s13, s13, exec_lo
                                        ; implicit-def: $vgpr180
	s_or_saveexec_b32 s34, s34
	v_mov_b32_e32 v179, s31
	s_xor_b32 exec_lo, exec_lo, s34
	s_cbranch_execz .LBB4_5930
.LBB4_6314:                             ;   in Loop: Header=BB4_5753 Depth=3
	v_cmp_ne_u16_e64 vcc_lo, 0, v180
	v_mov_b32_e32 v179, 0
	s_and_not1_b32 s13, s13, exec_lo
	s_delay_alu instid0(VALU_DEP_2) | instskip(NEXT) | instid1(SALU_CYCLE_1)
	s_and_b32 vcc_lo, vcc_lo, exec_lo
	s_or_b32 s13, s13, vcc_lo
	s_or_b32 exec_lo, exec_lo, s34
	s_and_saveexec_b32 s31, s13
	s_cbranch_execnz .LBB4_5931
	s_branch .LBB4_5932
.LBB4_6315:                             ;   in Loop: Header=BB4_5753 Depth=3
	s_mov_b32 s13, -1
	s_mov_b32 s35, exec_lo
                                        ; implicit-def: $sgpr31
	v_cmpx_eq_u16_e64 0x80, v181
; %bb.6316:                             ;   in Loop: Header=BB4_5753 Depth=3
	s_mov_b32 s31, 0x7f800001
	s_xor_b32 s13, exec_lo, -1
; %bb.6317:                             ;   in Loop: Header=BB4_5753 Depth=3
	s_or_b32 exec_lo, exec_lo, s35
	s_delay_alu instid0(SALU_CYCLE_1)
	s_and_b32 s13, s13, exec_lo
                                        ; implicit-def: $vgpr181
	s_or_saveexec_b32 s34, s34
	v_mov_b32_e32 v180, s31
	s_xor_b32 exec_lo, exec_lo, s34
	s_cbranch_execz .LBB4_5934
.LBB4_6318:                             ;   in Loop: Header=BB4_5753 Depth=3
	v_cmp_ne_u16_e64 vcc_lo, 0, v181
	v_mov_b32_e32 v180, 0
	s_and_not1_b32 s13, s13, exec_lo
	s_delay_alu instid0(VALU_DEP_2) | instskip(NEXT) | instid1(SALU_CYCLE_1)
	s_and_b32 vcc_lo, vcc_lo, exec_lo
	s_or_b32 s13, s13, vcc_lo
	s_or_b32 exec_lo, exec_lo, s34
	s_and_saveexec_b32 s31, s13
	s_cbranch_execnz .LBB4_5935
	s_branch .LBB4_5936
.LBB4_6319:                             ;   in Loop: Header=BB4_5753 Depth=3
	s_mov_b32 s13, -1
	s_mov_b32 s35, exec_lo
                                        ; implicit-def: $sgpr31
	v_cmpx_eq_u16_e64 0x80, v180
; %bb.6320:                             ;   in Loop: Header=BB4_5753 Depth=3
	s_mov_b32 s31, 0x7f800001
	s_xor_b32 s13, exec_lo, -1
; %bb.6321:                             ;   in Loop: Header=BB4_5753 Depth=3
	s_or_b32 exec_lo, exec_lo, s35
	s_delay_alu instid0(SALU_CYCLE_1)
	s_and_b32 s13, s13, exec_lo
                                        ; implicit-def: $vgpr180
	s_or_saveexec_b32 s34, s34
	v_mov_b32_e32 v179, s31
	s_xor_b32 exec_lo, exec_lo, s34
	s_cbranch_execz .LBB4_5941
.LBB4_6322:                             ;   in Loop: Header=BB4_5753 Depth=3
	v_cmp_ne_u16_e64 vcc_lo, 0, v180
	v_mov_b32_e32 v179, 0
	s_and_not1_b32 s13, s13, exec_lo
	s_delay_alu instid0(VALU_DEP_2) | instskip(NEXT) | instid1(SALU_CYCLE_1)
	s_and_b32 vcc_lo, vcc_lo, exec_lo
	s_or_b32 s13, s13, vcc_lo
	s_or_b32 exec_lo, exec_lo, s34
	s_and_saveexec_b32 s31, s13
	s_cbranch_execnz .LBB4_5942
	s_branch .LBB4_5943
.LBB4_6323:                             ;   in Loop: Header=BB4_5753 Depth=3
	s_mov_b32 s13, -1
	s_mov_b32 s35, exec_lo
                                        ; implicit-def: $sgpr31
	v_cmpx_eq_u16_e64 0x80, v180
; %bb.6324:                             ;   in Loop: Header=BB4_5753 Depth=3
	s_mov_b32 s31, 0x7f800001
	s_xor_b32 s13, exec_lo, -1
; %bb.6325:                             ;   in Loop: Header=BB4_5753 Depth=3
	s_or_b32 exec_lo, exec_lo, s35
	s_delay_alu instid0(SALU_CYCLE_1)
	s_and_b32 s13, s13, exec_lo
                                        ; implicit-def: $vgpr180
	s_or_saveexec_b32 s34, s34
	v_mov_b32_e32 v178, s31
	s_xor_b32 exec_lo, exec_lo, s34
	s_cbranch_execz .LBB4_5945
.LBB4_6326:                             ;   in Loop: Header=BB4_5753 Depth=3
	v_cmp_ne_u16_e64 vcc_lo, 0, v180
	v_mov_b32_e32 v178, 0
	s_and_not1_b32 s13, s13, exec_lo
	s_delay_alu instid0(VALU_DEP_2) | instskip(NEXT) | instid1(SALU_CYCLE_1)
	s_and_b32 vcc_lo, vcc_lo, exec_lo
	s_or_b32 s13, s13, vcc_lo
	s_or_b32 exec_lo, exec_lo, s34
	s_and_saveexec_b32 s31, s13
	s_cbranch_execnz .LBB4_5946
	s_branch .LBB4_5947
.LBB4_6327:                             ;   in Loop: Header=BB4_5753 Depth=3
	s_mov_b32 s13, -1
	s_mov_b32 s35, exec_lo
                                        ; implicit-def: $sgpr31
	v_cmpx_eq_u16_e64 0x80, v179
; %bb.6328:                             ;   in Loop: Header=BB4_5753 Depth=3
	s_mov_b32 s31, 0x7f800001
	s_xor_b32 s13, exec_lo, -1
; %bb.6329:                             ;   in Loop: Header=BB4_5753 Depth=3
	s_or_b32 exec_lo, exec_lo, s35
	s_delay_alu instid0(SALU_CYCLE_1)
	s_and_b32 s13, s13, exec_lo
                                        ; implicit-def: $vgpr179
	s_or_saveexec_b32 s34, s34
	v_mov_b32_e32 v178, s31
	s_xor_b32 exec_lo, exec_lo, s34
	s_cbranch_execz .LBB4_5959
.LBB4_6330:                             ;   in Loop: Header=BB4_5753 Depth=3
	v_cmp_ne_u16_e64 vcc_lo, 0, v179
	v_mov_b32_e32 v178, 0
	s_and_not1_b32 s13, s13, exec_lo
	s_delay_alu instid0(VALU_DEP_2) | instskip(NEXT) | instid1(SALU_CYCLE_1)
	s_and_b32 vcc_lo, vcc_lo, exec_lo
	s_or_b32 s13, s13, vcc_lo
	s_or_b32 exec_lo, exec_lo, s34
	s_and_saveexec_b32 s31, s13
	s_cbranch_execnz .LBB4_5960
	s_branch .LBB4_5961
.LBB4_6331:                             ;   in Loop: Header=BB4_5753 Depth=3
	s_mov_b32 s13, -1
	s_mov_b32 s35, exec_lo
                                        ; implicit-def: $sgpr31
	v_cmpx_eq_u16_e64 0x80, v180
; %bb.6332:                             ;   in Loop: Header=BB4_5753 Depth=3
	s_mov_b32 s31, 0x7f800001
	s_xor_b32 s13, exec_lo, -1
; %bb.6333:                             ;   in Loop: Header=BB4_5753 Depth=3
	s_or_b32 exec_lo, exec_lo, s35
	s_delay_alu instid0(SALU_CYCLE_1)
	s_and_b32 s13, s13, exec_lo
                                        ; implicit-def: $vgpr180
	s_or_saveexec_b32 s34, s34
	v_mov_b32_e32 v179, s31
	s_xor_b32 exec_lo, exec_lo, s34
	s_cbranch_execz .LBB4_5963
.LBB4_6334:                             ;   in Loop: Header=BB4_5753 Depth=3
	v_cmp_ne_u16_e64 vcc_lo, 0, v180
	v_mov_b32_e32 v179, 0
	s_and_not1_b32 s13, s13, exec_lo
	s_delay_alu instid0(VALU_DEP_2) | instskip(NEXT) | instid1(SALU_CYCLE_1)
	s_and_b32 vcc_lo, vcc_lo, exec_lo
	s_or_b32 s13, s13, vcc_lo
	s_or_b32 exec_lo, exec_lo, s34
	s_and_saveexec_b32 s31, s13
	s_cbranch_execnz .LBB4_5964
	s_branch .LBB4_5965
.LBB4_6335:                             ;   in Loop: Header=BB4_5753 Depth=3
	s_mov_b32 s13, -1
	s_mov_b32 s35, exec_lo
                                        ; implicit-def: $sgpr31
	v_cmpx_eq_u16_e64 0x80, v179
; %bb.6336:                             ;   in Loop: Header=BB4_5753 Depth=3
	s_mov_b32 s31, 0x7f800001
	s_xor_b32 s13, exec_lo, -1
; %bb.6337:                             ;   in Loop: Header=BB4_5753 Depth=3
	s_or_b32 exec_lo, exec_lo, s35
	s_delay_alu instid0(SALU_CYCLE_1)
	s_and_b32 s13, s13, exec_lo
                                        ; implicit-def: $vgpr179
	s_or_saveexec_b32 s34, s34
	v_mov_b32_e32 v178, s31
	s_xor_b32 exec_lo, exec_lo, s34
	s_cbranch_execz .LBB4_5970
.LBB4_6338:                             ;   in Loop: Header=BB4_5753 Depth=3
	v_cmp_ne_u16_e64 vcc_lo, 0, v179
	v_mov_b32_e32 v178, 0
	s_and_not1_b32 s13, s13, exec_lo
	s_delay_alu instid0(VALU_DEP_2) | instskip(NEXT) | instid1(SALU_CYCLE_1)
	s_and_b32 vcc_lo, vcc_lo, exec_lo
	s_or_b32 s13, s13, vcc_lo
	s_or_b32 exec_lo, exec_lo, s34
	s_and_saveexec_b32 s31, s13
	s_cbranch_execnz .LBB4_5971
	s_branch .LBB4_5972
.LBB4_6339:                             ;   in Loop: Header=BB4_5753 Depth=3
	s_mov_b32 s13, -1
	s_mov_b32 s35, exec_lo
                                        ; implicit-def: $sgpr31
	v_cmpx_eq_u16_e64 0x80, v179
; %bb.6340:                             ;   in Loop: Header=BB4_5753 Depth=3
	s_mov_b32 s31, 0x7f800001
	s_xor_b32 s13, exec_lo, -1
; %bb.6341:                             ;   in Loop: Header=BB4_5753 Depth=3
	s_or_b32 exec_lo, exec_lo, s35
	s_delay_alu instid0(SALU_CYCLE_1)
	s_and_b32 s13, s13, exec_lo
                                        ; implicit-def: $vgpr179
	s_or_saveexec_b32 s34, s34
	v_mov_b32_e32 v177, s31
	s_xor_b32 exec_lo, exec_lo, s34
	s_cbranch_execz .LBB4_5974
.LBB4_6342:                             ;   in Loop: Header=BB4_5753 Depth=3
	v_cmp_ne_u16_e64 vcc_lo, 0, v179
	v_mov_b32_e32 v177, 0
	s_and_not1_b32 s13, s13, exec_lo
	s_delay_alu instid0(VALU_DEP_2) | instskip(NEXT) | instid1(SALU_CYCLE_1)
	s_and_b32 vcc_lo, vcc_lo, exec_lo
	s_or_b32 s13, s13, vcc_lo
	s_or_b32 exec_lo, exec_lo, s34
	s_and_saveexec_b32 s31, s13
	s_cbranch_execnz .LBB4_5975
	s_branch .LBB4_5976
.LBB4_6343:                             ;   in Loop: Header=BB4_5753 Depth=3
	s_mov_b32 s13, -1
	s_mov_b32 s35, exec_lo
                                        ; implicit-def: $sgpr31
	v_cmpx_eq_u16_e64 0x80, v178
; %bb.6344:                             ;   in Loop: Header=BB4_5753 Depth=3
	s_mov_b32 s31, 0x7f800001
	s_xor_b32 s13, exec_lo, -1
; %bb.6345:                             ;   in Loop: Header=BB4_5753 Depth=3
	s_or_b32 exec_lo, exec_lo, s35
	s_delay_alu instid0(SALU_CYCLE_1)
	s_and_b32 s13, s13, exec_lo
                                        ; implicit-def: $vgpr178
	s_or_saveexec_b32 s34, s34
	v_mov_b32_e32 v177, s31
	s_xor_b32 exec_lo, exec_lo, s34
	s_cbranch_execz .LBB4_5988
.LBB4_6346:                             ;   in Loop: Header=BB4_5753 Depth=3
	v_cmp_ne_u16_e64 vcc_lo, 0, v178
	v_mov_b32_e32 v177, 0
	s_and_not1_b32 s13, s13, exec_lo
	s_delay_alu instid0(VALU_DEP_2) | instskip(NEXT) | instid1(SALU_CYCLE_1)
	s_and_b32 vcc_lo, vcc_lo, exec_lo
	s_or_b32 s13, s13, vcc_lo
	s_or_b32 exec_lo, exec_lo, s34
	s_and_saveexec_b32 s31, s13
	s_cbranch_execnz .LBB4_5989
	s_branch .LBB4_5990
.LBB4_6347:                             ;   in Loop: Header=BB4_5753 Depth=3
	s_mov_b32 s13, -1
	s_mov_b32 s35, exec_lo
                                        ; implicit-def: $sgpr31
	v_cmpx_eq_u16_e64 0x80, v179
; %bb.6348:                             ;   in Loop: Header=BB4_5753 Depth=3
	s_mov_b32 s31, 0x7f800001
	s_xor_b32 s13, exec_lo, -1
; %bb.6349:                             ;   in Loop: Header=BB4_5753 Depth=3
	s_or_b32 exec_lo, exec_lo, s35
	s_delay_alu instid0(SALU_CYCLE_1)
	s_and_b32 s13, s13, exec_lo
                                        ; implicit-def: $vgpr179
	s_or_saveexec_b32 s34, s34
	v_mov_b32_e32 v178, s31
	s_xor_b32 exec_lo, exec_lo, s34
	s_cbranch_execz .LBB4_5992
.LBB4_6350:                             ;   in Loop: Header=BB4_5753 Depth=3
	v_cmp_ne_u16_e64 vcc_lo, 0, v179
	v_mov_b32_e32 v178, 0
	s_and_not1_b32 s13, s13, exec_lo
	s_delay_alu instid0(VALU_DEP_2) | instskip(NEXT) | instid1(SALU_CYCLE_1)
	s_and_b32 vcc_lo, vcc_lo, exec_lo
	s_or_b32 s13, s13, vcc_lo
	s_or_b32 exec_lo, exec_lo, s34
	s_and_saveexec_b32 s31, s13
	s_cbranch_execnz .LBB4_5993
	s_branch .LBB4_5994
.LBB4_6351:                             ;   in Loop: Header=BB4_5753 Depth=3
	s_mov_b32 s13, -1
	s_mov_b32 s35, exec_lo
                                        ; implicit-def: $sgpr31
	v_cmpx_eq_u16_e64 0x80, v178
; %bb.6352:                             ;   in Loop: Header=BB4_5753 Depth=3
	s_mov_b32 s31, 0x7f800001
	s_xor_b32 s13, exec_lo, -1
; %bb.6353:                             ;   in Loop: Header=BB4_5753 Depth=3
	s_or_b32 exec_lo, exec_lo, s35
	s_delay_alu instid0(SALU_CYCLE_1)
	s_and_b32 s13, s13, exec_lo
                                        ; implicit-def: $vgpr178
	s_or_saveexec_b32 s34, s34
	v_mov_b32_e32 v177, s31
	s_xor_b32 exec_lo, exec_lo, s34
	s_cbranch_execz .LBB4_5999
.LBB4_6354:                             ;   in Loop: Header=BB4_5753 Depth=3
	v_cmp_ne_u16_e64 vcc_lo, 0, v178
	v_mov_b32_e32 v177, 0
	s_and_not1_b32 s13, s13, exec_lo
	s_delay_alu instid0(VALU_DEP_2) | instskip(NEXT) | instid1(SALU_CYCLE_1)
	s_and_b32 vcc_lo, vcc_lo, exec_lo
	s_or_b32 s13, s13, vcc_lo
	s_or_b32 exec_lo, exec_lo, s34
	s_and_saveexec_b32 s31, s13
	s_cbranch_execnz .LBB4_6000
	s_branch .LBB4_6001
.LBB4_6355:                             ;   in Loop: Header=BB4_5753 Depth=3
	s_mov_b32 s13, -1
	s_mov_b32 s35, exec_lo
                                        ; implicit-def: $sgpr31
	v_cmpx_eq_u16_e64 0x80, v178
; %bb.6356:                             ;   in Loop: Header=BB4_5753 Depth=3
	s_mov_b32 s31, 0x7f800001
	s_xor_b32 s13, exec_lo, -1
; %bb.6357:                             ;   in Loop: Header=BB4_5753 Depth=3
	s_or_b32 exec_lo, exec_lo, s35
	s_delay_alu instid0(SALU_CYCLE_1)
	s_and_b32 s13, s13, exec_lo
                                        ; implicit-def: $vgpr178
	s_or_saveexec_b32 s34, s34
	v_mov_b32_e32 v167, s31
	s_xor_b32 exec_lo, exec_lo, s34
	s_cbranch_execz .LBB4_6003
.LBB4_6358:                             ;   in Loop: Header=BB4_5753 Depth=3
	v_cmp_ne_u16_e64 vcc_lo, 0, v178
	v_mov_b32_e32 v167, 0
	s_and_not1_b32 s13, s13, exec_lo
	s_delay_alu instid0(VALU_DEP_2) | instskip(NEXT) | instid1(SALU_CYCLE_1)
	s_and_b32 vcc_lo, vcc_lo, exec_lo
	s_or_b32 s13, s13, vcc_lo
	s_or_b32 exec_lo, exec_lo, s34
	s_and_saveexec_b32 s31, s13
	s_cbranch_execnz .LBB4_6004
	s_branch .LBB4_6005
.LBB4_6359:                             ;   in Loop: Header=BB4_5753 Depth=3
	s_mov_b32 s13, -1
	s_mov_b32 s35, exec_lo
                                        ; implicit-def: $sgpr31
	v_cmpx_eq_u16_e64 0x80, v177
; %bb.6360:                             ;   in Loop: Header=BB4_5753 Depth=3
	s_mov_b32 s31, 0x7f800001
	s_xor_b32 s13, exec_lo, -1
; %bb.6361:                             ;   in Loop: Header=BB4_5753 Depth=3
	s_or_b32 exec_lo, exec_lo, s35
	s_delay_alu instid0(SALU_CYCLE_1)
	s_and_b32 s13, s13, exec_lo
                                        ; implicit-def: $vgpr177
	s_or_saveexec_b32 s34, s34
	v_mov_b32_e32 v167, s31
	s_xor_b32 exec_lo, exec_lo, s34
	s_cbranch_execz .LBB4_6017
.LBB4_6362:                             ;   in Loop: Header=BB4_5753 Depth=3
	v_cmp_ne_u16_e64 vcc_lo, 0, v177
	v_mov_b32_e32 v167, 0
	s_and_not1_b32 s13, s13, exec_lo
	s_delay_alu instid0(VALU_DEP_2) | instskip(NEXT) | instid1(SALU_CYCLE_1)
	s_and_b32 vcc_lo, vcc_lo, exec_lo
	s_or_b32 s13, s13, vcc_lo
	s_or_b32 exec_lo, exec_lo, s34
	s_and_saveexec_b32 s31, s13
	s_cbranch_execnz .LBB4_6018
	s_branch .LBB4_6019
.LBB4_6363:                             ;   in Loop: Header=BB4_5753 Depth=3
	s_mov_b32 s13, -1
	s_mov_b32 s35, exec_lo
                                        ; implicit-def: $sgpr31
	v_cmpx_eq_u16_e64 0x80, v178
; %bb.6364:                             ;   in Loop: Header=BB4_5753 Depth=3
	s_mov_b32 s31, 0x7f800001
	s_xor_b32 s13, exec_lo, -1
; %bb.6365:                             ;   in Loop: Header=BB4_5753 Depth=3
	s_or_b32 exec_lo, exec_lo, s35
	s_delay_alu instid0(SALU_CYCLE_1)
	s_and_b32 s13, s13, exec_lo
                                        ; implicit-def: $vgpr178
	s_or_saveexec_b32 s34, s34
	v_mov_b32_e32 v177, s31
	s_xor_b32 exec_lo, exec_lo, s34
	s_cbranch_execz .LBB4_6021
.LBB4_6366:                             ;   in Loop: Header=BB4_5753 Depth=3
	v_cmp_ne_u16_e64 vcc_lo, 0, v178
	v_mov_b32_e32 v177, 0
	s_and_not1_b32 s13, s13, exec_lo
	s_delay_alu instid0(VALU_DEP_2) | instskip(NEXT) | instid1(SALU_CYCLE_1)
	s_and_b32 vcc_lo, vcc_lo, exec_lo
	s_or_b32 s13, s13, vcc_lo
	s_or_b32 exec_lo, exec_lo, s34
	s_and_saveexec_b32 s31, s13
	s_cbranch_execnz .LBB4_6022
	s_branch .LBB4_6023
.LBB4_6367:                             ;   in Loop: Header=BB4_5753 Depth=3
	s_mov_b32 s13, -1
	s_mov_b32 s35, exec_lo
                                        ; implicit-def: $sgpr31
	v_cmpx_eq_u16_e64 0x80, v177
; %bb.6368:                             ;   in Loop: Header=BB4_5753 Depth=3
	s_mov_b32 s31, 0x7f800001
	s_xor_b32 s13, exec_lo, -1
; %bb.6369:                             ;   in Loop: Header=BB4_5753 Depth=3
	s_or_b32 exec_lo, exec_lo, s35
	s_delay_alu instid0(SALU_CYCLE_1)
	s_and_b32 s13, s13, exec_lo
                                        ; implicit-def: $vgpr177
	s_or_saveexec_b32 s34, s34
	v_mov_b32_e32 v167, s31
	s_xor_b32 exec_lo, exec_lo, s34
	s_cbranch_execz .LBB4_6028
.LBB4_6370:                             ;   in Loop: Header=BB4_5753 Depth=3
	v_cmp_ne_u16_e64 vcc_lo, 0, v177
	v_mov_b32_e32 v167, 0
	s_and_not1_b32 s13, s13, exec_lo
	s_delay_alu instid0(VALU_DEP_2) | instskip(NEXT) | instid1(SALU_CYCLE_1)
	s_and_b32 vcc_lo, vcc_lo, exec_lo
	s_or_b32 s13, s13, vcc_lo
	s_or_b32 exec_lo, exec_lo, s34
	s_and_saveexec_b32 s31, s13
	s_cbranch_execnz .LBB4_6029
	s_branch .LBB4_6030
.LBB4_6371:                             ;   in Loop: Header=BB4_5753 Depth=3
	s_mov_b32 s13, -1
	s_mov_b32 s35, exec_lo
                                        ; implicit-def: $sgpr31
	v_cmpx_eq_u16_e64 0x80, v177
; %bb.6372:                             ;   in Loop: Header=BB4_5753 Depth=3
	s_mov_b32 s31, 0x7f800001
	s_xor_b32 s13, exec_lo, -1
; %bb.6373:                             ;   in Loop: Header=BB4_5753 Depth=3
	s_or_b32 exec_lo, exec_lo, s35
	s_delay_alu instid0(SALU_CYCLE_1)
	s_and_b32 s13, s13, exec_lo
                                        ; implicit-def: $vgpr177
	s_or_saveexec_b32 s34, s34
	v_mov_b32_e32 v164, s31
	s_xor_b32 exec_lo, exec_lo, s34
	s_cbranch_execz .LBB4_6032
.LBB4_6374:                             ;   in Loop: Header=BB4_5753 Depth=3
	v_cmp_ne_u16_e64 vcc_lo, 0, v177
	v_mov_b32_e32 v164, 0
	s_and_not1_b32 s13, s13, exec_lo
	s_delay_alu instid0(VALU_DEP_2) | instskip(NEXT) | instid1(SALU_CYCLE_1)
	s_and_b32 vcc_lo, vcc_lo, exec_lo
	s_or_b32 s13, s13, vcc_lo
	s_or_b32 exec_lo, exec_lo, s34
	s_and_saveexec_b32 s31, s13
	s_cbranch_execnz .LBB4_6033
	s_branch .LBB4_6034
.LBB4_6375:                             ;   in Loop: Header=BB4_5753 Depth=3
	s_mov_b32 s13, -1
	s_mov_b32 s35, exec_lo
                                        ; implicit-def: $sgpr31
	v_cmpx_eq_u16_e64 0x80, v167
; %bb.6376:                             ;   in Loop: Header=BB4_5753 Depth=3
	s_mov_b32 s31, 0x7f800001
	s_xor_b32 s13, exec_lo, -1
; %bb.6377:                             ;   in Loop: Header=BB4_5753 Depth=3
	s_or_b32 exec_lo, exec_lo, s35
	s_delay_alu instid0(SALU_CYCLE_1)
	s_and_b32 s13, s13, exec_lo
                                        ; implicit-def: $vgpr167
	s_or_saveexec_b32 s34, s34
	v_mov_b32_e32 v164, s31
	s_xor_b32 exec_lo, exec_lo, s34
	s_cbranch_execz .LBB4_6046
.LBB4_6378:                             ;   in Loop: Header=BB4_5753 Depth=3
	v_cmp_ne_u16_e64 vcc_lo, 0, v167
	v_mov_b32_e32 v164, 0
	s_and_not1_b32 s13, s13, exec_lo
	s_delay_alu instid0(VALU_DEP_2) | instskip(NEXT) | instid1(SALU_CYCLE_1)
	s_and_b32 vcc_lo, vcc_lo, exec_lo
	s_or_b32 s13, s13, vcc_lo
	s_or_b32 exec_lo, exec_lo, s34
	s_and_saveexec_b32 s31, s13
	s_cbranch_execnz .LBB4_6047
	s_branch .LBB4_6048
.LBB4_6379:                             ;   in Loop: Header=BB4_5753 Depth=3
	s_mov_b32 s13, -1
	s_mov_b32 s35, exec_lo
                                        ; implicit-def: $sgpr31
	v_cmpx_eq_u16_e64 0x80, v177
; %bb.6380:                             ;   in Loop: Header=BB4_5753 Depth=3
	s_mov_b32 s31, 0x7f800001
	s_xor_b32 s13, exec_lo, -1
; %bb.6381:                             ;   in Loop: Header=BB4_5753 Depth=3
	s_or_b32 exec_lo, exec_lo, s35
	s_delay_alu instid0(SALU_CYCLE_1)
	s_and_b32 s13, s13, exec_lo
                                        ; implicit-def: $vgpr177
	s_or_saveexec_b32 s34, s34
	v_mov_b32_e32 v167, s31
	s_xor_b32 exec_lo, exec_lo, s34
	s_cbranch_execz .LBB4_6050
.LBB4_6382:                             ;   in Loop: Header=BB4_5753 Depth=3
	v_cmp_ne_u16_e64 vcc_lo, 0, v177
	v_mov_b32_e32 v167, 0
	s_and_not1_b32 s13, s13, exec_lo
	s_delay_alu instid0(VALU_DEP_2) | instskip(NEXT) | instid1(SALU_CYCLE_1)
	s_and_b32 vcc_lo, vcc_lo, exec_lo
	s_or_b32 s13, s13, vcc_lo
	s_or_b32 exec_lo, exec_lo, s34
	s_and_saveexec_b32 s31, s13
	s_cbranch_execnz .LBB4_6051
	s_branch .LBB4_6052
.LBB4_6383:                             ;   in Loop: Header=BB4_5753 Depth=3
	s_mov_b32 s13, -1
	s_mov_b32 s35, exec_lo
                                        ; implicit-def: $sgpr31
	v_cmpx_eq_u16_e64 0x80, v167
; %bb.6384:                             ;   in Loop: Header=BB4_5753 Depth=3
	s_mov_b32 s31, 0x7f800001
	s_xor_b32 s13, exec_lo, -1
; %bb.6385:                             ;   in Loop: Header=BB4_5753 Depth=3
	s_or_b32 exec_lo, exec_lo, s35
	s_delay_alu instid0(SALU_CYCLE_1)
	s_and_b32 s13, s13, exec_lo
                                        ; implicit-def: $vgpr167
	s_or_saveexec_b32 s34, s34
	v_mov_b32_e32 v164, s31
	s_xor_b32 exec_lo, exec_lo, s34
	s_cbranch_execz .LBB4_6057
.LBB4_6386:                             ;   in Loop: Header=BB4_5753 Depth=3
	v_cmp_ne_u16_e64 vcc_lo, 0, v167
	v_mov_b32_e32 v164, 0
	s_and_not1_b32 s13, s13, exec_lo
	s_delay_alu instid0(VALU_DEP_2) | instskip(NEXT) | instid1(SALU_CYCLE_1)
	s_and_b32 vcc_lo, vcc_lo, exec_lo
	s_or_b32 s13, s13, vcc_lo
	s_or_b32 exec_lo, exec_lo, s34
	s_and_saveexec_b32 s31, s13
	s_cbranch_execnz .LBB4_6058
	s_branch .LBB4_6059
.LBB4_6387:                             ;   in Loop: Header=BB4_5753 Depth=3
	s_mov_b32 s13, -1
	s_mov_b32 s35, exec_lo
                                        ; implicit-def: $sgpr31
	v_cmpx_eq_u16_e64 0x80, v167
; %bb.6388:                             ;   in Loop: Header=BB4_5753 Depth=3
	s_mov_b32 s31, 0x7f800001
	s_xor_b32 s13, exec_lo, -1
; %bb.6389:                             ;   in Loop: Header=BB4_5753 Depth=3
	s_or_b32 exec_lo, exec_lo, s35
	s_delay_alu instid0(SALU_CYCLE_1)
	s_and_b32 s13, s13, exec_lo
                                        ; implicit-def: $vgpr167
	s_or_saveexec_b32 s34, s34
	v_mov_b32_e32 v161, s31
	s_xor_b32 exec_lo, exec_lo, s34
	s_cbranch_execz .LBB4_6061
.LBB4_6390:                             ;   in Loop: Header=BB4_5753 Depth=3
	v_cmp_ne_u16_e64 vcc_lo, 0, v167
	v_mov_b32_e32 v161, 0
	s_and_not1_b32 s13, s13, exec_lo
	s_delay_alu instid0(VALU_DEP_2) | instskip(NEXT) | instid1(SALU_CYCLE_1)
	s_and_b32 vcc_lo, vcc_lo, exec_lo
	s_or_b32 s13, s13, vcc_lo
	s_or_b32 exec_lo, exec_lo, s34
	s_and_saveexec_b32 s31, s13
	s_cbranch_execnz .LBB4_6062
	s_branch .LBB4_6063
.LBB4_6391:                             ;   in Loop: Header=BB4_5753 Depth=3
	s_mov_b32 s13, -1
	s_mov_b32 s35, exec_lo
                                        ; implicit-def: $sgpr31
	v_cmpx_eq_u16_e64 0x80, v164
; %bb.6392:                             ;   in Loop: Header=BB4_5753 Depth=3
	s_mov_b32 s31, 0x7f800001
	s_xor_b32 s13, exec_lo, -1
; %bb.6393:                             ;   in Loop: Header=BB4_5753 Depth=3
	s_or_b32 exec_lo, exec_lo, s35
	s_delay_alu instid0(SALU_CYCLE_1)
	s_and_b32 s13, s13, exec_lo
                                        ; implicit-def: $vgpr164
	s_or_saveexec_b32 s34, s34
	v_mov_b32_e32 v161, s31
	s_xor_b32 exec_lo, exec_lo, s34
	s_cbranch_execz .LBB4_6075
.LBB4_6394:                             ;   in Loop: Header=BB4_5753 Depth=3
	v_cmp_ne_u16_e64 vcc_lo, 0, v164
	v_mov_b32_e32 v161, 0
	s_and_not1_b32 s13, s13, exec_lo
	s_delay_alu instid0(VALU_DEP_2) | instskip(NEXT) | instid1(SALU_CYCLE_1)
	s_and_b32 vcc_lo, vcc_lo, exec_lo
	s_or_b32 s13, s13, vcc_lo
	s_or_b32 exec_lo, exec_lo, s34
	s_and_saveexec_b32 s31, s13
	s_cbranch_execnz .LBB4_6076
	s_branch .LBB4_6077
.LBB4_6395:                             ;   in Loop: Header=BB4_5753 Depth=3
	s_mov_b32 s13, -1
	s_mov_b32 s35, exec_lo
                                        ; implicit-def: $sgpr31
	v_cmpx_eq_u16_e64 0x80, v167
; %bb.6396:                             ;   in Loop: Header=BB4_5753 Depth=3
	s_mov_b32 s31, 0x7f800001
	s_xor_b32 s13, exec_lo, -1
; %bb.6397:                             ;   in Loop: Header=BB4_5753 Depth=3
	s_or_b32 exec_lo, exec_lo, s35
	s_delay_alu instid0(SALU_CYCLE_1)
	s_and_b32 s13, s13, exec_lo
                                        ; implicit-def: $vgpr167
	s_or_saveexec_b32 s34, s34
	v_mov_b32_e32 v164, s31
	s_xor_b32 exec_lo, exec_lo, s34
	s_cbranch_execz .LBB4_6079
.LBB4_6398:                             ;   in Loop: Header=BB4_5753 Depth=3
	v_cmp_ne_u16_e64 vcc_lo, 0, v167
	v_mov_b32_e32 v164, 0
	s_and_not1_b32 s13, s13, exec_lo
	s_delay_alu instid0(VALU_DEP_2) | instskip(NEXT) | instid1(SALU_CYCLE_1)
	s_and_b32 vcc_lo, vcc_lo, exec_lo
	s_or_b32 s13, s13, vcc_lo
	s_or_b32 exec_lo, exec_lo, s34
	s_and_saveexec_b32 s31, s13
	s_cbranch_execnz .LBB4_6080
	s_branch .LBB4_6081
.LBB4_6399:                             ;   in Loop: Header=BB4_5753 Depth=3
	s_mov_b32 s13, -1
	s_mov_b32 s35, exec_lo
                                        ; implicit-def: $sgpr31
	v_cmpx_eq_u16_e64 0x80, v164
; %bb.6400:                             ;   in Loop: Header=BB4_5753 Depth=3
	s_mov_b32 s31, 0x7f800001
	s_xor_b32 s13, exec_lo, -1
; %bb.6401:                             ;   in Loop: Header=BB4_5753 Depth=3
	s_or_b32 exec_lo, exec_lo, s35
	s_delay_alu instid0(SALU_CYCLE_1)
	s_and_b32 s13, s13, exec_lo
                                        ; implicit-def: $vgpr164
	s_or_saveexec_b32 s34, s34
	v_mov_b32_e32 v161, s31
	s_xor_b32 exec_lo, exec_lo, s34
	s_cbranch_execz .LBB4_6086
.LBB4_6402:                             ;   in Loop: Header=BB4_5753 Depth=3
	v_cmp_ne_u16_e64 vcc_lo, 0, v164
	v_mov_b32_e32 v161, 0
	s_and_not1_b32 s13, s13, exec_lo
	s_delay_alu instid0(VALU_DEP_2) | instskip(NEXT) | instid1(SALU_CYCLE_1)
	s_and_b32 vcc_lo, vcc_lo, exec_lo
	s_or_b32 s13, s13, vcc_lo
	s_or_b32 exec_lo, exec_lo, s34
	s_and_saveexec_b32 s31, s13
	s_cbranch_execnz .LBB4_6087
	s_branch .LBB4_6088
.LBB4_6403:                             ;   in Loop: Header=BB4_5753 Depth=3
	s_mov_b32 s13, -1
	s_mov_b32 s35, exec_lo
                                        ; implicit-def: $sgpr31
	v_cmpx_eq_u16_e64 0x80, v164
; %bb.6404:                             ;   in Loop: Header=BB4_5753 Depth=3
	s_mov_b32 s31, 0x7f800001
	s_xor_b32 s13, exec_lo, -1
; %bb.6405:                             ;   in Loop: Header=BB4_5753 Depth=3
	s_or_b32 exec_lo, exec_lo, s35
	s_delay_alu instid0(SALU_CYCLE_1)
	s_and_b32 s13, s13, exec_lo
                                        ; implicit-def: $vgpr164
	s_or_saveexec_b32 s34, s34
	v_mov_b32_e32 v150, s31
	s_xor_b32 exec_lo, exec_lo, s34
	s_cbranch_execz .LBB4_6090
.LBB4_6406:                             ;   in Loop: Header=BB4_5753 Depth=3
	v_cmp_ne_u16_e64 vcc_lo, 0, v164
	v_mov_b32_e32 v150, 0
	s_and_not1_b32 s13, s13, exec_lo
	s_delay_alu instid0(VALU_DEP_2) | instskip(NEXT) | instid1(SALU_CYCLE_1)
	s_and_b32 vcc_lo, vcc_lo, exec_lo
	s_or_b32 s13, s13, vcc_lo
	s_or_b32 exec_lo, exec_lo, s34
	s_and_saveexec_b32 s31, s13
	s_cbranch_execnz .LBB4_6091
	s_branch .LBB4_6092
.LBB4_6407:                             ;   in Loop: Header=BB4_5753 Depth=3
	s_mov_b32 s13, -1
	s_mov_b32 s35, exec_lo
                                        ; implicit-def: $sgpr31
	v_cmpx_eq_u16_e64 0x80, v161
; %bb.6408:                             ;   in Loop: Header=BB4_5753 Depth=3
	s_mov_b32 s31, 0x7f800001
	s_xor_b32 s13, exec_lo, -1
; %bb.6409:                             ;   in Loop: Header=BB4_5753 Depth=3
	s_or_b32 exec_lo, exec_lo, s35
	s_delay_alu instid0(SALU_CYCLE_1)
	s_and_b32 s13, s13, exec_lo
                                        ; implicit-def: $vgpr161
	s_or_saveexec_b32 s34, s34
	v_mov_b32_e32 v150, s31
	s_xor_b32 exec_lo, exec_lo, s34
	s_cbranch_execz .LBB4_6104
.LBB4_6410:                             ;   in Loop: Header=BB4_5753 Depth=3
	v_cmp_ne_u16_e64 vcc_lo, 0, v161
	v_mov_b32_e32 v150, 0
	s_and_not1_b32 s13, s13, exec_lo
	s_delay_alu instid0(VALU_DEP_2) | instskip(NEXT) | instid1(SALU_CYCLE_1)
	s_and_b32 vcc_lo, vcc_lo, exec_lo
	s_or_b32 s13, s13, vcc_lo
	s_or_b32 exec_lo, exec_lo, s34
	s_and_saveexec_b32 s31, s13
	s_cbranch_execnz .LBB4_6105
	s_branch .LBB4_6106
.LBB4_6411:                             ;   in Loop: Header=BB4_5753 Depth=3
	s_mov_b32 s13, -1
	s_mov_b32 s35, exec_lo
                                        ; implicit-def: $sgpr31
	v_cmpx_eq_u16_e64 0x80, v164
; %bb.6412:                             ;   in Loop: Header=BB4_5753 Depth=3
	s_mov_b32 s31, 0x7f800001
	s_xor_b32 s13, exec_lo, -1
; %bb.6413:                             ;   in Loop: Header=BB4_5753 Depth=3
	s_or_b32 exec_lo, exec_lo, s35
	s_delay_alu instid0(SALU_CYCLE_1)
	s_and_b32 s13, s13, exec_lo
                                        ; implicit-def: $vgpr164
	s_or_saveexec_b32 s34, s34
	v_mov_b32_e32 v161, s31
	s_xor_b32 exec_lo, exec_lo, s34
	s_cbranch_execz .LBB4_6108
.LBB4_6414:                             ;   in Loop: Header=BB4_5753 Depth=3
	v_cmp_ne_u16_e64 vcc_lo, 0, v164
	v_mov_b32_e32 v161, 0
	s_and_not1_b32 s13, s13, exec_lo
	s_delay_alu instid0(VALU_DEP_2) | instskip(NEXT) | instid1(SALU_CYCLE_1)
	s_and_b32 vcc_lo, vcc_lo, exec_lo
	s_or_b32 s13, s13, vcc_lo
	s_or_b32 exec_lo, exec_lo, s34
	s_and_saveexec_b32 s31, s13
	s_cbranch_execnz .LBB4_6109
	s_branch .LBB4_6110
.LBB4_6415:                             ;   in Loop: Header=BB4_5753 Depth=3
	s_mov_b32 s13, -1
	s_mov_b32 s35, exec_lo
                                        ; implicit-def: $sgpr31
	v_cmpx_eq_u16_e64 0x80, v161
; %bb.6416:                             ;   in Loop: Header=BB4_5753 Depth=3
	s_mov_b32 s31, 0x7f800001
	s_xor_b32 s13, exec_lo, -1
; %bb.6417:                             ;   in Loop: Header=BB4_5753 Depth=3
	s_or_b32 exec_lo, exec_lo, s35
	s_delay_alu instid0(SALU_CYCLE_1)
	s_and_b32 s13, s13, exec_lo
                                        ; implicit-def: $vgpr161
	s_or_saveexec_b32 s34, s34
	v_mov_b32_e32 v150, s31
	s_xor_b32 exec_lo, exec_lo, s34
	s_cbranch_execz .LBB4_6115
.LBB4_6418:                             ;   in Loop: Header=BB4_5753 Depth=3
	v_cmp_ne_u16_e64 vcc_lo, 0, v161
	v_mov_b32_e32 v150, 0
	s_and_not1_b32 s13, s13, exec_lo
	s_delay_alu instid0(VALU_DEP_2) | instskip(NEXT) | instid1(SALU_CYCLE_1)
	s_and_b32 vcc_lo, vcc_lo, exec_lo
	s_or_b32 s13, s13, vcc_lo
	s_or_b32 exec_lo, exec_lo, s34
	s_and_saveexec_b32 s31, s13
	s_cbranch_execnz .LBB4_6116
	s_branch .LBB4_6117
.LBB4_6419:                             ;   in Loop: Header=BB4_5753 Depth=3
	s_mov_b32 s13, -1
	s_mov_b32 s35, exec_lo
                                        ; implicit-def: $sgpr31
	v_cmpx_eq_u16_e64 0x80, v161
; %bb.6420:                             ;   in Loop: Header=BB4_5753 Depth=3
	s_mov_b32 s31, 0x7f800001
	s_xor_b32 s13, exec_lo, -1
; %bb.6421:                             ;   in Loop: Header=BB4_5753 Depth=3
	s_or_b32 exec_lo, exec_lo, s35
	s_delay_alu instid0(SALU_CYCLE_1)
	s_and_b32 s13, s13, exec_lo
                                        ; implicit-def: $vgpr161
	s_or_saveexec_b32 s34, s34
	v_mov_b32_e32 v84, s31
	s_xor_b32 exec_lo, exec_lo, s34
	s_cbranch_execz .LBB4_6119
.LBB4_6422:                             ;   in Loop: Header=BB4_5753 Depth=3
	v_cmp_ne_u16_e64 vcc_lo, 0, v161
	v_mov_b32_e32 v84, 0
	s_and_not1_b32 s13, s13, exec_lo
	s_delay_alu instid0(VALU_DEP_2) | instskip(NEXT) | instid1(SALU_CYCLE_1)
	s_and_b32 vcc_lo, vcc_lo, exec_lo
	s_or_b32 s13, s13, vcc_lo
	s_or_b32 exec_lo, exec_lo, s34
	s_and_saveexec_b32 s31, s13
	s_cbranch_execnz .LBB4_6120
	s_branch .LBB4_6121
.LBB4_6423:                             ;   in Loop: Header=BB4_5753 Depth=3
	s_mov_b32 s13, -1
	s_mov_b32 s35, exec_lo
                                        ; implicit-def: $sgpr31
	v_cmpx_eq_u16_e64 0x80, v150
; %bb.6424:                             ;   in Loop: Header=BB4_5753 Depth=3
	s_mov_b32 s31, 0x7f800001
	s_xor_b32 s13, exec_lo, -1
; %bb.6425:                             ;   in Loop: Header=BB4_5753 Depth=3
	s_or_b32 exec_lo, exec_lo, s35
	s_delay_alu instid0(SALU_CYCLE_1)
	s_and_b32 s13, s13, exec_lo
                                        ; implicit-def: $vgpr150
	s_or_saveexec_b32 s34, s34
	v_mov_b32_e32 v84, s31
	s_xor_b32 exec_lo, exec_lo, s34
	s_cbranch_execz .LBB4_6133
.LBB4_6426:                             ;   in Loop: Header=BB4_5753 Depth=3
	v_cmp_ne_u16_e64 vcc_lo, 0, v150
	v_mov_b32_e32 v84, 0
	s_and_not1_b32 s13, s13, exec_lo
	s_delay_alu instid0(VALU_DEP_2) | instskip(NEXT) | instid1(SALU_CYCLE_1)
	s_and_b32 vcc_lo, vcc_lo, exec_lo
	s_or_b32 s13, s13, vcc_lo
	s_or_b32 exec_lo, exec_lo, s34
	s_and_saveexec_b32 s31, s13
	s_cbranch_execnz .LBB4_6134
	s_branch .LBB4_6135
.LBB4_6427:                             ;   in Loop: Header=BB4_5753 Depth=3
	s_mov_b32 s13, -1
	s_mov_b32 s35, exec_lo
                                        ; implicit-def: $sgpr31
	v_cmpx_eq_u16_e64 0x80, v161
; %bb.6428:                             ;   in Loop: Header=BB4_5753 Depth=3
	s_mov_b32 s31, 0x7f800001
	s_xor_b32 s13, exec_lo, -1
; %bb.6429:                             ;   in Loop: Header=BB4_5753 Depth=3
	s_or_b32 exec_lo, exec_lo, s35
	s_delay_alu instid0(SALU_CYCLE_1)
	s_and_b32 s13, s13, exec_lo
                                        ; implicit-def: $vgpr161
	s_or_saveexec_b32 s34, s34
	v_mov_b32_e32 v150, s31
	s_xor_b32 exec_lo, exec_lo, s34
	s_cbranch_execz .LBB4_6137
.LBB4_6430:                             ;   in Loop: Header=BB4_5753 Depth=3
	v_cmp_ne_u16_e64 vcc_lo, 0, v161
	v_mov_b32_e32 v150, 0
	s_and_not1_b32 s13, s13, exec_lo
	s_delay_alu instid0(VALU_DEP_2) | instskip(NEXT) | instid1(SALU_CYCLE_1)
	s_and_b32 vcc_lo, vcc_lo, exec_lo
	s_or_b32 s13, s13, vcc_lo
	s_or_b32 exec_lo, exec_lo, s34
	s_and_saveexec_b32 s31, s13
	s_cbranch_execnz .LBB4_6138
	s_branch .LBB4_6139
.LBB4_6431:                             ;   in Loop: Header=BB4_5753 Depth=3
	s_mov_b32 s13, -1
	s_mov_b32 s35, exec_lo
                                        ; implicit-def: $sgpr31
	v_cmpx_eq_u16_e64 0x80, v150
; %bb.6432:                             ;   in Loop: Header=BB4_5753 Depth=3
	s_mov_b32 s31, 0x7f800001
	s_xor_b32 s13, exec_lo, -1
; %bb.6433:                             ;   in Loop: Header=BB4_5753 Depth=3
	s_or_b32 exec_lo, exec_lo, s35
	s_delay_alu instid0(SALU_CYCLE_1)
	s_and_b32 s13, s13, exec_lo
                                        ; implicit-def: $vgpr150
	s_or_saveexec_b32 s34, s34
	v_mov_b32_e32 v84, s31
	s_xor_b32 exec_lo, exec_lo, s34
	s_cbranch_execz .LBB4_6144
.LBB4_6434:                             ;   in Loop: Header=BB4_5753 Depth=3
	v_cmp_ne_u16_e64 vcc_lo, 0, v150
	v_mov_b32_e32 v84, 0
	s_and_not1_b32 s13, s13, exec_lo
	s_delay_alu instid0(VALU_DEP_2) | instskip(NEXT) | instid1(SALU_CYCLE_1)
	s_and_b32 vcc_lo, vcc_lo, exec_lo
	s_or_b32 s13, s13, vcc_lo
	s_or_b32 exec_lo, exec_lo, s34
	s_and_saveexec_b32 s31, s13
	s_cbranch_execnz .LBB4_6145
	s_branch .LBB4_6146
.LBB4_6435:                             ;   in Loop: Header=BB4_5753 Depth=3
	s_mov_b32 s13, -1
	s_mov_b32 s35, exec_lo
                                        ; implicit-def: $sgpr31
	v_cmpx_eq_u16_e64 0x80, v150
; %bb.6436:                             ;   in Loop: Header=BB4_5753 Depth=3
	s_mov_b32 s31, 0x7f800001
	s_xor_b32 s13, exec_lo, -1
; %bb.6437:                             ;   in Loop: Header=BB4_5753 Depth=3
	s_or_b32 exec_lo, exec_lo, s35
	s_delay_alu instid0(SALU_CYCLE_1)
	s_and_b32 s13, s13, exec_lo
                                        ; implicit-def: $vgpr150
	s_or_saveexec_b32 s34, s34
	v_mov_b32_e32 v81, s31
	s_xor_b32 exec_lo, exec_lo, s34
	s_cbranch_execz .LBB4_6148
.LBB4_6438:                             ;   in Loop: Header=BB4_5753 Depth=3
	v_cmp_ne_u16_e64 vcc_lo, 0, v150
	v_mov_b32_e32 v81, 0
	s_and_not1_b32 s13, s13, exec_lo
	s_delay_alu instid0(VALU_DEP_2) | instskip(NEXT) | instid1(SALU_CYCLE_1)
	s_and_b32 vcc_lo, vcc_lo, exec_lo
	s_or_b32 s13, s13, vcc_lo
	s_or_b32 exec_lo, exec_lo, s34
	s_and_saveexec_b32 s31, s13
	s_cbranch_execnz .LBB4_6149
	s_branch .LBB4_6150
.LBB4_6439:                             ;   in Loop: Header=BB4_5753 Depth=3
	s_mov_b32 s13, -1
	s_mov_b32 s35, exec_lo
                                        ; implicit-def: $sgpr31
	v_cmpx_eq_u16_e32 0x80, v84
; %bb.6440:                             ;   in Loop: Header=BB4_5753 Depth=3
	s_mov_b32 s31, 0x7f800001
	s_xor_b32 s13, exec_lo, -1
; %bb.6441:                             ;   in Loop: Header=BB4_5753 Depth=3
	s_or_b32 exec_lo, exec_lo, s35
	s_delay_alu instid0(SALU_CYCLE_1)
	s_and_b32 s13, s13, exec_lo
                                        ; implicit-def: $vgpr84
	s_or_saveexec_b32 s34, s34
	v_mov_b32_e32 v81, s31
	s_xor_b32 exec_lo, exec_lo, s34
	s_cbranch_execz .LBB4_6162
.LBB4_6442:                             ;   in Loop: Header=BB4_5753 Depth=3
	v_cmp_ne_u16_e32 vcc_lo, 0, v84
	v_mov_b32_e32 v81, 0
	s_and_not1_b32 s13, s13, exec_lo
	s_and_b32 vcc_lo, vcc_lo, exec_lo
	s_delay_alu instid0(SALU_CYCLE_1)
	s_or_b32 s13, s13, vcc_lo
	s_or_b32 exec_lo, exec_lo, s34
	s_and_saveexec_b32 s31, s13
	s_cbranch_execnz .LBB4_6163
	s_branch .LBB4_6164
.LBB4_6443:                             ;   in Loop: Header=BB4_5753 Depth=3
	s_mov_b32 s13, -1
	s_mov_b32 s35, exec_lo
                                        ; implicit-def: $sgpr31
	v_cmpx_eq_u16_e64 0x80, v150
; %bb.6444:                             ;   in Loop: Header=BB4_5753 Depth=3
	s_mov_b32 s31, 0x7f800001
	s_xor_b32 s13, exec_lo, -1
; %bb.6445:                             ;   in Loop: Header=BB4_5753 Depth=3
	s_or_b32 exec_lo, exec_lo, s35
	s_delay_alu instid0(SALU_CYCLE_1)
	s_and_b32 s13, s13, exec_lo
                                        ; implicit-def: $vgpr150
	s_or_saveexec_b32 s34, s34
	v_mov_b32_e32 v84, s31
	s_xor_b32 exec_lo, exec_lo, s34
	s_cbranch_execz .LBB4_6166
.LBB4_6446:                             ;   in Loop: Header=BB4_5753 Depth=3
	v_cmp_ne_u16_e64 vcc_lo, 0, v150
	v_mov_b32_e32 v84, 0
	s_and_not1_b32 s13, s13, exec_lo
	s_delay_alu instid0(VALU_DEP_2) | instskip(NEXT) | instid1(SALU_CYCLE_1)
	s_and_b32 vcc_lo, vcc_lo, exec_lo
	s_or_b32 s13, s13, vcc_lo
	s_or_b32 exec_lo, exec_lo, s34
	s_and_saveexec_b32 s31, s13
	s_cbranch_execnz .LBB4_6167
	s_branch .LBB4_6168
.LBB4_6447:                             ;   in Loop: Header=BB4_5753 Depth=3
	s_mov_b32 s13, -1
	s_mov_b32 s35, exec_lo
                                        ; implicit-def: $sgpr31
	v_cmpx_eq_u16_e32 0x80, v84
; %bb.6448:                             ;   in Loop: Header=BB4_5753 Depth=3
	s_mov_b32 s31, 0x7f800001
	s_xor_b32 s13, exec_lo, -1
; %bb.6449:                             ;   in Loop: Header=BB4_5753 Depth=3
	s_or_b32 exec_lo, exec_lo, s35
	s_delay_alu instid0(SALU_CYCLE_1)
	s_and_b32 s13, s13, exec_lo
                                        ; implicit-def: $vgpr84
	s_or_saveexec_b32 s34, s34
	v_mov_b32_e32 v81, s31
	s_xor_b32 exec_lo, exec_lo, s34
	s_cbranch_execz .LBB4_6173
.LBB4_6450:                             ;   in Loop: Header=BB4_5753 Depth=3
	v_cmp_ne_u16_e32 vcc_lo, 0, v84
	v_mov_b32_e32 v81, 0
	s_and_not1_b32 s13, s13, exec_lo
	s_and_b32 vcc_lo, vcc_lo, exec_lo
	s_delay_alu instid0(SALU_CYCLE_1)
	s_or_b32 s13, s13, vcc_lo
	s_or_b32 exec_lo, exec_lo, s34
	s_and_saveexec_b32 s31, s13
	s_cbranch_execnz .LBB4_6174
	s_branch .LBB4_6175
.LBB4_6451:                             ;   in Loop: Header=BB4_5753 Depth=3
	s_mov_b32 s13, -1
	s_mov_b32 s35, exec_lo
                                        ; implicit-def: $sgpr31
	v_cmpx_eq_u16_e32 0x80, v84
; %bb.6452:                             ;   in Loop: Header=BB4_5753 Depth=3
	s_mov_b32 s31, 0x7f800001
	s_xor_b32 s13, exec_lo, -1
; %bb.6453:                             ;   in Loop: Header=BB4_5753 Depth=3
	s_or_b32 exec_lo, exec_lo, s35
	s_delay_alu instid0(SALU_CYCLE_1)
	s_and_b32 s13, s13, exec_lo
                                        ; implicit-def: $vgpr84
	s_or_saveexec_b32 s34, s34
	v_mov_b32_e32 v69, s31
	s_xor_b32 exec_lo, exec_lo, s34
	s_cbranch_execz .LBB4_6177
.LBB4_6454:                             ;   in Loop: Header=BB4_5753 Depth=3
	v_cmp_ne_u16_e32 vcc_lo, 0, v84
	v_mov_b32_e32 v69, 0
	s_and_not1_b32 s13, s13, exec_lo
	s_and_b32 vcc_lo, vcc_lo, exec_lo
	s_delay_alu instid0(SALU_CYCLE_1)
	s_or_b32 s13, s13, vcc_lo
	s_or_b32 exec_lo, exec_lo, s34
	s_and_saveexec_b32 s31, s13
	s_cbranch_execnz .LBB4_6178
	s_branch .LBB4_6179
.LBB4_6455:                             ;   in Loop: Header=BB4_5753 Depth=3
	s_mov_b32 s13, -1
	s_mov_b32 s35, exec_lo
                                        ; implicit-def: $sgpr31
	v_cmpx_eq_u16_e32 0x80, v81
; %bb.6456:                             ;   in Loop: Header=BB4_5753 Depth=3
	s_mov_b32 s31, 0x7f800001
	s_xor_b32 s13, exec_lo, -1
; %bb.6457:                             ;   in Loop: Header=BB4_5753 Depth=3
	s_or_b32 exec_lo, exec_lo, s35
	s_delay_alu instid0(SALU_CYCLE_1)
	s_and_b32 s13, s13, exec_lo
                                        ; implicit-def: $vgpr81
	s_or_saveexec_b32 s34, s34
	v_mov_b32_e32 v69, s31
	s_xor_b32 exec_lo, exec_lo, s34
	s_cbranch_execz .LBB4_6191
.LBB4_6458:                             ;   in Loop: Header=BB4_5753 Depth=3
	v_cmp_ne_u16_e32 vcc_lo, 0, v81
	v_mov_b32_e32 v69, 0
	s_and_not1_b32 s13, s13, exec_lo
	s_and_b32 vcc_lo, vcc_lo, exec_lo
	s_delay_alu instid0(SALU_CYCLE_1)
	s_or_b32 s13, s13, vcc_lo
	s_or_b32 exec_lo, exec_lo, s34
	s_and_saveexec_b32 s31, s13
	s_cbranch_execnz .LBB4_6192
	s_branch .LBB4_6193
.LBB4_6459:                             ;   in Loop: Header=BB4_5753 Depth=3
	s_mov_b32 s13, -1
	s_mov_b32 s35, exec_lo
                                        ; implicit-def: $sgpr31
	v_cmpx_eq_u16_e32 0x80, v84
; %bb.6460:                             ;   in Loop: Header=BB4_5753 Depth=3
	s_mov_b32 s31, 0x7f800001
	s_xor_b32 s13, exec_lo, -1
; %bb.6461:                             ;   in Loop: Header=BB4_5753 Depth=3
	s_or_b32 exec_lo, exec_lo, s35
	s_delay_alu instid0(SALU_CYCLE_1)
	s_and_b32 s13, s13, exec_lo
                                        ; implicit-def: $vgpr84
	s_or_saveexec_b32 s34, s34
	v_mov_b32_e32 v81, s31
	s_xor_b32 exec_lo, exec_lo, s34
	s_cbranch_execz .LBB4_6195
.LBB4_6462:                             ;   in Loop: Header=BB4_5753 Depth=3
	v_cmp_ne_u16_e32 vcc_lo, 0, v84
	v_mov_b32_e32 v81, 0
	s_and_not1_b32 s13, s13, exec_lo
	s_and_b32 vcc_lo, vcc_lo, exec_lo
	s_delay_alu instid0(SALU_CYCLE_1)
	s_or_b32 s13, s13, vcc_lo
	s_or_b32 exec_lo, exec_lo, s34
	s_and_saveexec_b32 s31, s13
	s_cbranch_execnz .LBB4_6196
	s_branch .LBB4_6197
.LBB4_6463:                             ;   in Loop: Header=BB4_5753 Depth=3
	s_mov_b32 s13, -1
	s_mov_b32 s35, exec_lo
                                        ; implicit-def: $sgpr31
	v_cmpx_eq_u16_e32 0x80, v81
; %bb.6464:                             ;   in Loop: Header=BB4_5753 Depth=3
	s_mov_b32 s31, 0x7f800001
	s_xor_b32 s13, exec_lo, -1
; %bb.6465:                             ;   in Loop: Header=BB4_5753 Depth=3
	s_or_b32 exec_lo, exec_lo, s35
	s_delay_alu instid0(SALU_CYCLE_1)
	s_and_b32 s13, s13, exec_lo
                                        ; implicit-def: $vgpr81
	s_or_saveexec_b32 s34, s34
	v_mov_b32_e32 v69, s31
	s_xor_b32 exec_lo, exec_lo, s34
	s_cbranch_execz .LBB4_6202
.LBB4_6466:                             ;   in Loop: Header=BB4_5753 Depth=3
	v_cmp_ne_u16_e32 vcc_lo, 0, v81
	v_mov_b32_e32 v69, 0
	s_and_not1_b32 s13, s13, exec_lo
	s_and_b32 vcc_lo, vcc_lo, exec_lo
	s_delay_alu instid0(SALU_CYCLE_1)
	s_or_b32 s13, s13, vcc_lo
	s_or_b32 exec_lo, exec_lo, s34
	s_and_saveexec_b32 s31, s13
	s_cbranch_execnz .LBB4_6203
	s_branch .LBB4_6204
.LBB4_6467:                             ;   in Loop: Header=BB4_5753 Depth=3
	s_mov_b32 s13, -1
	s_mov_b32 s35, exec_lo
                                        ; implicit-def: $sgpr31
	v_cmpx_eq_u16_e32 0x80, v81
; %bb.6468:                             ;   in Loop: Header=BB4_5753 Depth=3
	s_mov_b32 s31, 0x7f800001
	s_xor_b32 s13, exec_lo, -1
; %bb.6469:                             ;   in Loop: Header=BB4_5753 Depth=3
	s_or_b32 exec_lo, exec_lo, s35
	s_delay_alu instid0(SALU_CYCLE_1)
	s_and_b32 s13, s13, exec_lo
                                        ; implicit-def: $vgpr81
	s_or_saveexec_b32 s34, s34
	v_mov_b32_e32 v21, s31
	s_xor_b32 exec_lo, exec_lo, s34
	s_cbranch_execz .LBB4_6206
.LBB4_6470:                             ;   in Loop: Header=BB4_5753 Depth=3
	v_cmp_ne_u16_e32 vcc_lo, 0, v81
	v_mov_b32_e32 v21, 0
	s_and_not1_b32 s13, s13, exec_lo
	s_and_b32 vcc_lo, vcc_lo, exec_lo
	s_delay_alu instid0(SALU_CYCLE_1)
	s_or_b32 s13, s13, vcc_lo
	s_or_b32 exec_lo, exec_lo, s34
	s_and_saveexec_b32 s31, s13
	s_cbranch_execnz .LBB4_6207
	s_branch .LBB4_6208
.LBB4_6471:                             ;   in Loop: Header=BB4_3484 Depth=2
	s_or_b32 exec_lo, exec_lo, s16
.LBB4_6472:                             ;   in Loop: Header=BB4_3484 Depth=2
	s_delay_alu instid0(SALU_CYCLE_1) | instskip(SKIP_2) | instid1(VALU_DEP_1)
	s_or_b32 exec_lo, exec_lo, s14
	v_lshlrev_b32_e32 v8, 9, v19
	s_mov_b32 s31, exec_lo
	v_cmpx_ne_u32_e64 v17, v8
	s_cbranch_execz .LBB4_6524
; %bb.6473:                             ;   in Loop: Header=BB4_3484 Depth=2
	v_ashrrev_i32_e32 v9, 31, v18
	v_lshlrev_b32_e32 v2, 5, v2
	s_delay_alu instid0(VALU_DEP_2) | instskip(NEXT) | instid1(VALU_DEP_1)
	v_lshrrev_b32_e32 v9, 27, v9
	v_add_nc_u32_e32 v9, v18, v9
	s_delay_alu instid0(VALU_DEP_1) | instskip(NEXT) | instid1(VALU_DEP_1)
	v_and_b32_e32 v9, 0xffffffe0, v9
	v_sub_nc_u32_e32 v9, v18, v9
	s_delay_alu instid0(VALU_DEP_1) | instskip(NEXT) | instid1(VALU_DEP_1)
	v_sub_nc_u32_e32 v2, v9, v2
	v_add_nc_u32_e32 v8, v8, v2
	s_delay_alu instid0(VALU_DEP_1) | instskip(NEXT) | instid1(VALU_DEP_1)
	v_sub_nc_u32_e32 v2, v17, v8
	v_cmp_lt_i32_e32 vcc_lo, 0, v2
	s_and_b32 exec_lo, exec_lo, vcc_lo
	s_cbranch_execz .LBB4_6524
; %bb.6474:                             ;   in Loop: Header=BB4_3484 Depth=2
	s_cbranch_execz .LBB4_6475
; %bb.10964:
	s_getpc_b64 s[48:49]
.Lpost_getpc259:
	s_add_u32 s48, s48, (.LBB4_10588-.Lpost_getpc259)&4294967295
	s_addc_u32 s49, s49, (.LBB4_10588-.Lpost_getpc259)>>32
	s_setpc_b64 s[48:49]
.LBB4_6475:                             ;   in Loop: Header=BB4_3484 Depth=2
	ds_load_b128 v[9:12], v0
	v_add_nc_u32_e32 v13, v8, v16
	s_bitcmp1_b32 s30, 0
	s_mov_b32 s34, 0
	s_cselect_b32 s35, -1, 0
	s_delay_alu instid0(VALU_DEP_1) | instskip(SKIP_2) | instid1(VALU_DEP_2)
	v_ashrrev_i32_e32 v14, 31, v13
	s_waitcnt lgkmcnt(0)
	v_add_co_u32 v8, vcc_lo, v9, v13
	v_add_co_ci_u32_e32 v9, vcc_lo, v10, v14, vcc_lo
	v_add_co_u32 v10, vcc_lo, v11, v13
	v_add_co_ci_u32_e32 v11, vcc_lo, v12, v14, vcc_lo
	s_delay_alu instid0(VALU_DEP_3) | instskip(NEXT) | instid1(VALU_DEP_2)
	v_dual_mov_b32 v13, v9 :: v_dual_mov_b32 v12, v8
	v_dual_mov_b32 v15, v11 :: v_dual_mov_b32 v14, v10
.LBB4_6476:                             ;   Parent Loop BB4_51 Depth=1
                                        ;     Parent Loop BB4_3484 Depth=2
                                        ; =>    This Loop Header: Depth=3
                                        ;         Child Loop BB4_6506 Depth 4
	flat_load_u8 v17, v[14:15] slc dlc
	flat_load_u8 v18, v[12:13] slc dlc
	s_waitcnt vmcnt(1) lgkmcnt(1)
	v_bfe_u32 v21, v17, 3, 4
	v_lshlrev_b32_e32 v22, 24, v17
	s_delay_alu instid0(VALU_DEP_2) | instskip(SKIP_1) | instid1(VALU_DEP_1)
	v_cmp_eq_u32_e32 vcc_lo, 0, v21
	v_and_b32_e32 v16, 7, v17
	v_clz_i32_u32_e32 v19, v16
	s_delay_alu instid0(VALU_DEP_1) | instskip(NEXT) | instid1(VALU_DEP_1)
	v_min_u32_e32 v19, 32, v19
	v_subrev_nc_u32_e32 v20, 28, v19
	v_sub_nc_u32_e32 v19, 29, v19
	s_delay_alu instid0(VALU_DEP_1) | instskip(NEXT) | instid1(VALU_DEP_1)
	v_dual_cndmask_b32 v19, v21, v19 :: v_dual_lshlrev_b32 v20, v20, v17
	v_and_b32_e32 v20, 7, v20
	s_delay_alu instid0(VALU_DEP_2) | instskip(NEXT) | instid1(VALU_DEP_2)
	v_lshl_add_u32 v19, v19, 23, 0x3b800000
	v_cndmask_b32_e32 v16, v16, v20, vcc_lo
	v_and_b32_e32 v20, 0x80000000, v22
	s_and_b32 vcc_lo, exec_lo, s35
	s_delay_alu instid0(VALU_DEP_2) | instskip(NEXT) | instid1(VALU_DEP_1)
	v_lshlrev_b32_e32 v16, 20, v16
	v_or3_b32 v16, v20, v19, v16
	s_cbranch_vccz .LBB4_6486
; %bb.6477:                             ;   in Loop: Header=BB4_6476 Depth=3
	s_waitcnt vmcnt(0) lgkmcnt(0)
	v_and_b32_e32 v20, 0xff, v18
	s_mov_b32 s13, 0
	s_mov_b32 s16, exec_lo
                                        ; implicit-def: $sgpr14
	s_delay_alu instid0(VALU_DEP_1)
	v_cmpx_lt_i16_e32 0x7f, v20
	s_xor_b32 s16, exec_lo, s16
	s_cbranch_execnz .LBB4_6508
; %bb.6478:                             ;   in Loop: Header=BB4_6476 Depth=3
	s_or_saveexec_b32 s16, s16
	v_mov_b32_e32 v19, s14
	s_xor_b32 exec_lo, exec_lo, s16
	s_cbranch_execnz .LBB4_6511
.LBB4_6479:                             ;   in Loop: Header=BB4_6476 Depth=3
	s_or_b32 exec_lo, exec_lo, s16
	s_and_saveexec_b32 s14, s13
	s_cbranch_execz .LBB4_6481
.LBB4_6480:                             ;   in Loop: Header=BB4_6476 Depth=3
	v_lshrrev_b16 v22, 3, v18
	v_lshlrev_b32_e32 v23, 24, v18
	s_delay_alu instid0(VALU_DEP_2) | instskip(NEXT) | instid1(VALU_DEP_1)
	v_and_b32_e32 v22, 15, v22
	v_cmp_eq_u32_e32 vcc_lo, 0, v22
	v_and_b32_e32 v19, 7, v18
	s_delay_alu instid0(VALU_DEP_1) | instskip(NEXT) | instid1(VALU_DEP_1)
	v_clz_i32_u32_e32 v20, v19
	v_min_u32_e32 v20, 32, v20
	s_delay_alu instid0(VALU_DEP_1) | instskip(SKIP_1) | instid1(VALU_DEP_1)
	v_subrev_nc_u32_e32 v21, 28, v20
	v_sub_nc_u32_e32 v20, 29, v20
	v_dual_cndmask_b32 v20, v22, v20 :: v_dual_lshlrev_b32 v21, v21, v18
	s_delay_alu instid0(VALU_DEP_1) | instskip(NEXT) | instid1(VALU_DEP_2)
	v_and_b32_e32 v21, 7, v21
	v_lshl_add_u32 v20, v20, 23, 0x3b800000
	s_delay_alu instid0(VALU_DEP_2) | instskip(SKIP_1) | instid1(VALU_DEP_2)
	v_cndmask_b32_e32 v19, v19, v21, vcc_lo
	v_and_b32_e32 v21, 0x80000000, v23
	v_lshlrev_b32_e32 v19, 20, v19
	s_delay_alu instid0(VALU_DEP_1)
	v_or3_b32 v19, v21, v20, v19
.LBB4_6481:                             ;   in Loop: Header=BB4_6476 Depth=3
	s_or_b32 exec_lo, exec_lo, s14
	v_and_b32_e32 v20, 0xff, v17
	s_mov_b32 s13, 0
	s_mov_b32 s16, exec_lo
                                        ; implicit-def: $sgpr14
	s_delay_alu instid0(VALU_DEP_1)
	v_cmpx_lt_i16_e32 0x7f, v20
	s_xor_b32 s16, exec_lo, s16
	s_cbranch_execnz .LBB4_6512
; %bb.6482:                             ;   in Loop: Header=BB4_6476 Depth=3
	s_or_saveexec_b32 s16, s16
	v_mov_b32_e32 v21, s14
	s_xor_b32 exec_lo, exec_lo, s16
	s_cbranch_execnz .LBB4_6515
.LBB4_6483:                             ;   in Loop: Header=BB4_6476 Depth=3
	s_or_b32 exec_lo, exec_lo, s16
	s_and_saveexec_b32 s14, s13
.LBB4_6484:                             ;   in Loop: Header=BB4_6476 Depth=3
	v_mov_b32_e32 v21, v16
.LBB4_6485:                             ;   in Loop: Header=BB4_6476 Depth=3
	s_or_b32 exec_lo, exec_lo, s14
	s_delay_alu instid0(VALU_DEP_1) | instskip(SKIP_1) | instid1(VALU_DEP_1)
	v_dual_max_f32 v20, v21, v21 :: v_dual_max_f32 v19, v19, v19
	s_mov_b32 s13, 0
	v_max_f32_e32 v19, v19, v20
	s_branch .LBB4_6487
.LBB4_6486:                             ;   in Loop: Header=BB4_6476 Depth=3
	s_mov_b32 s13, -1
                                        ; implicit-def: $vgpr19
.LBB4_6487:                             ;   in Loop: Header=BB4_6476 Depth=3
	s_delay_alu instid0(SALU_CYCLE_1)
	s_and_b32 vcc_lo, exec_lo, s13
	s_cbranch_vccz .LBB4_6497
; %bb.6488:                             ;   in Loop: Header=BB4_6476 Depth=3
	s_waitcnt vmcnt(0) lgkmcnt(0)
	v_and_b32_e32 v20, 0xff, v18
	s_mov_b32 s13, 0
	s_mov_b32 s16, exec_lo
                                        ; implicit-def: $sgpr14
	s_delay_alu instid0(VALU_DEP_1)
	v_cmpx_lt_i16_e32 0x7f, v20
	s_xor_b32 s16, exec_lo, s16
	s_cbranch_execnz .LBB4_6516
; %bb.6489:                             ;   in Loop: Header=BB4_6476 Depth=3
	s_or_saveexec_b32 s16, s16
	v_mov_b32_e32 v19, s14
	s_xor_b32 exec_lo, exec_lo, s16
	s_cbranch_execnz .LBB4_6519
.LBB4_6490:                             ;   in Loop: Header=BB4_6476 Depth=3
	s_or_b32 exec_lo, exec_lo, s16
	s_and_saveexec_b32 s14, s13
	s_cbranch_execz .LBB4_6492
.LBB4_6491:                             ;   in Loop: Header=BB4_6476 Depth=3
	v_lshrrev_b16 v22, 3, v18
	s_delay_alu instid0(VALU_DEP_1) | instskip(NEXT) | instid1(VALU_DEP_1)
	v_and_b32_e32 v22, 15, v22
	v_cmp_eq_u32_e32 vcc_lo, 0, v22
	v_and_b32_e32 v19, 7, v18
	s_delay_alu instid0(VALU_DEP_1) | instskip(NEXT) | instid1(VALU_DEP_1)
	v_clz_i32_u32_e32 v20, v19
	v_min_u32_e32 v20, 32, v20
	s_delay_alu instid0(VALU_DEP_1) | instskip(SKIP_1) | instid1(VALU_DEP_1)
	v_subrev_nc_u32_e32 v21, 28, v20
	v_sub_nc_u32_e32 v20, 29, v20
	v_dual_cndmask_b32 v20, v22, v20 :: v_dual_lshlrev_b32 v21, v21, v18
	v_lshlrev_b32_e32 v18, 24, v18
	s_delay_alu instid0(VALU_DEP_2) | instskip(NEXT) | instid1(VALU_DEP_3)
	v_and_b32_e32 v21, 7, v21
	v_lshl_add_u32 v20, v20, 23, 0x3b800000
	s_delay_alu instid0(VALU_DEP_2) | instskip(NEXT) | instid1(VALU_DEP_1)
	v_dual_cndmask_b32 v19, v19, v21 :: v_dual_and_b32 v18, 0x80000000, v18
	v_lshlrev_b32_e32 v19, 20, v19
	s_delay_alu instid0(VALU_DEP_1)
	v_or3_b32 v19, v18, v20, v19
.LBB4_6492:                             ;   in Loop: Header=BB4_6476 Depth=3
	s_or_b32 exec_lo, exec_lo, s14
	v_and_b32_e32 v17, 0xff, v17
	s_mov_b32 s13, 0
	s_mov_b32 s16, exec_lo
                                        ; implicit-def: $sgpr14
	s_delay_alu instid0(VALU_DEP_1)
	v_cmpx_lt_i16_e32 0x7f, v17
	s_xor_b32 s16, exec_lo, s16
	s_cbranch_execnz .LBB4_6520
; %bb.6493:                             ;   in Loop: Header=BB4_6476 Depth=3
	s_or_saveexec_b32 s16, s16
	v_mov_b32_e32 v18, s14
	s_xor_b32 exec_lo, exec_lo, s16
	s_cbranch_execnz .LBB4_6523
.LBB4_6494:                             ;   in Loop: Header=BB4_6476 Depth=3
	s_or_b32 exec_lo, exec_lo, s16
	s_and_saveexec_b32 s14, s13
.LBB4_6495:                             ;   in Loop: Header=BB4_6476 Depth=3
	v_mov_b32_e32 v18, v16
.LBB4_6496:                             ;   in Loop: Header=BB4_6476 Depth=3
	s_or_b32 exec_lo, exec_lo, s14
	s_delay_alu instid0(VALU_DEP_1) | instskip(NEXT) | instid1(VALU_DEP_1)
	v_dual_max_f32 v16, v18, v18 :: v_dual_max_f32 v17, v19, v19
	v_min_f32_e32 v19, v17, v16
.LBB4_6497:                             ;   in Loop: Header=BB4_6476 Depth=3
	s_delay_alu instid0(VALU_DEP_1) | instskip(NEXT) | instid1(VALU_DEP_1)
	v_and_b32_e32 v16, 0x7f800000, v19
	v_cmp_ne_u32_e32 vcc_lo, 0x7f800000, v16
	v_mov_b32_e32 v16, 0x80
	s_and_saveexec_b32 s14, vcc_lo
	s_cbranch_execz .LBB4_6505
; %bb.6498:                             ;   in Loop: Header=BB4_6476 Depth=3
	v_mov_b32_e32 v16, 0
	s_mov_b32 s16, exec_lo
	v_cmpx_ne_u32_e32 0, v19
	s_cbranch_execz .LBB4_6504
; %bb.6499:                             ;   in Loop: Header=BB4_6476 Depth=3
	v_bfe_u32 v16, v19, 23, 8
	s_waitcnt vmcnt(0) lgkmcnt(0)
	s_delay_alu instid0(VALU_DEP_1) | instskip(SKIP_1) | instid1(VALU_DEP_2)
	v_sub_nc_u32_e32 v18, 0x78, v16
	v_cmp_gt_u32_e32 vcc_lo, 0x79, v16
	v_dual_cndmask_b32 v18, 0, v18 :: v_dual_and_b32 v17, 0x7fffff, v19
	s_delay_alu instid0(VALU_DEP_1) | instskip(SKIP_2) | instid1(VALU_DEP_4)
	v_or_b32_e32 v20, 0x800000, v17
	v_cmp_eq_u32_e32 vcc_lo, 0, v16
	v_add_nc_u32_e32 v16, 0xffffff89, v16
	v_cndmask_b32_e64 v18, v18, 0x77, vcc_lo
	s_delay_alu instid0(VALU_DEP_4) | instskip(NEXT) | instid1(VALU_DEP_3)
	v_cndmask_b32_e32 v17, v20, v17, vcc_lo
	v_cndmask_b32_e64 v16, v16, 0xffffff8a, vcc_lo
	s_delay_alu instid0(VALU_DEP_3) | instskip(NEXT) | instid1(VALU_DEP_3)
	v_lshl_add_u32 v20, 0x100000, v18, -1
	v_lshrrev_b32_e32 v21, v18, v17
	v_lshlrev_b32_e64 v23, v18, 0x80000
	s_delay_alu instid0(VALU_DEP_4) | instskip(NEXT) | instid1(VALU_DEP_4)
	v_add_nc_u32_e32 v18, v18, v16
	v_and_b32_e32 v17, v20, v17
	s_delay_alu instid0(VALU_DEP_4) | instskip(NEXT) | instid1(VALU_DEP_2)
	v_bfe_u32 v22, v21, 20, 1
	v_cmp_eq_u32_e64 s13, v17, v23
	s_delay_alu instid0(VALU_DEP_2) | instskip(NEXT) | instid1(VALU_DEP_1)
	v_add_nc_u32_e32 v20, -1, v22
	v_cndmask_b32_e64 v17, 0, v20, s13
	v_lshrrev_b32_e32 v20, 23, v21
	s_mov_b32 s13, exec_lo
	s_delay_alu instid0(VALU_DEP_2) | instskip(NEXT) | instid1(VALU_DEP_2)
	v_add_nc_u32_e32 v17, v17, v21
	v_xor_b32_e32 v20, 1, v20
	s_delay_alu instid0(VALU_DEP_2) | instskip(NEXT) | instid1(VALU_DEP_1)
	v_and_b32_e32 v16, 0xfffff, v17
	v_add_nc_u32_e32 v17, v16, v21
                                        ; implicit-def: $vgpr16
	s_delay_alu instid0(VALU_DEP_3)
	v_cmpx_ne_u32_e64 v18, v20
	s_xor_b32 s13, exec_lo, s13
; %bb.6500:                             ;   in Loop: Header=BB4_6476 Depth=3
	s_delay_alu instid0(VALU_DEP_2) | instskip(SKIP_2) | instid1(VALU_DEP_2)
	v_cmp_lt_u32_e32 vcc_lo, 0xffffff, v17
	v_sub_nc_u32_e32 v16, v18, v20
	v_cndmask_b32_e64 v18, 0, 1, vcc_lo
	v_add_co_ci_u32_e32 v16, vcc_lo, 0, v16, vcc_lo
	s_delay_alu instid0(VALU_DEP_2)
	v_lshrrev_b32_e32 v17, v18, v17
; %bb.6501:                             ;   in Loop: Header=BB4_6476 Depth=3
	s_and_not1_saveexec_b32 s13, s13
; %bb.6502:                             ;   in Loop: Header=BB4_6476 Depth=3
	s_delay_alu instid0(VALU_DEP_1)
	v_bfe_u32 v16, v17, 23, 1
; %bb.6503:                             ;   in Loop: Header=BB4_6476 Depth=3
	s_or_b32 exec_lo, exec_lo, s13
	v_lshrrev_b32_e32 v17, 20, v17
	s_delay_alu instid0(VALU_DEP_2) | instskip(SKIP_2) | instid1(VALU_DEP_2)
	v_cmp_gt_i32_e32 vcc_lo, 16, v16
	v_lshrrev_b32_e32 v18, 24, v19
	v_min_i32_e32 v19, 15, v16
	v_dual_cndmask_b32 v17, 7, v17 :: v_dual_and_b32 v18, 0x80, v18
	s_delay_alu instid0(VALU_DEP_1) | instskip(SKIP_1) | instid1(VALU_DEP_2)
	v_or_b32_e32 v16, v16, v17
	v_and_b32_e32 v20, 7, v17
	v_cmp_ne_u32_e32 vcc_lo, 0, v16
	v_lshlrev_b32_e32 v19, 3, v19
	s_delay_alu instid0(VALU_DEP_1) | instskip(NEXT) | instid1(VALU_DEP_1)
	v_or3_b32 v17, v19, v18, v20
	v_cndmask_b32_e32 v16, 0, v17, vcc_lo
.LBB4_6504:                             ;   in Loop: Header=BB4_6476 Depth=3
	s_or_b32 exec_lo, exec_lo, s16
.LBB4_6505:                             ;   in Loop: Header=BB4_6476 Depth=3
	s_delay_alu instid0(SALU_CYCLE_1)
	s_or_b32 exec_lo, exec_lo, s14
	s_mov_b64 s[16:17], 0
	s_mov_b32 s36, -1
.LBB4_6506:                             ;   Parent Loop BB4_51 Depth=1
                                        ;     Parent Loop BB4_3484 Depth=2
                                        ;       Parent Loop BB4_6476 Depth=3
                                        ; =>      This Inner Loop Header: Depth=4
	s_cmp_eq_u32 s16, 1
	s_cselect_b32 vcc_lo, -1, 0
	s_cmp_eq_u32 s16, 0
	s_waitcnt vmcnt(0) lgkmcnt(0)
	v_dual_cndmask_b32 v18, v9, v11 :: v_dual_cndmask_b32 v17, v8, v10
	s_mov_b64 s[16:17], 1
	s_delay_alu instid0(VALU_DEP_1) | instskip(NEXT) | instid1(VALU_DEP_1)
	v_add_co_u32 v19, s13, v17, 32
	v_add_co_ci_u32_e64 v20, s13, 0, v18, s13
	s_cselect_b32 s13, -1, 0
	s_and_b32 s14, exec_lo, s36
	s_delay_alu instid0(VALU_DEP_1)
	v_dual_cndmask_b32 v10, v10, v19 :: v_dual_cndmask_b32 v11, v11, v20
	v_cndmask_b32_e64 v9, v9, v20, s13
	v_cndmask_b32_e64 v8, v8, v19, s13
	s_mov_b32 s36, 0
	s_mov_b32 vcc_lo, s14
	flat_store_b8 v[17:18], v16 glc slc dlc
	s_cbranch_vccnz .LBB4_6506
; %bb.6507:                             ;   in Loop: Header=BB4_6476 Depth=3
	v_add_co_u32 v12, vcc_lo, v12, v128
	v_add_co_ci_u32_e32 v13, vcc_lo, v13, v129, vcc_lo
	v_add_co_u32 v14, vcc_lo, v14, v128
	v_sub_nc_u32_e32 v2, v2, v98
	v_add_co_ci_u32_e32 v15, vcc_lo, v15, v129, vcc_lo
	v_add_co_u32 v8, vcc_lo, v8, v116
	v_add_co_ci_u32_e32 v9, vcc_lo, v9, v119, vcc_lo
	s_delay_alu instid0(VALU_DEP_4) | instskip(SKIP_1) | instid1(VALU_DEP_1)
	v_cmp_gt_i32_e32 vcc_lo, 1, v2
	v_add_co_u32 v10, s13, v10, v116
	v_add_co_ci_u32_e64 v11, s13, v11, v119, s13
	s_or_b32 s34, vcc_lo, s34
	s_delay_alu instid0(SALU_CYCLE_1)
	s_and_not1_b32 exec_lo, exec_lo, s34
	s_cbranch_execnz .LBB4_6476
	s_branch .LBB4_6524
.LBB4_6508:                             ;   in Loop: Header=BB4_6476 Depth=3
	s_mov_b32 s13, -1
	s_mov_b32 s17, exec_lo
                                        ; implicit-def: $sgpr14
	v_cmpx_eq_u16_e32 0x80, v20
; %bb.6509:                             ;   in Loop: Header=BB4_6476 Depth=3
	s_mov_b32 s14, 0x7f800001
	s_xor_b32 s13, exec_lo, -1
; %bb.6510:                             ;   in Loop: Header=BB4_6476 Depth=3
	s_or_b32 exec_lo, exec_lo, s17
	s_delay_alu instid0(SALU_CYCLE_1)
	s_and_b32 s13, s13, exec_lo
                                        ; implicit-def: $vgpr20
	s_or_saveexec_b32 s16, s16
	v_mov_b32_e32 v19, s14
	s_xor_b32 exec_lo, exec_lo, s16
	s_cbranch_execz .LBB4_6479
.LBB4_6511:                             ;   in Loop: Header=BB4_6476 Depth=3
	v_cmp_ne_u16_e32 vcc_lo, 0, v20
	v_mov_b32_e32 v19, 0
	s_and_not1_b32 s13, s13, exec_lo
	s_and_b32 s14, vcc_lo, exec_lo
	s_delay_alu instid0(SALU_CYCLE_1)
	s_or_b32 s13, s13, s14
	s_or_b32 exec_lo, exec_lo, s16
	s_and_saveexec_b32 s14, s13
	s_cbranch_execnz .LBB4_6480
	s_branch .LBB4_6481
.LBB4_6512:                             ;   in Loop: Header=BB4_6476 Depth=3
	s_mov_b32 s13, -1
	s_mov_b32 s17, exec_lo
                                        ; implicit-def: $sgpr14
	v_cmpx_eq_u16_e32 0x80, v20
; %bb.6513:                             ;   in Loop: Header=BB4_6476 Depth=3
	s_mov_b32 s14, 0x7f800001
	s_xor_b32 s13, exec_lo, -1
; %bb.6514:                             ;   in Loop: Header=BB4_6476 Depth=3
	s_or_b32 exec_lo, exec_lo, s17
	s_delay_alu instid0(SALU_CYCLE_1)
	s_and_b32 s13, s13, exec_lo
                                        ; implicit-def: $vgpr20
	s_or_saveexec_b32 s16, s16
	v_mov_b32_e32 v21, s14
	s_xor_b32 exec_lo, exec_lo, s16
	s_cbranch_execz .LBB4_6483
.LBB4_6515:                             ;   in Loop: Header=BB4_6476 Depth=3
	v_cmp_ne_u16_e32 vcc_lo, 0, v20
	v_mov_b32_e32 v21, 0
	s_and_not1_b32 s13, s13, exec_lo
	s_and_b32 s14, vcc_lo, exec_lo
	s_delay_alu instid0(SALU_CYCLE_1)
	s_or_b32 s13, s13, s14
	s_or_b32 exec_lo, exec_lo, s16
	s_and_saveexec_b32 s14, s13
	s_cbranch_execnz .LBB4_6484
	s_branch .LBB4_6485
.LBB4_6516:                             ;   in Loop: Header=BB4_6476 Depth=3
	s_mov_b32 s13, -1
	s_mov_b32 s17, exec_lo
                                        ; implicit-def: $sgpr14
	v_cmpx_eq_u16_e32 0x80, v20
; %bb.6517:                             ;   in Loop: Header=BB4_6476 Depth=3
	s_mov_b32 s14, 0x7f800001
	s_xor_b32 s13, exec_lo, -1
; %bb.6518:                             ;   in Loop: Header=BB4_6476 Depth=3
	s_or_b32 exec_lo, exec_lo, s17
	s_delay_alu instid0(SALU_CYCLE_1)
	s_and_b32 s13, s13, exec_lo
                                        ; implicit-def: $vgpr20
	s_or_saveexec_b32 s16, s16
	v_mov_b32_e32 v19, s14
	s_xor_b32 exec_lo, exec_lo, s16
	s_cbranch_execz .LBB4_6490
.LBB4_6519:                             ;   in Loop: Header=BB4_6476 Depth=3
	v_cmp_ne_u16_e32 vcc_lo, 0, v20
	v_mov_b32_e32 v19, 0
	s_and_not1_b32 s13, s13, exec_lo
	s_and_b32 s14, vcc_lo, exec_lo
	s_delay_alu instid0(SALU_CYCLE_1)
	s_or_b32 s13, s13, s14
	s_or_b32 exec_lo, exec_lo, s16
	s_and_saveexec_b32 s14, s13
	s_cbranch_execnz .LBB4_6491
	s_branch .LBB4_6492
.LBB4_6520:                             ;   in Loop: Header=BB4_6476 Depth=3
	s_mov_b32 s13, -1
	s_mov_b32 s17, exec_lo
                                        ; implicit-def: $sgpr14
	v_cmpx_eq_u16_e32 0x80, v17
; %bb.6521:                             ;   in Loop: Header=BB4_6476 Depth=3
	s_mov_b32 s14, 0x7f800001
	s_xor_b32 s13, exec_lo, -1
; %bb.6522:                             ;   in Loop: Header=BB4_6476 Depth=3
	s_or_b32 exec_lo, exec_lo, s17
	s_delay_alu instid0(SALU_CYCLE_1)
	s_and_b32 s13, s13, exec_lo
                                        ; implicit-def: $vgpr17
	s_or_saveexec_b32 s16, s16
	v_mov_b32_e32 v18, s14
	s_xor_b32 exec_lo, exec_lo, s16
	s_cbranch_execz .LBB4_6494
.LBB4_6523:                             ;   in Loop: Header=BB4_6476 Depth=3
	v_cmp_ne_u16_e32 vcc_lo, 0, v17
	v_mov_b32_e32 v18, 0
	s_and_not1_b32 s13, s13, exec_lo
	s_and_b32 s14, vcc_lo, exec_lo
	s_delay_alu instid0(SALU_CYCLE_1)
	s_or_b32 s13, s13, s14
	s_or_b32 exec_lo, exec_lo, s16
	s_and_saveexec_b32 s14, s13
	s_cbranch_execnz .LBB4_6495
	s_branch .LBB4_6496
.LBB4_6524:                             ;   in Loop: Header=BB4_3484 Depth=2
	s_or_b32 exec_lo, exec_lo, s31
.LBB4_6525:                             ;   in Loop: Header=BB4_3484 Depth=2
	s_delay_alu instid0(SALU_CYCLE_1)
	s_or_b32 exec_lo, exec_lo, s15
	s_mov_b32 s13, 0
.LBB4_6526:                             ;   in Loop: Header=BB4_3484 Depth=2
	s_delay_alu instid0(SALU_CYCLE_1)
	s_and_b32 vcc_lo, exec_lo, s13
	s_cbranch_vccz .LBB4_9485
; %bb.6527:                             ;   in Loop: Header=BB4_3484 Depth=2
	s_mov_b32 s13, -1
	s_and_saveexec_b32 s14, s12
	s_cbranch_execz .LBB4_6529
; %bb.6528:                             ;   in Loop: Header=BB4_3484 Depth=2
	ds_load_b32 v2, v0 offset:720
	s_waitcnt lgkmcnt(0)
	v_and_b32_e32 v2, 15, v2
	s_delay_alu instid0(VALU_DEP_1)
	v_cmp_eq_u32_e32 vcc_lo, 0, v2
	s_or_not1_b32 s13, vcc_lo, exec_lo
.LBB4_6529:                             ;   in Loop: Header=BB4_3484 Depth=2
	s_or_b32 exec_lo, exec_lo, s14
	s_and_saveexec_b32 s14, s5
	s_cbranch_execz .LBB4_6531
; %bb.6530:                             ;   in Loop: Header=BB4_3484 Depth=2
	ds_load_b32 v2, v0 offset:784
	s_waitcnt lgkmcnt(0)
	v_and_b32_e32 v2, 15, v2
	s_delay_alu instid0(VALU_DEP_1) | instskip(SKIP_3) | instid1(SALU_CYCLE_1)
	v_cmp_eq_u32_e32 vcc_lo, 0, v2
	s_and_b32 s15, s13, vcc_lo
	s_and_not1_b32 s13, s13, exec_lo
	s_and_b32 s15, s15, exec_lo
	s_or_b32 s13, s13, s15
.LBB4_6531:                             ;   in Loop: Header=BB4_3484 Depth=2
	s_or_b32 exec_lo, exec_lo, s14
	s_xor_b32 s13, s13, -1
	v_dual_mov_b32 v14, 0 :: v_dual_mov_b32 v15, v148
	v_cndmask_b32_e64 v2, 0, 1, s13
	;;#ASMSTART
	;;#ASMEND
	s_delay_alu instid0(VALU_DEP_1)
	v_cmp_ne_u32_e32 vcc_lo, 0, v2
	s_waitcnt vmcnt(0)
	v_mov_b32_e32 v16, v0
	v_mov_b32_e32 v8, v99
	s_mov_b32 s13, -1
	s_cbranch_vccnz .LBB4_8707
; %bb.6532:                             ;   in Loop: Header=BB4_3484 Depth=2
	v_ashrrev_i32_e32 v2, 31, v148
	s_mov_b32 s14, exec_lo
	s_delay_alu instid0(VALU_DEP_1) | instskip(NEXT) | instid1(VALU_DEP_1)
	v_lshrrev_b32_e32 v2, 22, v2
	v_add_nc_u32_e32 v2, v148, v2
	s_delay_alu instid0(VALU_DEP_1) | instskip(NEXT) | instid1(VALU_DEP_1)
	v_ashrrev_i32_e32 v84, 10, v2
	v_sub_nc_u32_e32 v2, v84, v99
	s_delay_alu instid0(VALU_DEP_1)
	v_cmpx_lt_i32_e32 0, v2
	s_cbranch_execz .LBB4_7977
; %bb.6533:                             ;   in Loop: Header=BB4_3484 Depth=2
	s_cbranch_execz .LBB4_6534
; %bb.10966:
	s_getpc_b64 s[48:49]
.Lpost_getpc260:
	s_add_u32 s48, s48, (.LBB4_10554-.Lpost_getpc260)&4294967295
	s_addc_u32 s49, s49, (.LBB4_10554-.Lpost_getpc260)>>32
	s_setpc_b64 s[48:49]
.LBB4_6534:                             ;   in Loop: Header=BB4_3484 Depth=2
	ds_load_b128 v[8:11], v0
	ds_load_b64 v[12:13], v0
	s_bitcmp1_b32 s30, 0
	s_mov_b32 s15, 0
	s_cselect_b32 s16, -1, 0
	s_waitcnt lgkmcnt(1)
	v_add_co_u32 v69, vcc_lo, v8, v130
	v_add_co_ci_u32_e32 v70, vcc_lo, v9, v131, vcc_lo
	v_add_co_u32 v80, vcc_lo, v10, v130
	v_add_co_ci_u32_e32 v81, vcc_lo, v11, v131, vcc_lo
	s_waitcnt lgkmcnt(0)
	v_add_co_u32 v82, vcc_lo, v12, v130
	v_add_co_ci_u32_e32 v83, vcc_lo, v13, v131, vcc_lo
	s_branch .LBB4_6538
.LBB4_6535:                             ;   in Loop: Header=BB4_6538 Depth=3
	s_or_b32 exec_lo, exec_lo, s13
	s_delay_alu instid0(VALU_DEP_1) | instskip(NEXT) | instid1(VALU_DEP_2)
	v_lshrrev_b32_e32 v15, 20, v15
	v_min_i32_e32 v181, 15, v11
	v_cmp_gt_i32_e32 vcc_lo, 16, v11
	v_lshrrev_b32_e32 v182, 24, v183
	s_delay_alu instid0(VALU_DEP_3) | instskip(NEXT) | instid1(VALU_DEP_2)
	v_lshlrev_b32_e32 v181, 3, v181
	v_dual_cndmask_b32 v15, 7, v15 :: v_dual_and_b32 v182, 0x80, v182
	s_delay_alu instid0(VALU_DEP_2) | instskip(NEXT) | instid1(VALU_DEP_2)
	v_and_b32_e32 v181, 0xf8, v181
	v_and_b32_e32 v183, 7, v15
	v_or_b32_e32 v11, v11, v15
	s_delay_alu instid0(VALU_DEP_2) | instskip(NEXT) | instid1(VALU_DEP_2)
	v_or3_b32 v181, v182, v181, v183
	v_cmp_ne_u32_e32 vcc_lo, 0, v11
	s_delay_alu instid0(VALU_DEP_2) | instskip(NEXT) | instid1(VALU_DEP_1)
	v_lshlrev_b32_e32 v15, 8, v181
	v_cndmask_b32_e32 v11, 0, v15, vcc_lo
.LBB4_6536:                             ;   in Loop: Header=BB4_6538 Depth=3
	s_or_b32 exec_lo, exec_lo, s31
.LBB4_6537:                             ;   in Loop: Header=BB4_6538 Depth=3
	s_delay_alu instid0(SALU_CYCLE_1)
	s_or_b32 exec_lo, exec_lo, s17
	v_lshlrev_b32_e32 v15, 8, v151
	v_lshlrev_b32_e32 v151, 24, v16
	;; [unrolled: 1-line block ×4, first 2 shown]
	v_or_b32_e32 v17, v17, v160
	v_perm_b32 v15, v15, v20, 0xc0c0500
	v_and_b32_e32 v20, 0xff, v162
	v_and_b32_e32 v150, 0xff, v150
	v_lshlrev_b32_e32 v18, 24, v18
	v_perm_b32 v21, v149, v21, 0xc0c0500
	v_perm_b32 v85, v16, v85, 0xc0c0500
	v_lshlrev_b32_e32 v20, 16, v20
	v_lshlrev_b32_e32 v150, 16, v150
	;; [unrolled: 1-line block ×3, first 2 shown]
	v_lshl_or_b32 v16, v17, 16, v15
	v_or_b32_e32 v19, v19, v164
	v_or3_b32 v17, v18, v20, v21
	v_lshlrev_b32_e32 v18, 8, v167
	v_or3_b32 v15, v151, v150, v85
	v_perm_b32 v20, v149, v22, 0xc0c0500
	v_and_b32_e32 v21, 0xff, v166
	v_and_b32_e32 v22, 0xff, v178
	v_perm_b32 v12, v18, v12, 0xc0c0500
	v_lshlrev_b32_e32 v18, 8, v165
	v_lshlrev_b32_e32 v85, 8, v177
	;; [unrolled: 1-line block ×3, first 2 shown]
	v_or_b32_e32 v9, v9, v176
	v_lshlrev_b32_e32 v8, 24, v8
	v_lshlrev_b32_e32 v21, 16, v21
	v_perm_b32 v23, v18, v23, 0xc0c0500
	v_lshlrev_b32_e32 v10, 24, v10
	v_lshlrev_b32_e32 v22, 16, v22
	v_perm_b32 v13, v85, v13, 0xc0c0500
	v_perm_b32 v14, v149, v14, 0xc0c0500
	v_or_b32_e32 v11, v11, v180
	v_add_co_u32 v69, vcc_lo, v69, v132
	v_lshl_or_b32 v18, v19, 16, v20
	v_sub_nc_u32_e32 v2, v2, v97
	v_lshl_or_b32 v9, v9, 16, v12
	v_or3_b32 v8, v8, v21, v23
	v_or3_b32 v10, v10, v22, v13
	v_lshl_or_b32 v11, v11, 16, v14
	v_add_co_ci_u32_e32 v70, vcc_lo, v70, v133, vcc_lo
	v_add_co_u32 v80, vcc_lo, v80, v132
	v_add_co_ci_u32_e32 v81, vcc_lo, v81, v133, vcc_lo
	s_clause 0x1
	global_store_b128 v[82:83], v[15:18], off glc slc dlc
	global_store_b128 v[82:83], v[8:11], off offset:512 glc slc dlc
	v_cmp_gt_i32_e32 vcc_lo, 1, v2
	v_add_co_u32 v82, s13, v82, v132
	s_delay_alu instid0(VALU_DEP_1) | instskip(SKIP_1) | instid1(SALU_CYCLE_1)
	v_add_co_ci_u32_e64 v83, s13, v83, v133, s13
	s_or_b32 s15, vcc_lo, s15
	s_and_not1_b32 exec_lo, exec_lo, s15
	s_cbranch_execz .LBB4_7976
.LBB4_6538:                             ;   Parent Loop BB4_51 Depth=1
                                        ;     Parent Loop BB4_3484 Depth=2
                                        ; =>    This Inner Loop Header: Depth=3
	s_clause 0x1
	global_load_b128 v[20:23], v[69:70], off slc dlc
	global_load_b128 v[12:15], v[69:70], off offset:512 slc dlc
	s_clause 0x1
	global_load_b128 v[16:19], v[80:81], off slc dlc
	global_load_b128 v[8:11], v[80:81], off offset:512 slc dlc
	s_and_b32 vcc_lo, exec_lo, s16
	s_cbranch_vccz .LBB4_6548
; %bb.6539:                             ;   in Loop: Header=BB4_6538 Depth=3
	s_waitcnt vmcnt(3)
	v_and_b32_e32 v149, 0xff, v20
	s_mov_b32 s13, 0
	s_mov_b32 s31, exec_lo
                                        ; implicit-def: $sgpr17
	s_delay_alu instid0(VALU_DEP_1)
	v_cmpx_lt_i16_e64 0x7f, v149
	s_xor_b32 s31, exec_lo, s31
	s_cbranch_execnz .LBB4_7464
; %bb.6540:                             ;   in Loop: Header=BB4_6538 Depth=3
	s_or_saveexec_b32 s31, s31
	v_mov_b32_e32 v85, s17
	s_xor_b32 exec_lo, exec_lo, s31
	s_cbranch_execnz .LBB4_7467
.LBB4_6541:                             ;   in Loop: Header=BB4_6538 Depth=3
	s_or_b32 exec_lo, exec_lo, s31
	s_and_saveexec_b32 s17, s13
	s_cbranch_execz .LBB4_6543
.LBB4_6542:                             ;   in Loop: Header=BB4_6538 Depth=3
	v_and_b32_e32 v85, 7, v20
	v_bfe_u32 v151, v20, 3, 4
	s_delay_alu instid0(VALU_DEP_2) | instskip(NEXT) | instid1(VALU_DEP_2)
	v_clz_i32_u32_e32 v149, v85
	v_cmp_eq_u32_e32 vcc_lo, 0, v151
	s_delay_alu instid0(VALU_DEP_2) | instskip(NEXT) | instid1(VALU_DEP_1)
	v_min_u32_e32 v149, 32, v149
	v_subrev_nc_u32_e32 v150, 28, v149
	v_sub_nc_u32_e32 v149, 29, v149
	s_delay_alu instid0(VALU_DEP_1) | instskip(NEXT) | instid1(VALU_DEP_1)
	v_dual_cndmask_b32 v149, v151, v149 :: v_dual_lshlrev_b32 v150, v150, v20
	v_and_b32_e32 v150, 7, v150
	v_lshlrev_b32_e32 v160, 24, v20
	s_delay_alu instid0(VALU_DEP_3) | instskip(NEXT) | instid1(VALU_DEP_2)
	v_lshl_add_u32 v149, v149, 23, 0x3b800000
	v_dual_cndmask_b32 v85, v85, v150 :: v_dual_and_b32 v150, 0x80000000, v160
	s_delay_alu instid0(VALU_DEP_1) | instskip(NEXT) | instid1(VALU_DEP_1)
	v_lshlrev_b32_e32 v85, 20, v85
	v_or3_b32 v85, v150, v149, v85
.LBB4_6543:                             ;   in Loop: Header=BB4_6538 Depth=3
	s_or_b32 exec_lo, exec_lo, s17
	s_waitcnt vmcnt(1)
	v_and_b32_e32 v150, 0xff, v16
	s_mov_b32 s13, 0
	s_mov_b32 s31, exec_lo
                                        ; implicit-def: $sgpr17
	s_delay_alu instid0(VALU_DEP_1)
	v_cmpx_lt_i16_e64 0x7f, v150
	s_xor_b32 s31, exec_lo, s31
	s_cbranch_execnz .LBB4_7468
; %bb.6544:                             ;   in Loop: Header=BB4_6538 Depth=3
	s_or_saveexec_b32 s31, s31
	v_mov_b32_e32 v149, s17
	s_xor_b32 exec_lo, exec_lo, s31
	s_cbranch_execnz .LBB4_7471
.LBB4_6545:                             ;   in Loop: Header=BB4_6538 Depth=3
	s_or_b32 exec_lo, exec_lo, s31
	s_and_saveexec_b32 s17, s13
	s_cbranch_execz .LBB4_6547
.LBB4_6546:                             ;   in Loop: Header=BB4_6538 Depth=3
	v_bfe_u32 v160, v16, 3, 4
	v_lshlrev_b32_e32 v161, 24, v16
	s_delay_alu instid0(VALU_DEP_2) | instskip(SKIP_1) | instid1(VALU_DEP_1)
	v_cmp_eq_u32_e32 vcc_lo, 0, v160
	v_and_b32_e32 v149, 7, v16
	v_clz_i32_u32_e32 v150, v149
	s_delay_alu instid0(VALU_DEP_1) | instskip(NEXT) | instid1(VALU_DEP_1)
	v_min_u32_e32 v150, 32, v150
	v_subrev_nc_u32_e32 v151, 28, v150
	v_sub_nc_u32_e32 v150, 29, v150
	s_delay_alu instid0(VALU_DEP_1) | instskip(NEXT) | instid1(VALU_DEP_1)
	v_dual_cndmask_b32 v150, v160, v150 :: v_dual_lshlrev_b32 v151, v151, v16
	v_and_b32_e32 v151, 7, v151
	s_delay_alu instid0(VALU_DEP_2) | instskip(NEXT) | instid1(VALU_DEP_2)
	v_lshl_add_u32 v150, v150, 23, 0x3b800000
	v_cndmask_b32_e32 v149, v149, v151, vcc_lo
	v_and_b32_e32 v151, 0x80000000, v161
	s_delay_alu instid0(VALU_DEP_2) | instskip(NEXT) | instid1(VALU_DEP_1)
	v_lshlrev_b32_e32 v149, 20, v149
	v_or3_b32 v149, v151, v150, v149
.LBB4_6547:                             ;   in Loop: Header=BB4_6538 Depth=3
	s_or_b32 exec_lo, exec_lo, s17
	s_delay_alu instid0(VALU_DEP_1) | instskip(SKIP_2) | instid1(VALU_DEP_1)
	v_max_f32_e32 v149, v149, v149
	v_max_f32_e32 v85, v85, v85
	s_mov_b32 s13, 0
	v_max_f32_e32 v149, v85, v149
	s_branch .LBB4_6549
.LBB4_6548:                             ;   in Loop: Header=BB4_6538 Depth=3
	s_mov_b32 s13, -1
                                        ; implicit-def: $vgpr149
.LBB4_6549:                             ;   in Loop: Header=BB4_6538 Depth=3
	s_delay_alu instid0(SALU_CYCLE_1)
	s_and_b32 vcc_lo, exec_lo, s13
	s_cbranch_vccz .LBB4_6559
; %bb.6550:                             ;   in Loop: Header=BB4_6538 Depth=3
	s_waitcnt vmcnt(3)
	v_and_b32_e32 v149, 0xff, v20
	s_mov_b32 s13, 0
	s_mov_b32 s31, exec_lo
                                        ; implicit-def: $sgpr17
	s_delay_alu instid0(VALU_DEP_1)
	v_cmpx_lt_i16_e64 0x7f, v149
	s_xor_b32 s31, exec_lo, s31
	s_cbranch_execnz .LBB4_7472
; %bb.6551:                             ;   in Loop: Header=BB4_6538 Depth=3
	s_or_saveexec_b32 s31, s31
	v_mov_b32_e32 v85, s17
	s_xor_b32 exec_lo, exec_lo, s31
	s_cbranch_execnz .LBB4_7475
.LBB4_6552:                             ;   in Loop: Header=BB4_6538 Depth=3
	s_or_b32 exec_lo, exec_lo, s31
	s_and_saveexec_b32 s17, s13
	s_cbranch_execz .LBB4_6554
.LBB4_6553:                             ;   in Loop: Header=BB4_6538 Depth=3
	v_and_b32_e32 v85, 7, v20
	v_bfe_u32 v151, v20, 3, 4
	s_delay_alu instid0(VALU_DEP_2) | instskip(NEXT) | instid1(VALU_DEP_2)
	v_clz_i32_u32_e32 v149, v85
	v_cmp_eq_u32_e32 vcc_lo, 0, v151
	s_delay_alu instid0(VALU_DEP_2) | instskip(NEXT) | instid1(VALU_DEP_1)
	v_min_u32_e32 v149, 32, v149
	v_subrev_nc_u32_e32 v150, 28, v149
	v_sub_nc_u32_e32 v149, 29, v149
	s_delay_alu instid0(VALU_DEP_1) | instskip(NEXT) | instid1(VALU_DEP_1)
	v_dual_cndmask_b32 v149, v151, v149 :: v_dual_lshlrev_b32 v150, v150, v20
	v_and_b32_e32 v150, 7, v150
	v_lshlrev_b32_e32 v160, 24, v20
	s_delay_alu instid0(VALU_DEP_3) | instskip(NEXT) | instid1(VALU_DEP_2)
	v_lshl_add_u32 v149, v149, 23, 0x3b800000
	v_dual_cndmask_b32 v85, v85, v150 :: v_dual_and_b32 v150, 0x80000000, v160
	s_delay_alu instid0(VALU_DEP_1) | instskip(NEXT) | instid1(VALU_DEP_1)
	v_lshlrev_b32_e32 v85, 20, v85
	v_or3_b32 v85, v150, v149, v85
.LBB4_6554:                             ;   in Loop: Header=BB4_6538 Depth=3
	s_or_b32 exec_lo, exec_lo, s17
	s_waitcnt vmcnt(1)
	v_and_b32_e32 v150, 0xff, v16
	s_mov_b32 s13, 0
	s_mov_b32 s31, exec_lo
                                        ; implicit-def: $sgpr17
	s_delay_alu instid0(VALU_DEP_1)
	v_cmpx_lt_i16_e64 0x7f, v150
	s_xor_b32 s31, exec_lo, s31
	s_cbranch_execnz .LBB4_7476
; %bb.6555:                             ;   in Loop: Header=BB4_6538 Depth=3
	s_or_saveexec_b32 s31, s31
	v_mov_b32_e32 v149, s17
	s_xor_b32 exec_lo, exec_lo, s31
	s_cbranch_execnz .LBB4_7479
.LBB4_6556:                             ;   in Loop: Header=BB4_6538 Depth=3
	s_or_b32 exec_lo, exec_lo, s31
	s_and_saveexec_b32 s17, s13
	s_cbranch_execz .LBB4_6558
.LBB4_6557:                             ;   in Loop: Header=BB4_6538 Depth=3
	v_bfe_u32 v160, v16, 3, 4
	v_lshlrev_b32_e32 v161, 24, v16
	s_delay_alu instid0(VALU_DEP_2) | instskip(SKIP_1) | instid1(VALU_DEP_1)
	v_cmp_eq_u32_e32 vcc_lo, 0, v160
	v_and_b32_e32 v149, 7, v16
	v_clz_i32_u32_e32 v150, v149
	s_delay_alu instid0(VALU_DEP_1) | instskip(NEXT) | instid1(VALU_DEP_1)
	v_min_u32_e32 v150, 32, v150
	v_subrev_nc_u32_e32 v151, 28, v150
	v_sub_nc_u32_e32 v150, 29, v150
	s_delay_alu instid0(VALU_DEP_1) | instskip(NEXT) | instid1(VALU_DEP_1)
	v_dual_cndmask_b32 v150, v160, v150 :: v_dual_lshlrev_b32 v151, v151, v16
	v_and_b32_e32 v151, 7, v151
	s_delay_alu instid0(VALU_DEP_2) | instskip(NEXT) | instid1(VALU_DEP_2)
	v_lshl_add_u32 v150, v150, 23, 0x3b800000
	v_cndmask_b32_e32 v149, v149, v151, vcc_lo
	v_and_b32_e32 v151, 0x80000000, v161
	s_delay_alu instid0(VALU_DEP_2) | instskip(NEXT) | instid1(VALU_DEP_1)
	v_lshlrev_b32_e32 v149, 20, v149
	v_or3_b32 v149, v151, v150, v149
.LBB4_6558:                             ;   in Loop: Header=BB4_6538 Depth=3
	s_or_b32 exec_lo, exec_lo, s17
	s_delay_alu instid0(VALU_DEP_1) | instskip(SKIP_1) | instid1(VALU_DEP_1)
	v_max_f32_e32 v149, v149, v149
	v_max_f32_e32 v85, v85, v85
	v_min_f32_e32 v149, v85, v149
.LBB4_6559:                             ;   in Loop: Header=BB4_6538 Depth=3
	s_delay_alu instid0(VALU_DEP_1) | instskip(NEXT) | instid1(VALU_DEP_1)
	v_and_b32_e32 v85, 0x7f800000, v149
	v_cmp_ne_u32_e32 vcc_lo, 0x7f800000, v85
	v_mov_b32_e32 v85, 0x80
	s_and_saveexec_b32 s17, vcc_lo
	s_cbranch_execz .LBB4_6567
; %bb.6560:                             ;   in Loop: Header=BB4_6538 Depth=3
	v_mov_b32_e32 v85, 0
	s_mov_b32 s31, exec_lo
	v_cmpx_ne_u32_e32 0, v149
	s_cbranch_execz .LBB4_6566
; %bb.6561:                             ;   in Loop: Header=BB4_6538 Depth=3
	v_bfe_u32 v85, v149, 23, 8
	s_delay_alu instid0(VALU_DEP_1) | instskip(SKIP_1) | instid1(VALU_DEP_2)
	v_sub_nc_u32_e32 v151, 0x78, v85
	v_cmp_gt_u32_e32 vcc_lo, 0x79, v85
	v_dual_cndmask_b32 v151, 0, v151 :: v_dual_and_b32 v150, 0x7fffff, v149
	s_delay_alu instid0(VALU_DEP_1) | instskip(SKIP_2) | instid1(VALU_DEP_4)
	v_or_b32_e32 v160, 0x800000, v150
	v_cmp_eq_u32_e32 vcc_lo, 0, v85
	v_add_nc_u32_e32 v85, 0xffffff89, v85
	v_cndmask_b32_e64 v151, v151, 0x77, vcc_lo
	s_delay_alu instid0(VALU_DEP_4) | instskip(NEXT) | instid1(VALU_DEP_3)
	v_cndmask_b32_e32 v150, v160, v150, vcc_lo
	v_cndmask_b32_e64 v85, v85, 0xffffff8a, vcc_lo
	s_delay_alu instid0(VALU_DEP_3) | instskip(NEXT) | instid1(VALU_DEP_3)
	v_lshl_add_u32 v160, 0x100000, v151, -1
	v_lshrrev_b32_e32 v161, v151, v150
	v_lshlrev_b32_e64 v163, v151, 0x80000
	s_delay_alu instid0(VALU_DEP_4) | instskip(NEXT) | instid1(VALU_DEP_4)
	v_add_nc_u32_e32 v151, v151, v85
	v_and_b32_e32 v150, v160, v150
	s_delay_alu instid0(VALU_DEP_4) | instskip(NEXT) | instid1(VALU_DEP_2)
	v_bfe_u32 v162, v161, 20, 1
	v_cmp_eq_u32_e64 s13, v150, v163
	s_delay_alu instid0(VALU_DEP_2) | instskip(NEXT) | instid1(VALU_DEP_1)
	v_add_nc_u32_e32 v160, -1, v162
	v_cndmask_b32_e64 v150, 0, v160, s13
	v_lshrrev_b32_e32 v160, 23, v161
	s_mov_b32 s13, exec_lo
	s_delay_alu instid0(VALU_DEP_2) | instskip(NEXT) | instid1(VALU_DEP_2)
	v_add_nc_u32_e32 v150, v150, v161
	v_xor_b32_e32 v160, 1, v160
	s_delay_alu instid0(VALU_DEP_2) | instskip(NEXT) | instid1(VALU_DEP_1)
	v_and_b32_e32 v85, 0xfffff, v150
	v_add_nc_u32_e32 v150, v85, v161
                                        ; implicit-def: $vgpr85
	s_delay_alu instid0(VALU_DEP_3)
	v_cmpx_ne_u32_e64 v151, v160
	s_xor_b32 s13, exec_lo, s13
; %bb.6562:                             ;   in Loop: Header=BB4_6538 Depth=3
	s_delay_alu instid0(VALU_DEP_2) | instskip(SKIP_2) | instid1(VALU_DEP_2)
	v_cmp_lt_u32_e32 vcc_lo, 0xffffff, v150
	v_sub_nc_u32_e32 v85, v151, v160
	v_cndmask_b32_e64 v151, 0, 1, vcc_lo
	v_add_co_ci_u32_e32 v85, vcc_lo, 0, v85, vcc_lo
	s_delay_alu instid0(VALU_DEP_2)
	v_lshrrev_b32_e32 v150, v151, v150
; %bb.6563:                             ;   in Loop: Header=BB4_6538 Depth=3
	s_and_not1_saveexec_b32 s13, s13
; %bb.6564:                             ;   in Loop: Header=BB4_6538 Depth=3
	s_delay_alu instid0(VALU_DEP_1)
	v_bfe_u32 v85, v150, 23, 1
; %bb.6565:                             ;   in Loop: Header=BB4_6538 Depth=3
	s_or_b32 exec_lo, exec_lo, s13
	v_lshrrev_b32_e32 v150, 20, v150
	s_delay_alu instid0(VALU_DEP_2) | instskip(SKIP_2) | instid1(VALU_DEP_2)
	v_cmp_gt_i32_e32 vcc_lo, 16, v85
	v_lshrrev_b32_e32 v149, 24, v149
	v_min_i32_e32 v151, 15, v85
	v_dual_cndmask_b32 v150, 7, v150 :: v_dual_and_b32 v149, 0x80, v149
	s_delay_alu instid0(VALU_DEP_2) | instskip(NEXT) | instid1(VALU_DEP_2)
	v_lshlrev_b32_e32 v151, 3, v151
	v_or_b32_e32 v85, v85, v150
	s_delay_alu instid0(VALU_DEP_1) | instskip(SKIP_1) | instid1(VALU_DEP_1)
	v_cmp_ne_u32_e32 vcc_lo, 0, v85
	v_and_b32_e32 v160, 7, v150
	v_or3_b32 v149, v151, v149, v160
	s_delay_alu instid0(VALU_DEP_1)
	v_cndmask_b32_e32 v85, 0, v149, vcc_lo
.LBB4_6566:                             ;   in Loop: Header=BB4_6538 Depth=3
	s_or_b32 exec_lo, exec_lo, s31
.LBB4_6567:                             ;   in Loop: Header=BB4_6538 Depth=3
	s_delay_alu instid0(SALU_CYCLE_1)
	s_or_b32 exec_lo, exec_lo, s17
	s_waitcnt vmcnt(3)
	v_lshrrev_b16 v150, 8, v20
	s_waitcnt vmcnt(1)
	v_lshrrev_b16 v149, 8, v16
	s_and_b32 vcc_lo, exec_lo, s16
	s_cbranch_vccz .LBB4_6577
; %bb.6568:                             ;   in Loop: Header=BB4_6538 Depth=3
	s_mov_b32 s13, 0
	s_mov_b32 s31, exec_lo
                                        ; implicit-def: $sgpr17
	v_cmpx_lt_i16_e64 0x7f, v150
	s_xor_b32 s31, exec_lo, s31
	s_cbranch_execnz .LBB4_7480
; %bb.6569:                             ;   in Loop: Header=BB4_6538 Depth=3
	s_or_saveexec_b32 s31, s31
	v_mov_b32_e32 v151, s17
	s_xor_b32 exec_lo, exec_lo, s31
	s_cbranch_execnz .LBB4_7483
.LBB4_6570:                             ;   in Loop: Header=BB4_6538 Depth=3
	s_or_b32 exec_lo, exec_lo, s31
	s_and_saveexec_b32 s17, s13
	s_cbranch_execz .LBB4_6572
.LBB4_6571:                             ;   in Loop: Header=BB4_6538 Depth=3
	v_and_b32_e32 v151, 0xffff, v150
	s_delay_alu instid0(VALU_DEP_1) | instskip(NEXT) | instid1(VALU_DEP_1)
	v_and_b32_e32 v160, 7, v151
	v_clz_i32_u32_e32 v161, v160
	s_delay_alu instid0(VALU_DEP_1) | instskip(NEXT) | instid1(VALU_DEP_1)
	v_min_u32_e32 v161, 32, v161
	v_subrev_nc_u32_e32 v162, 28, v161
	v_sub_nc_u32_e32 v161, 29, v161
	s_delay_alu instid0(VALU_DEP_2) | instskip(SKIP_1) | instid1(VALU_DEP_2)
	v_lshlrev_b32_e32 v162, v162, v151
	v_bfe_u32 v151, v151, 3, 4
	v_and_b32_e32 v162, 7, v162
	s_delay_alu instid0(VALU_DEP_2) | instskip(SKIP_1) | instid1(VALU_DEP_3)
	v_cmp_eq_u32_e32 vcc_lo, 0, v151
	v_cndmask_b32_e32 v151, v151, v161, vcc_lo
	v_dual_cndmask_b32 v160, v160, v162 :: v_dual_lshlrev_b32 v163, 16, v20
	s_delay_alu instid0(VALU_DEP_2) | instskip(NEXT) | instid1(VALU_DEP_2)
	v_lshl_add_u32 v151, v151, 23, 0x3b800000
	v_and_b32_e32 v161, 0x80000000, v163
	s_delay_alu instid0(VALU_DEP_3) | instskip(NEXT) | instid1(VALU_DEP_1)
	v_lshlrev_b32_e32 v160, 20, v160
	v_or3_b32 v151, v161, v151, v160
.LBB4_6572:                             ;   in Loop: Header=BB4_6538 Depth=3
	s_or_b32 exec_lo, exec_lo, s17
	s_mov_b32 s13, 0
	s_mov_b32 s31, exec_lo
                                        ; implicit-def: $sgpr17
	v_cmpx_lt_i16_e64 0x7f, v149
	s_xor_b32 s31, exec_lo, s31
	s_cbranch_execnz .LBB4_7484
; %bb.6573:                             ;   in Loop: Header=BB4_6538 Depth=3
	s_or_saveexec_b32 s31, s31
	v_mov_b32_e32 v160, s17
	s_xor_b32 exec_lo, exec_lo, s31
	s_cbranch_execnz .LBB4_7487
.LBB4_6574:                             ;   in Loop: Header=BB4_6538 Depth=3
	s_or_b32 exec_lo, exec_lo, s31
	s_and_saveexec_b32 s17, s13
	s_cbranch_execz .LBB4_6576
.LBB4_6575:                             ;   in Loop: Header=BB4_6538 Depth=3
	v_and_b32_e32 v160, 0xffff, v149
	v_lshlrev_b32_e32 v164, 16, v16
	s_delay_alu instid0(VALU_DEP_2) | instskip(NEXT) | instid1(VALU_DEP_1)
	v_and_b32_e32 v161, 7, v160
	v_clz_i32_u32_e32 v162, v161
	s_delay_alu instid0(VALU_DEP_1) | instskip(NEXT) | instid1(VALU_DEP_1)
	v_min_u32_e32 v162, 32, v162
	v_subrev_nc_u32_e32 v163, 28, v162
	v_sub_nc_u32_e32 v162, 29, v162
	s_delay_alu instid0(VALU_DEP_2) | instskip(SKIP_1) | instid1(VALU_DEP_2)
	v_lshlrev_b32_e32 v163, v163, v160
	v_bfe_u32 v160, v160, 3, 4
	v_and_b32_e32 v163, 7, v163
	s_delay_alu instid0(VALU_DEP_2) | instskip(NEXT) | instid1(VALU_DEP_2)
	v_cmp_eq_u32_e32 vcc_lo, 0, v160
	v_dual_cndmask_b32 v160, v160, v162 :: v_dual_cndmask_b32 v161, v161, v163
	v_and_b32_e32 v162, 0x80000000, v164
	s_delay_alu instid0(VALU_DEP_2) | instskip(NEXT) | instid1(VALU_DEP_3)
	v_lshl_add_u32 v160, v160, 23, 0x3b800000
	v_lshlrev_b32_e32 v161, 20, v161
	s_delay_alu instid0(VALU_DEP_1)
	v_or3_b32 v160, v162, v160, v161
.LBB4_6576:                             ;   in Loop: Header=BB4_6538 Depth=3
	s_or_b32 exec_lo, exec_lo, s17
	s_delay_alu instid0(VALU_DEP_1) | instskip(SKIP_1) | instid1(VALU_DEP_1)
	v_dual_max_f32 v160, v160, v160 :: v_dual_max_f32 v151, v151, v151
	s_mov_b32 s13, 0
	v_max_f32_e32 v151, v151, v160
	s_branch .LBB4_6578
.LBB4_6577:                             ;   in Loop: Header=BB4_6538 Depth=3
	s_mov_b32 s13, -1
                                        ; implicit-def: $vgpr151
.LBB4_6578:                             ;   in Loop: Header=BB4_6538 Depth=3
	s_delay_alu instid0(SALU_CYCLE_1)
	s_and_b32 vcc_lo, exec_lo, s13
	s_cbranch_vccz .LBB4_6588
; %bb.6579:                             ;   in Loop: Header=BB4_6538 Depth=3
	s_mov_b32 s13, 0
	s_mov_b32 s31, exec_lo
                                        ; implicit-def: $sgpr17
	v_cmpx_lt_i16_e64 0x7f, v150
	s_xor_b32 s31, exec_lo, s31
	s_cbranch_execnz .LBB4_7488
; %bb.6580:                             ;   in Loop: Header=BB4_6538 Depth=3
	s_or_saveexec_b32 s31, s31
	v_mov_b32_e32 v151, s17
	s_xor_b32 exec_lo, exec_lo, s31
	s_cbranch_execnz .LBB4_7491
.LBB4_6581:                             ;   in Loop: Header=BB4_6538 Depth=3
	s_or_b32 exec_lo, exec_lo, s31
	s_and_saveexec_b32 s17, s13
	s_cbranch_execz .LBB4_6583
.LBB4_6582:                             ;   in Loop: Header=BB4_6538 Depth=3
	v_and_b32_e32 v150, 0xffff, v150
	v_lshlrev_b32_e32 v162, 16, v20
	s_delay_alu instid0(VALU_DEP_2) | instskip(NEXT) | instid1(VALU_DEP_1)
	v_and_b32_e32 v151, 7, v150
	v_clz_i32_u32_e32 v160, v151
	s_delay_alu instid0(VALU_DEP_1) | instskip(NEXT) | instid1(VALU_DEP_1)
	v_min_u32_e32 v160, 32, v160
	v_subrev_nc_u32_e32 v161, 28, v160
	v_sub_nc_u32_e32 v160, 29, v160
	s_delay_alu instid0(VALU_DEP_2) | instskip(SKIP_1) | instid1(VALU_DEP_2)
	v_lshlrev_b32_e32 v161, v161, v150
	v_bfe_u32 v150, v150, 3, 4
	v_and_b32_e32 v161, 7, v161
	s_delay_alu instid0(VALU_DEP_2) | instskip(NEXT) | instid1(VALU_DEP_2)
	v_cmp_eq_u32_e32 vcc_lo, 0, v150
	v_dual_cndmask_b32 v150, v150, v160 :: v_dual_cndmask_b32 v151, v151, v161
	v_and_b32_e32 v160, 0x80000000, v162
	s_delay_alu instid0(VALU_DEP_2) | instskip(NEXT) | instid1(VALU_DEP_3)
	v_lshl_add_u32 v150, v150, 23, 0x3b800000
	v_lshlrev_b32_e32 v151, 20, v151
	s_delay_alu instid0(VALU_DEP_1)
	v_or3_b32 v151, v160, v150, v151
.LBB4_6583:                             ;   in Loop: Header=BB4_6538 Depth=3
	s_or_b32 exec_lo, exec_lo, s17
	s_mov_b32 s13, 0
	s_mov_b32 s31, exec_lo
                                        ; implicit-def: $sgpr17
	v_cmpx_lt_i16_e64 0x7f, v149
	s_xor_b32 s31, exec_lo, s31
	s_cbranch_execnz .LBB4_7492
; %bb.6584:                             ;   in Loop: Header=BB4_6538 Depth=3
	s_or_saveexec_b32 s31, s31
	v_mov_b32_e32 v150, s17
	s_xor_b32 exec_lo, exec_lo, s31
	s_cbranch_execnz .LBB4_7495
.LBB4_6585:                             ;   in Loop: Header=BB4_6538 Depth=3
	s_or_b32 exec_lo, exec_lo, s31
	s_and_saveexec_b32 s17, s13
	s_cbranch_execz .LBB4_6587
.LBB4_6586:                             ;   in Loop: Header=BB4_6538 Depth=3
	v_and_b32_e32 v149, 0xffff, v149
	v_lshlrev_b32_e32 v162, 16, v16
	s_delay_alu instid0(VALU_DEP_2) | instskip(NEXT) | instid1(VALU_DEP_1)
	v_and_b32_e32 v150, 7, v149
	v_clz_i32_u32_e32 v160, v150
	s_delay_alu instid0(VALU_DEP_1) | instskip(NEXT) | instid1(VALU_DEP_1)
	v_min_u32_e32 v160, 32, v160
	v_subrev_nc_u32_e32 v161, 28, v160
	v_sub_nc_u32_e32 v160, 29, v160
	s_delay_alu instid0(VALU_DEP_2) | instskip(SKIP_1) | instid1(VALU_DEP_2)
	v_lshlrev_b32_e32 v161, v161, v149
	v_bfe_u32 v149, v149, 3, 4
	v_and_b32_e32 v161, 7, v161
	s_delay_alu instid0(VALU_DEP_2) | instskip(NEXT) | instid1(VALU_DEP_2)
	v_cmp_eq_u32_e32 vcc_lo, 0, v149
	v_dual_cndmask_b32 v149, v149, v160 :: v_dual_cndmask_b32 v150, v150, v161
	v_and_b32_e32 v160, 0x80000000, v162
	s_delay_alu instid0(VALU_DEP_2) | instskip(NEXT) | instid1(VALU_DEP_3)
	v_lshl_add_u32 v149, v149, 23, 0x3b800000
	v_lshlrev_b32_e32 v150, 20, v150
	s_delay_alu instid0(VALU_DEP_1)
	v_or3_b32 v150, v160, v149, v150
.LBB4_6587:                             ;   in Loop: Header=BB4_6538 Depth=3
	s_or_b32 exec_lo, exec_lo, s17
	s_delay_alu instid0(VALU_DEP_1) | instskip(NEXT) | instid1(VALU_DEP_1)
	v_dual_max_f32 v149, v150, v150 :: v_dual_max_f32 v150, v151, v151
	v_min_f32_e32 v151, v150, v149
.LBB4_6588:                             ;   in Loop: Header=BB4_6538 Depth=3
	s_delay_alu instid0(VALU_DEP_1) | instskip(NEXT) | instid1(VALU_DEP_1)
	v_and_b32_e32 v149, 0x7f800000, v151
	v_cmp_ne_u32_e32 vcc_lo, 0x7f800000, v149
	v_mov_b32_e32 v149, 0x80
	s_and_saveexec_b32 s17, vcc_lo
	s_cbranch_execz .LBB4_6596
; %bb.6589:                             ;   in Loop: Header=BB4_6538 Depth=3
	v_mov_b32_e32 v149, 0
	s_mov_b32 s31, exec_lo
	v_cmpx_ne_u32_e32 0, v151
	s_cbranch_execz .LBB4_6595
; %bb.6590:                             ;   in Loop: Header=BB4_6538 Depth=3
	v_bfe_u32 v149, v151, 23, 8
	v_and_b32_e32 v150, 0x7fffff, v151
	s_delay_alu instid0(VALU_DEP_2) | instskip(SKIP_1) | instid1(VALU_DEP_3)
	v_sub_nc_u32_e32 v160, 0x78, v149
	v_cmp_gt_u32_e32 vcc_lo, 0x79, v149
	v_or_b32_e32 v161, 0x800000, v150
	s_delay_alu instid0(VALU_DEP_3) | instskip(SKIP_2) | instid1(VALU_DEP_3)
	v_cndmask_b32_e32 v160, 0, v160, vcc_lo
	v_cmp_eq_u32_e32 vcc_lo, 0, v149
	v_add_nc_u32_e32 v149, 0xffffff89, v149
	v_cndmask_b32_e64 v160, v160, 0x77, vcc_lo
	v_cndmask_b32_e32 v150, v161, v150, vcc_lo
	s_delay_alu instid0(VALU_DEP_3) | instskip(NEXT) | instid1(VALU_DEP_3)
	v_cndmask_b32_e64 v149, v149, 0xffffff8a, vcc_lo
	v_lshl_add_u32 v161, 0x100000, v160, -1
	s_delay_alu instid0(VALU_DEP_3) | instskip(SKIP_1) | instid1(VALU_DEP_4)
	v_lshrrev_b32_e32 v162, v160, v150
	v_lshlrev_b32_e64 v164, v160, 0x80000
	v_add_nc_u32_e32 v160, v160, v149
	s_delay_alu instid0(VALU_DEP_4) | instskip(NEXT) | instid1(VALU_DEP_4)
	v_and_b32_e32 v150, v161, v150
	v_bfe_u32 v163, v162, 20, 1
	s_delay_alu instid0(VALU_DEP_2) | instskip(NEXT) | instid1(VALU_DEP_2)
	v_cmp_eq_u32_e64 s13, v150, v164
	v_add_nc_u32_e32 v161, -1, v163
	s_delay_alu instid0(VALU_DEP_1) | instskip(SKIP_2) | instid1(VALU_DEP_2)
	v_cndmask_b32_e64 v150, 0, v161, s13
	v_lshrrev_b32_e32 v161, 23, v162
	s_mov_b32 s13, exec_lo
	v_add_nc_u32_e32 v150, v150, v162
	s_delay_alu instid0(VALU_DEP_2) | instskip(NEXT) | instid1(VALU_DEP_2)
	v_xor_b32_e32 v161, 1, v161
	v_and_b32_e32 v149, 0xfffff, v150
	s_delay_alu instid0(VALU_DEP_1) | instskip(NEXT) | instid1(VALU_DEP_3)
	v_add_nc_u32_e32 v150, v149, v162
                                        ; implicit-def: $vgpr149
	v_cmpx_ne_u32_e64 v160, v161
	s_xor_b32 s13, exec_lo, s13
; %bb.6591:                             ;   in Loop: Header=BB4_6538 Depth=3
	s_delay_alu instid0(VALU_DEP_2) | instskip(SKIP_2) | instid1(VALU_DEP_2)
	v_cmp_lt_u32_e32 vcc_lo, 0xffffff, v150
	v_sub_nc_u32_e32 v149, v160, v161
	v_cndmask_b32_e64 v160, 0, 1, vcc_lo
	v_add_co_ci_u32_e32 v149, vcc_lo, 0, v149, vcc_lo
	s_delay_alu instid0(VALU_DEP_2)
	v_lshrrev_b32_e32 v150, v160, v150
; %bb.6592:                             ;   in Loop: Header=BB4_6538 Depth=3
	s_and_not1_saveexec_b32 s13, s13
; %bb.6593:                             ;   in Loop: Header=BB4_6538 Depth=3
	s_delay_alu instid0(VALU_DEP_1)
	v_bfe_u32 v149, v150, 23, 1
; %bb.6594:                             ;   in Loop: Header=BB4_6538 Depth=3
	s_or_b32 exec_lo, exec_lo, s13
	v_lshrrev_b32_e32 v150, 20, v150
	s_delay_alu instid0(VALU_DEP_2) | instskip(SKIP_2) | instid1(VALU_DEP_2)
	v_cmp_gt_i32_e32 vcc_lo, 16, v149
	v_lshrrev_b32_e32 v151, 24, v151
	v_min_i32_e32 v160, 15, v149
	v_dual_cndmask_b32 v150, 7, v150 :: v_dual_and_b32 v151, 0x80, v151
	s_delay_alu instid0(VALU_DEP_1) | instskip(SKIP_1) | instid1(VALU_DEP_2)
	v_or_b32_e32 v149, v149, v150
	v_and_b32_e32 v161, 7, v150
	v_cmp_ne_u32_e32 vcc_lo, 0, v149
	v_lshlrev_b32_e32 v160, 3, v160
	s_delay_alu instid0(VALU_DEP_1) | instskip(NEXT) | instid1(VALU_DEP_1)
	v_or3_b32 v150, v160, v151, v161
	v_cndmask_b32_e32 v149, 0, v150, vcc_lo
.LBB4_6595:                             ;   in Loop: Header=BB4_6538 Depth=3
	s_or_b32 exec_lo, exec_lo, s31
.LBB4_6596:                             ;   in Loop: Header=BB4_6538 Depth=3
	s_delay_alu instid0(SALU_CYCLE_1)
	s_or_b32 exec_lo, exec_lo, s17
	v_lshrrev_b32_e32 v151, 16, v20
	v_lshrrev_b32_e32 v150, 16, v16
	s_and_b32 vcc_lo, exec_lo, s16
	s_cbranch_vccz .LBB4_6606
; %bb.6597:                             ;   in Loop: Header=BB4_6538 Depth=3
	s_delay_alu instid0(VALU_DEP_2) | instskip(SKIP_2) | instid1(VALU_DEP_1)
	v_and_b32_e32 v161, 0xff, v151
	s_mov_b32 s13, 0
	s_mov_b32 s31, exec_lo
                                        ; implicit-def: $sgpr17
	v_cmpx_lt_i16_e64 0x7f, v161
	s_xor_b32 s31, exec_lo, s31
	s_cbranch_execnz .LBB4_7496
; %bb.6598:                             ;   in Loop: Header=BB4_6538 Depth=3
	s_or_saveexec_b32 s31, s31
	v_mov_b32_e32 v160, s17
	s_xor_b32 exec_lo, exec_lo, s31
	s_cbranch_execnz .LBB4_7499
.LBB4_6599:                             ;   in Loop: Header=BB4_6538 Depth=3
	s_or_b32 exec_lo, exec_lo, s31
	s_and_saveexec_b32 s17, s13
	s_cbranch_execz .LBB4_6601
.LBB4_6600:                             ;   in Loop: Header=BB4_6538 Depth=3
	v_bfe_u32 v160, v20, 16, 3
	v_bfe_u32 v163, v20, 19, 4
	v_lshlrev_b32_e32 v164, 24, v151
	s_delay_alu instid0(VALU_DEP_3) | instskip(NEXT) | instid1(VALU_DEP_3)
	v_clz_i32_u32_e32 v161, v160
	v_cmp_eq_u32_e32 vcc_lo, 0, v163
	s_delay_alu instid0(VALU_DEP_2) | instskip(NEXT) | instid1(VALU_DEP_1)
	v_min_u32_e32 v161, 32, v161
	v_subrev_nc_u32_e32 v162, 28, v161
	v_sub_nc_u32_e32 v161, 29, v161
	s_delay_alu instid0(VALU_DEP_1) | instskip(NEXT) | instid1(VALU_DEP_1)
	v_dual_cndmask_b32 v161, v163, v161 :: v_dual_lshlrev_b32 v162, v162, v151
	v_and_b32_e32 v162, 7, v162
	s_delay_alu instid0(VALU_DEP_2) | instskip(NEXT) | instid1(VALU_DEP_2)
	v_lshl_add_u32 v161, v161, 23, 0x3b800000
	v_cndmask_b32_e32 v160, v160, v162, vcc_lo
	v_and_b32_e32 v162, 0x80000000, v164
	s_delay_alu instid0(VALU_DEP_2) | instskip(NEXT) | instid1(VALU_DEP_1)
	v_lshlrev_b32_e32 v160, 20, v160
	v_or3_b32 v160, v162, v161, v160
.LBB4_6601:                             ;   in Loop: Header=BB4_6538 Depth=3
	s_or_b32 exec_lo, exec_lo, s17
	v_and_b32_e32 v162, 0xff, v150
	s_mov_b32 s13, 0
	s_mov_b32 s31, exec_lo
                                        ; implicit-def: $sgpr17
	s_delay_alu instid0(VALU_DEP_1)
	v_cmpx_lt_i16_e64 0x7f, v162
	s_xor_b32 s31, exec_lo, s31
	s_cbranch_execnz .LBB4_7500
; %bb.6602:                             ;   in Loop: Header=BB4_6538 Depth=3
	s_or_saveexec_b32 s31, s31
	v_mov_b32_e32 v161, s17
	s_xor_b32 exec_lo, exec_lo, s31
	s_cbranch_execnz .LBB4_7503
.LBB4_6603:                             ;   in Loop: Header=BB4_6538 Depth=3
	s_or_b32 exec_lo, exec_lo, s31
	s_and_saveexec_b32 s17, s13
	s_cbranch_execz .LBB4_6605
.LBB4_6604:                             ;   in Loop: Header=BB4_6538 Depth=3
	v_bfe_u32 v161, v16, 16, 3
	v_bfe_u32 v164, v16, 19, 4
	v_lshlrev_b32_e32 v165, 24, v150
	s_delay_alu instid0(VALU_DEP_3) | instskip(NEXT) | instid1(VALU_DEP_3)
	v_clz_i32_u32_e32 v162, v161
	v_cmp_eq_u32_e32 vcc_lo, 0, v164
	s_delay_alu instid0(VALU_DEP_2) | instskip(NEXT) | instid1(VALU_DEP_1)
	v_min_u32_e32 v162, 32, v162
	v_subrev_nc_u32_e32 v163, 28, v162
	v_sub_nc_u32_e32 v162, 29, v162
	s_delay_alu instid0(VALU_DEP_2) | instskip(NEXT) | instid1(VALU_DEP_1)
	v_lshlrev_b32_e32 v163, v163, v150
	v_dual_cndmask_b32 v162, v164, v162 :: v_dual_and_b32 v163, 7, v163
	s_delay_alu instid0(VALU_DEP_1) | instskip(NEXT) | instid1(VALU_DEP_2)
	v_lshl_add_u32 v162, v162, 23, 0x3b800000
	v_cndmask_b32_e32 v161, v161, v163, vcc_lo
	v_and_b32_e32 v163, 0x80000000, v165
	s_delay_alu instid0(VALU_DEP_2) | instskip(NEXT) | instid1(VALU_DEP_1)
	v_lshlrev_b32_e32 v161, 20, v161
	v_or3_b32 v161, v163, v162, v161
.LBB4_6605:                             ;   in Loop: Header=BB4_6538 Depth=3
	s_or_b32 exec_lo, exec_lo, s17
	s_delay_alu instid0(VALU_DEP_1) | instskip(SKIP_1) | instid1(VALU_DEP_1)
	v_dual_max_f32 v161, v161, v161 :: v_dual_max_f32 v160, v160, v160
	s_mov_b32 s13, 0
	v_max_f32_e32 v160, v160, v161
	s_branch .LBB4_6607
.LBB4_6606:                             ;   in Loop: Header=BB4_6538 Depth=3
	s_mov_b32 s13, -1
                                        ; implicit-def: $vgpr160
.LBB4_6607:                             ;   in Loop: Header=BB4_6538 Depth=3
	s_delay_alu instid0(SALU_CYCLE_1)
	s_and_b32 vcc_lo, exec_lo, s13
	s_cbranch_vccz .LBB4_6617
; %bb.6608:                             ;   in Loop: Header=BB4_6538 Depth=3
	v_and_b32_e32 v161, 0xff, v151
	s_mov_b32 s13, 0
	s_mov_b32 s31, exec_lo
                                        ; implicit-def: $sgpr17
	s_delay_alu instid0(VALU_DEP_1)
	v_cmpx_lt_i16_e64 0x7f, v161
	s_xor_b32 s31, exec_lo, s31
	s_cbranch_execnz .LBB4_7504
; %bb.6609:                             ;   in Loop: Header=BB4_6538 Depth=3
	s_or_saveexec_b32 s31, s31
	v_mov_b32_e32 v160, s17
	s_xor_b32 exec_lo, exec_lo, s31
	s_cbranch_execnz .LBB4_7507
.LBB4_6610:                             ;   in Loop: Header=BB4_6538 Depth=3
	s_or_b32 exec_lo, exec_lo, s31
	s_and_saveexec_b32 s17, s13
	s_cbranch_execz .LBB4_6612
.LBB4_6611:                             ;   in Loop: Header=BB4_6538 Depth=3
	v_bfe_u32 v160, v20, 16, 3
	v_bfe_u32 v163, v20, 19, 4
	s_delay_alu instid0(VALU_DEP_2) | instskip(NEXT) | instid1(VALU_DEP_2)
	v_clz_i32_u32_e32 v161, v160
	v_cmp_eq_u32_e32 vcc_lo, 0, v163
	s_delay_alu instid0(VALU_DEP_2) | instskip(NEXT) | instid1(VALU_DEP_1)
	v_min_u32_e32 v161, 32, v161
	v_subrev_nc_u32_e32 v162, 28, v161
	v_sub_nc_u32_e32 v161, 29, v161
	s_delay_alu instid0(VALU_DEP_1) | instskip(NEXT) | instid1(VALU_DEP_1)
	v_dual_cndmask_b32 v161, v163, v161 :: v_dual_lshlrev_b32 v162, v162, v151
	v_and_b32_e32 v162, 7, v162
	v_lshlrev_b32_e32 v151, 24, v151
	s_delay_alu instid0(VALU_DEP_3) | instskip(NEXT) | instid1(VALU_DEP_2)
	v_lshl_add_u32 v161, v161, 23, 0x3b800000
	v_dual_cndmask_b32 v160, v160, v162 :: v_dual_and_b32 v151, 0x80000000, v151
	s_delay_alu instid0(VALU_DEP_1) | instskip(NEXT) | instid1(VALU_DEP_1)
	v_lshlrev_b32_e32 v160, 20, v160
	v_or3_b32 v160, v151, v161, v160
.LBB4_6612:                             ;   in Loop: Header=BB4_6538 Depth=3
	s_or_b32 exec_lo, exec_lo, s17
	v_and_b32_e32 v161, 0xff, v150
	s_mov_b32 s13, 0
	s_mov_b32 s31, exec_lo
                                        ; implicit-def: $sgpr17
	s_delay_alu instid0(VALU_DEP_1)
	v_cmpx_lt_i16_e64 0x7f, v161
	s_xor_b32 s31, exec_lo, s31
	s_cbranch_execnz .LBB4_7508
; %bb.6613:                             ;   in Loop: Header=BB4_6538 Depth=3
	s_or_saveexec_b32 s31, s31
	v_mov_b32_e32 v151, s17
	s_xor_b32 exec_lo, exec_lo, s31
	s_cbranch_execnz .LBB4_7511
.LBB4_6614:                             ;   in Loop: Header=BB4_6538 Depth=3
	s_or_b32 exec_lo, exec_lo, s31
	s_and_saveexec_b32 s17, s13
	s_cbranch_execz .LBB4_6616
.LBB4_6615:                             ;   in Loop: Header=BB4_6538 Depth=3
	v_bfe_u32 v151, v16, 16, 3
	v_bfe_u32 v163, v16, 19, 4
	s_delay_alu instid0(VALU_DEP_2) | instskip(NEXT) | instid1(VALU_DEP_2)
	v_clz_i32_u32_e32 v161, v151
	v_cmp_eq_u32_e32 vcc_lo, 0, v163
	s_delay_alu instid0(VALU_DEP_2) | instskip(NEXT) | instid1(VALU_DEP_1)
	v_min_u32_e32 v161, 32, v161
	v_subrev_nc_u32_e32 v162, 28, v161
	v_sub_nc_u32_e32 v161, 29, v161
	s_delay_alu instid0(VALU_DEP_1) | instskip(SKIP_1) | instid1(VALU_DEP_2)
	v_dual_cndmask_b32 v161, v163, v161 :: v_dual_lshlrev_b32 v162, v162, v150
	v_lshlrev_b32_e32 v150, 24, v150
	v_and_b32_e32 v162, 7, v162
	s_delay_alu instid0(VALU_DEP_3) | instskip(NEXT) | instid1(VALU_DEP_3)
	v_lshl_add_u32 v161, v161, 23, 0x3b800000
	v_and_b32_e32 v150, 0x80000000, v150
	s_delay_alu instid0(VALU_DEP_3) | instskip(NEXT) | instid1(VALU_DEP_1)
	v_cndmask_b32_e32 v151, v151, v162, vcc_lo
	v_lshlrev_b32_e32 v151, 20, v151
	s_delay_alu instid0(VALU_DEP_1)
	v_or3_b32 v151, v150, v161, v151
.LBB4_6616:                             ;   in Loop: Header=BB4_6538 Depth=3
	s_or_b32 exec_lo, exec_lo, s17
	s_delay_alu instid0(VALU_DEP_1) | instskip(NEXT) | instid1(VALU_DEP_1)
	v_dual_max_f32 v150, v151, v151 :: v_dual_max_f32 v151, v160, v160
	v_min_f32_e32 v160, v151, v150
.LBB4_6617:                             ;   in Loop: Header=BB4_6538 Depth=3
	s_delay_alu instid0(VALU_DEP_1) | instskip(NEXT) | instid1(VALU_DEP_1)
	v_and_b32_e32 v150, 0x7f800000, v160
	v_cmp_ne_u32_e32 vcc_lo, 0x7f800000, v150
	v_mov_b32_e32 v150, 0x80
	s_and_saveexec_b32 s17, vcc_lo
	s_cbranch_execz .LBB4_6625
; %bb.6618:                             ;   in Loop: Header=BB4_6538 Depth=3
	v_mov_b32_e32 v150, 0
	s_mov_b32 s31, exec_lo
	v_cmpx_ne_u32_e32 0, v160
	s_cbranch_execz .LBB4_6624
; %bb.6619:                             ;   in Loop: Header=BB4_6538 Depth=3
	v_bfe_u32 v150, v160, 23, 8
	v_and_b32_e32 v151, 0x7fffff, v160
	s_delay_alu instid0(VALU_DEP_2) | instskip(SKIP_1) | instid1(VALU_DEP_3)
	v_sub_nc_u32_e32 v161, 0x78, v150
	v_cmp_gt_u32_e32 vcc_lo, 0x79, v150
	v_or_b32_e32 v162, 0x800000, v151
	s_delay_alu instid0(VALU_DEP_3) | instskip(SKIP_2) | instid1(VALU_DEP_3)
	v_cndmask_b32_e32 v161, 0, v161, vcc_lo
	v_cmp_eq_u32_e32 vcc_lo, 0, v150
	v_add_nc_u32_e32 v150, 0xffffff89, v150
	v_cndmask_b32_e64 v161, v161, 0x77, vcc_lo
	v_cndmask_b32_e32 v151, v162, v151, vcc_lo
	s_delay_alu instid0(VALU_DEP_3) | instskip(NEXT) | instid1(VALU_DEP_3)
	v_cndmask_b32_e64 v150, v150, 0xffffff8a, vcc_lo
	v_lshl_add_u32 v162, 0x100000, v161, -1
	s_delay_alu instid0(VALU_DEP_3) | instskip(SKIP_1) | instid1(VALU_DEP_4)
	v_lshrrev_b32_e32 v163, v161, v151
	v_lshlrev_b32_e64 v165, v161, 0x80000
	v_add_nc_u32_e32 v161, v161, v150
	s_delay_alu instid0(VALU_DEP_4) | instskip(NEXT) | instid1(VALU_DEP_4)
	v_and_b32_e32 v151, v162, v151
	v_bfe_u32 v164, v163, 20, 1
	s_delay_alu instid0(VALU_DEP_2) | instskip(NEXT) | instid1(VALU_DEP_2)
	v_cmp_eq_u32_e64 s13, v151, v165
	v_add_nc_u32_e32 v162, -1, v164
	s_delay_alu instid0(VALU_DEP_1) | instskip(SKIP_2) | instid1(VALU_DEP_2)
	v_cndmask_b32_e64 v151, 0, v162, s13
	v_lshrrev_b32_e32 v162, 23, v163
	s_mov_b32 s13, exec_lo
	v_add_nc_u32_e32 v151, v151, v163
	s_delay_alu instid0(VALU_DEP_2) | instskip(NEXT) | instid1(VALU_DEP_2)
	v_xor_b32_e32 v162, 1, v162
	v_and_b32_e32 v150, 0xfffff, v151
	s_delay_alu instid0(VALU_DEP_1) | instskip(NEXT) | instid1(VALU_DEP_3)
	v_add_nc_u32_e32 v151, v150, v163
                                        ; implicit-def: $vgpr150
	v_cmpx_ne_u32_e64 v161, v162
	s_xor_b32 s13, exec_lo, s13
; %bb.6620:                             ;   in Loop: Header=BB4_6538 Depth=3
	s_delay_alu instid0(VALU_DEP_2) | instskip(SKIP_2) | instid1(VALU_DEP_2)
	v_cmp_lt_u32_e32 vcc_lo, 0xffffff, v151
	v_sub_nc_u32_e32 v150, v161, v162
	v_cndmask_b32_e64 v161, 0, 1, vcc_lo
	v_add_co_ci_u32_e32 v150, vcc_lo, 0, v150, vcc_lo
	s_delay_alu instid0(VALU_DEP_2)
	v_lshrrev_b32_e32 v151, v161, v151
; %bb.6621:                             ;   in Loop: Header=BB4_6538 Depth=3
	s_and_not1_saveexec_b32 s13, s13
; %bb.6622:                             ;   in Loop: Header=BB4_6538 Depth=3
	s_delay_alu instid0(VALU_DEP_1)
	v_bfe_u32 v150, v151, 23, 1
; %bb.6623:                             ;   in Loop: Header=BB4_6538 Depth=3
	s_or_b32 exec_lo, exec_lo, s13
	v_lshrrev_b32_e32 v151, 20, v151
	s_delay_alu instid0(VALU_DEP_2) | instskip(SKIP_2) | instid1(VALU_DEP_2)
	v_cmp_gt_i32_e32 vcc_lo, 16, v150
	v_lshrrev_b32_e32 v160, 24, v160
	v_min_i32_e32 v161, 15, v150
	v_dual_cndmask_b32 v151, 7, v151 :: v_dual_and_b32 v160, 0x80, v160
	s_delay_alu instid0(VALU_DEP_1) | instskip(SKIP_1) | instid1(VALU_DEP_2)
	v_or_b32_e32 v150, v150, v151
	v_and_b32_e32 v162, 7, v151
	v_cmp_ne_u32_e32 vcc_lo, 0, v150
	v_lshlrev_b32_e32 v161, 3, v161
	s_delay_alu instid0(VALU_DEP_1) | instskip(NEXT) | instid1(VALU_DEP_1)
	v_or3_b32 v151, v161, v160, v162
	v_cndmask_b32_e32 v150, 0, v151, vcc_lo
.LBB4_6624:                             ;   in Loop: Header=BB4_6538 Depth=3
	s_or_b32 exec_lo, exec_lo, s31
.LBB4_6625:                             ;   in Loop: Header=BB4_6538 Depth=3
	s_delay_alu instid0(SALU_CYCLE_1)
	s_or_b32 exec_lo, exec_lo, s17
	v_lshrrev_b32_e32 v160, 24, v20
	v_lshrrev_b32_e32 v151, 24, v16
	s_and_b32 vcc_lo, exec_lo, s16
	s_cbranch_vccz .LBB4_6635
; %bb.6626:                             ;   in Loop: Header=BB4_6538 Depth=3
	s_mov_b32 s13, 0
	s_mov_b32 s31, exec_lo
                                        ; implicit-def: $sgpr17
	v_cmpx_lt_i16_e64 0x7f, v160
	s_xor_b32 s31, exec_lo, s31
	s_cbranch_execnz .LBB4_7512
; %bb.6627:                             ;   in Loop: Header=BB4_6538 Depth=3
	s_or_saveexec_b32 s31, s31
	v_mov_b32_e32 v161, s17
	s_xor_b32 exec_lo, exec_lo, s31
	s_cbranch_execnz .LBB4_7515
.LBB4_6628:                             ;   in Loop: Header=BB4_6538 Depth=3
	s_or_b32 exec_lo, exec_lo, s31
	s_and_saveexec_b32 s17, s13
	s_cbranch_execz .LBB4_6630
.LBB4_6629:                             ;   in Loop: Header=BB4_6538 Depth=3
	v_bfe_u32 v161, v20, 24, 3
	v_bfe_u32 v164, v20, 27, 4
	s_delay_alu instid0(VALU_DEP_2) | instskip(NEXT) | instid1(VALU_DEP_2)
	v_clz_i32_u32_e32 v162, v161
	v_cmp_eq_u32_e32 vcc_lo, 0, v164
	s_delay_alu instid0(VALU_DEP_2) | instskip(NEXT) | instid1(VALU_DEP_1)
	v_min_u32_e32 v162, 32, v162
	v_subrev_nc_u32_e32 v163, 28, v162
	v_sub_nc_u32_e32 v162, 29, v162
	s_delay_alu instid0(VALU_DEP_1) | instskip(NEXT) | instid1(VALU_DEP_1)
	v_dual_cndmask_b32 v162, v164, v162 :: v_dual_lshlrev_b32 v163, v163, v160
	v_and_b32_e32 v163, 7, v163
	s_delay_alu instid0(VALU_DEP_2) | instskip(NEXT) | instid1(VALU_DEP_2)
	v_lshl_add_u32 v162, v162, 23, 0x3b800000
	v_cndmask_b32_e32 v161, v161, v163, vcc_lo
	v_and_b32_e32 v163, 0x80000000, v20
	s_delay_alu instid0(VALU_DEP_2) | instskip(NEXT) | instid1(VALU_DEP_1)
	v_lshlrev_b32_e32 v161, 20, v161
	v_or3_b32 v161, v163, v162, v161
.LBB4_6630:                             ;   in Loop: Header=BB4_6538 Depth=3
	s_or_b32 exec_lo, exec_lo, s17
	s_mov_b32 s13, 0
	s_mov_b32 s31, exec_lo
                                        ; implicit-def: $sgpr17
	v_cmpx_lt_i16_e64 0x7f, v151
	s_xor_b32 s31, exec_lo, s31
	s_cbranch_execnz .LBB4_7516
; %bb.6631:                             ;   in Loop: Header=BB4_6538 Depth=3
	s_or_saveexec_b32 s31, s31
	v_mov_b32_e32 v162, s17
	s_xor_b32 exec_lo, exec_lo, s31
	s_cbranch_execnz .LBB4_7519
.LBB4_6632:                             ;   in Loop: Header=BB4_6538 Depth=3
	s_or_b32 exec_lo, exec_lo, s31
	s_and_saveexec_b32 s17, s13
	s_cbranch_execz .LBB4_6634
.LBB4_6633:                             ;   in Loop: Header=BB4_6538 Depth=3
	v_bfe_u32 v162, v16, 24, 3
	v_bfe_u32 v165, v16, 27, 4
	s_delay_alu instid0(VALU_DEP_2) | instskip(NEXT) | instid1(VALU_DEP_2)
	v_clz_i32_u32_e32 v163, v162
	v_cmp_eq_u32_e32 vcc_lo, 0, v165
	s_delay_alu instid0(VALU_DEP_2) | instskip(NEXT) | instid1(VALU_DEP_1)
	v_min_u32_e32 v163, 32, v163
	v_subrev_nc_u32_e32 v164, 28, v163
	v_sub_nc_u32_e32 v163, 29, v163
	s_delay_alu instid0(VALU_DEP_2) | instskip(NEXT) | instid1(VALU_DEP_1)
	v_lshlrev_b32_e32 v164, v164, v151
	v_dual_cndmask_b32 v163, v165, v163 :: v_dual_and_b32 v164, 7, v164
	s_delay_alu instid0(VALU_DEP_1) | instskip(NEXT) | instid1(VALU_DEP_2)
	v_lshl_add_u32 v163, v163, 23, 0x3b800000
	v_cndmask_b32_e32 v162, v162, v164, vcc_lo
	v_and_b32_e32 v164, 0x80000000, v16
	s_delay_alu instid0(VALU_DEP_2) | instskip(NEXT) | instid1(VALU_DEP_1)
	v_lshlrev_b32_e32 v162, 20, v162
	v_or3_b32 v162, v164, v163, v162
.LBB4_6634:                             ;   in Loop: Header=BB4_6538 Depth=3
	s_or_b32 exec_lo, exec_lo, s17
	s_delay_alu instid0(VALU_DEP_1) | instskip(SKIP_1) | instid1(VALU_DEP_1)
	v_dual_max_f32 v162, v162, v162 :: v_dual_max_f32 v161, v161, v161
	s_mov_b32 s13, 0
	v_max_f32_e32 v161, v161, v162
	s_branch .LBB4_6636
.LBB4_6635:                             ;   in Loop: Header=BB4_6538 Depth=3
	s_mov_b32 s13, -1
                                        ; implicit-def: $vgpr161
.LBB4_6636:                             ;   in Loop: Header=BB4_6538 Depth=3
	s_delay_alu instid0(SALU_CYCLE_1)
	s_and_b32 vcc_lo, exec_lo, s13
	s_cbranch_vccz .LBB4_6646
; %bb.6637:                             ;   in Loop: Header=BB4_6538 Depth=3
	s_mov_b32 s13, 0
	s_mov_b32 s31, exec_lo
                                        ; implicit-def: $sgpr17
	v_cmpx_lt_i16_e64 0x7f, v160
	s_xor_b32 s31, exec_lo, s31
	s_cbranch_execnz .LBB4_7520
; %bb.6638:                             ;   in Loop: Header=BB4_6538 Depth=3
	s_or_saveexec_b32 s31, s31
	v_mov_b32_e32 v161, s17
	s_xor_b32 exec_lo, exec_lo, s31
	s_cbranch_execnz .LBB4_7523
.LBB4_6639:                             ;   in Loop: Header=BB4_6538 Depth=3
	s_or_b32 exec_lo, exec_lo, s31
	s_and_saveexec_b32 s17, s13
	s_cbranch_execz .LBB4_6641
.LBB4_6640:                             ;   in Loop: Header=BB4_6538 Depth=3
	v_bfe_u32 v161, v20, 24, 3
	s_delay_alu instid0(VALU_DEP_1) | instskip(NEXT) | instid1(VALU_DEP_1)
	v_clz_i32_u32_e32 v162, v161
	v_min_u32_e32 v162, 32, v162
	s_delay_alu instid0(VALU_DEP_1) | instskip(SKIP_1) | instid1(VALU_DEP_2)
	v_subrev_nc_u32_e32 v163, 28, v162
	v_sub_nc_u32_e32 v162, 29, v162
	v_lshlrev_b32_e32 v160, v163, v160
	v_bfe_u32 v163, v20, 27, 4
	v_and_b32_e32 v20, 0x80000000, v20
	s_delay_alu instid0(VALU_DEP_3) | instskip(NEXT) | instid1(VALU_DEP_3)
	v_and_b32_e32 v160, 7, v160
	v_cmp_eq_u32_e32 vcc_lo, 0, v163
	v_cndmask_b32_e32 v162, v163, v162, vcc_lo
	s_delay_alu instid0(VALU_DEP_3) | instskip(NEXT) | instid1(VALU_DEP_2)
	v_cndmask_b32_e32 v160, v161, v160, vcc_lo
	v_lshl_add_u32 v161, v162, 23, 0x3b800000
	s_delay_alu instid0(VALU_DEP_2) | instskip(NEXT) | instid1(VALU_DEP_1)
	v_lshlrev_b32_e32 v160, 20, v160
	v_or3_b32 v161, v20, v161, v160
.LBB4_6641:                             ;   in Loop: Header=BB4_6538 Depth=3
	s_or_b32 exec_lo, exec_lo, s17
	s_mov_b32 s13, 0
	s_mov_b32 s31, exec_lo
                                        ; implicit-def: $sgpr17
	v_cmpx_lt_i16_e64 0x7f, v151
	s_xor_b32 s31, exec_lo, s31
	s_cbranch_execnz .LBB4_7524
; %bb.6642:                             ;   in Loop: Header=BB4_6538 Depth=3
	s_or_saveexec_b32 s31, s31
	v_mov_b32_e32 v20, s17
	s_xor_b32 exec_lo, exec_lo, s31
	s_cbranch_execnz .LBB4_7527
.LBB4_6643:                             ;   in Loop: Header=BB4_6538 Depth=3
	s_or_b32 exec_lo, exec_lo, s31
	s_and_saveexec_b32 s17, s13
	s_cbranch_execz .LBB4_6645
.LBB4_6644:                             ;   in Loop: Header=BB4_6538 Depth=3
	v_bfe_u32 v20, v16, 24, 3
	s_delay_alu instid0(VALU_DEP_1) | instskip(NEXT) | instid1(VALU_DEP_1)
	v_clz_i32_u32_e32 v160, v20
	v_min_u32_e32 v160, 32, v160
	s_delay_alu instid0(VALU_DEP_1) | instskip(SKIP_1) | instid1(VALU_DEP_2)
	v_subrev_nc_u32_e32 v162, 28, v160
	v_sub_nc_u32_e32 v160, 29, v160
	v_lshlrev_b32_e32 v151, v162, v151
	v_bfe_u32 v162, v16, 27, 4
	v_and_b32_e32 v16, 0x80000000, v16
	s_delay_alu instid0(VALU_DEP_2) | instskip(NEXT) | instid1(VALU_DEP_4)
	v_cmp_eq_u32_e32 vcc_lo, 0, v162
	v_dual_cndmask_b32 v160, v162, v160 :: v_dual_and_b32 v151, 7, v151
	s_delay_alu instid0(VALU_DEP_1) | instskip(NEXT) | instid1(VALU_DEP_2)
	v_cndmask_b32_e32 v20, v20, v151, vcc_lo
	v_lshl_add_u32 v151, v160, 23, 0x3b800000
	s_delay_alu instid0(VALU_DEP_2) | instskip(NEXT) | instid1(VALU_DEP_1)
	v_lshlrev_b32_e32 v20, 20, v20
	v_or3_b32 v20, v16, v151, v20
.LBB4_6645:                             ;   in Loop: Header=BB4_6538 Depth=3
	s_or_b32 exec_lo, exec_lo, s17
	s_delay_alu instid0(VALU_DEP_1) | instskip(SKIP_1) | instid1(VALU_DEP_1)
	v_max_f32_e32 v16, v20, v20
	v_max_f32_e32 v20, v161, v161
	v_min_f32_e32 v161, v20, v16
.LBB4_6646:                             ;   in Loop: Header=BB4_6538 Depth=3
	s_delay_alu instid0(VALU_DEP_1) | instskip(NEXT) | instid1(VALU_DEP_1)
	v_and_b32_e32 v16, 0x7f800000, v161
	v_cmp_ne_u32_e32 vcc_lo, 0x7f800000, v16
	v_mov_b32_e32 v16, 0x80
	s_and_saveexec_b32 s17, vcc_lo
	s_cbranch_execz .LBB4_6654
; %bb.6647:                             ;   in Loop: Header=BB4_6538 Depth=3
	v_mov_b32_e32 v16, 0
	s_mov_b32 s31, exec_lo
	v_cmpx_ne_u32_e32 0, v161
	s_cbranch_execz .LBB4_6653
; %bb.6648:                             ;   in Loop: Header=BB4_6538 Depth=3
	v_bfe_u32 v16, v161, 23, 8
	s_delay_alu instid0(VALU_DEP_1) | instskip(SKIP_1) | instid1(VALU_DEP_2)
	v_sub_nc_u32_e32 v151, 0x78, v16
	v_cmp_gt_u32_e32 vcc_lo, 0x79, v16
	v_dual_cndmask_b32 v151, 0, v151 :: v_dual_and_b32 v20, 0x7fffff, v161
	s_delay_alu instid0(VALU_DEP_1) | instskip(SKIP_2) | instid1(VALU_DEP_4)
	v_or_b32_e32 v160, 0x800000, v20
	v_cmp_eq_u32_e32 vcc_lo, 0, v16
	v_add_nc_u32_e32 v16, 0xffffff89, v16
	v_cndmask_b32_e64 v151, v151, 0x77, vcc_lo
	s_delay_alu instid0(VALU_DEP_4) | instskip(NEXT) | instid1(VALU_DEP_3)
	v_cndmask_b32_e32 v20, v160, v20, vcc_lo
	v_cndmask_b32_e64 v16, v16, 0xffffff8a, vcc_lo
	s_delay_alu instid0(VALU_DEP_3) | instskip(NEXT) | instid1(VALU_DEP_3)
	v_lshl_add_u32 v160, 0x100000, v151, -1
	v_lshrrev_b32_e32 v162, v151, v20
	v_lshlrev_b32_e64 v164, v151, 0x80000
	s_delay_alu instid0(VALU_DEP_4) | instskip(NEXT) | instid1(VALU_DEP_4)
	v_add_nc_u32_e32 v151, v151, v16
	v_and_b32_e32 v20, v160, v20
	s_delay_alu instid0(VALU_DEP_4) | instskip(NEXT) | instid1(VALU_DEP_2)
	v_bfe_u32 v163, v162, 20, 1
	v_cmp_eq_u32_e64 s13, v20, v164
	s_delay_alu instid0(VALU_DEP_2) | instskip(NEXT) | instid1(VALU_DEP_1)
	v_add_nc_u32_e32 v160, -1, v163
	v_cndmask_b32_e64 v20, 0, v160, s13
	v_lshrrev_b32_e32 v160, 23, v162
	s_mov_b32 s13, exec_lo
	s_delay_alu instid0(VALU_DEP_2) | instskip(NEXT) | instid1(VALU_DEP_2)
	v_add_nc_u32_e32 v20, v20, v162
	v_xor_b32_e32 v160, 1, v160
	s_delay_alu instid0(VALU_DEP_2) | instskip(NEXT) | instid1(VALU_DEP_1)
	v_and_b32_e32 v16, 0xfffff, v20
	v_add_nc_u32_e32 v20, v16, v162
                                        ; implicit-def: $vgpr16
	s_delay_alu instid0(VALU_DEP_3)
	v_cmpx_ne_u32_e64 v151, v160
	s_xor_b32 s13, exec_lo, s13
; %bb.6649:                             ;   in Loop: Header=BB4_6538 Depth=3
	s_delay_alu instid0(VALU_DEP_2) | instskip(SKIP_2) | instid1(VALU_DEP_2)
	v_cmp_lt_u32_e32 vcc_lo, 0xffffff, v20
	v_sub_nc_u32_e32 v16, v151, v160
	v_cndmask_b32_e64 v151, 0, 1, vcc_lo
	v_add_co_ci_u32_e32 v16, vcc_lo, 0, v16, vcc_lo
	s_delay_alu instid0(VALU_DEP_2)
	v_lshrrev_b32_e32 v20, v151, v20
; %bb.6650:                             ;   in Loop: Header=BB4_6538 Depth=3
	s_and_not1_saveexec_b32 s13, s13
; %bb.6651:                             ;   in Loop: Header=BB4_6538 Depth=3
	s_delay_alu instid0(VALU_DEP_1)
	v_bfe_u32 v16, v20, 23, 1
; %bb.6652:                             ;   in Loop: Header=BB4_6538 Depth=3
	s_or_b32 exec_lo, exec_lo, s13
	v_lshrrev_b32_e32 v20, 20, v20
	s_delay_alu instid0(VALU_DEP_2) | instskip(SKIP_2) | instid1(VALU_DEP_2)
	v_cmp_gt_i32_e32 vcc_lo, 16, v16
	v_lshrrev_b32_e32 v151, 24, v161
	v_min_i32_e32 v160, 15, v16
	v_dual_cndmask_b32 v20, 7, v20 :: v_dual_and_b32 v151, 0x80, v151
	s_delay_alu instid0(VALU_DEP_2) | instskip(NEXT) | instid1(VALU_DEP_2)
	v_lshlrev_b32_e32 v160, 3, v160
	v_and_b32_e32 v161, 7, v20
	v_or_b32_e32 v16, v16, v20
	s_delay_alu instid0(VALU_DEP_2) | instskip(NEXT) | instid1(VALU_DEP_2)
	v_or3_b32 v20, v160, v151, v161
	v_cmp_ne_u32_e32 vcc_lo, 0, v16
	s_delay_alu instid0(VALU_DEP_2)
	v_cndmask_b32_e32 v16, 0, v20, vcc_lo
.LBB4_6653:                             ;   in Loop: Header=BB4_6538 Depth=3
	s_or_b32 exec_lo, exec_lo, s31
.LBB4_6654:                             ;   in Loop: Header=BB4_6538 Depth=3
	s_delay_alu instid0(SALU_CYCLE_1) | instskip(NEXT) | instid1(SALU_CYCLE_1)
	s_or_b32 exec_lo, exec_lo, s17
	s_and_b32 vcc_lo, exec_lo, s16
	s_cbranch_vccz .LBB4_6664
; %bb.6655:                             ;   in Loop: Header=BB4_6538 Depth=3
	v_and_b32_e32 v151, 0xff, v21
	s_mov_b32 s13, 0
	s_mov_b32 s31, exec_lo
                                        ; implicit-def: $sgpr17
	s_delay_alu instid0(VALU_DEP_1)
	v_cmpx_lt_i16_e64 0x7f, v151
	s_xor_b32 s31, exec_lo, s31
	s_cbranch_execnz .LBB4_7528
; %bb.6656:                             ;   in Loop: Header=BB4_6538 Depth=3
	s_or_saveexec_b32 s31, s31
	v_mov_b32_e32 v20, s17
	s_xor_b32 exec_lo, exec_lo, s31
	s_cbranch_execnz .LBB4_7531
.LBB4_6657:                             ;   in Loop: Header=BB4_6538 Depth=3
	s_or_b32 exec_lo, exec_lo, s31
	s_and_saveexec_b32 s17, s13
	s_cbranch_execz .LBB4_6659
.LBB4_6658:                             ;   in Loop: Header=BB4_6538 Depth=3
	v_bfe_u32 v161, v21, 3, 4
	v_lshlrev_b32_e32 v162, 24, v21
	s_delay_alu instid0(VALU_DEP_2) | instskip(SKIP_1) | instid1(VALU_DEP_1)
	v_cmp_eq_u32_e32 vcc_lo, 0, v161
	v_and_b32_e32 v20, 7, v21
	v_clz_i32_u32_e32 v151, v20
	s_delay_alu instid0(VALU_DEP_1) | instskip(NEXT) | instid1(VALU_DEP_1)
	v_min_u32_e32 v151, 32, v151
	v_subrev_nc_u32_e32 v160, 28, v151
	v_sub_nc_u32_e32 v151, 29, v151
	s_delay_alu instid0(VALU_DEP_1) | instskip(NEXT) | instid1(VALU_DEP_1)
	v_dual_cndmask_b32 v151, v161, v151 :: v_dual_lshlrev_b32 v160, v160, v21
	v_and_b32_e32 v160, 7, v160
	s_delay_alu instid0(VALU_DEP_2) | instskip(NEXT) | instid1(VALU_DEP_2)
	v_lshl_add_u32 v151, v151, 23, 0x3b800000
	v_cndmask_b32_e32 v20, v20, v160, vcc_lo
	v_and_b32_e32 v160, 0x80000000, v162
	s_delay_alu instid0(VALU_DEP_2) | instskip(NEXT) | instid1(VALU_DEP_1)
	v_lshlrev_b32_e32 v20, 20, v20
	v_or3_b32 v20, v160, v151, v20
.LBB4_6659:                             ;   in Loop: Header=BB4_6538 Depth=3
	s_or_b32 exec_lo, exec_lo, s17
	v_and_b32_e32 v160, 0xff, v17
	s_mov_b32 s13, 0
	s_mov_b32 s31, exec_lo
                                        ; implicit-def: $sgpr17
	s_delay_alu instid0(VALU_DEP_1)
	v_cmpx_lt_i16_e64 0x7f, v160
	s_xor_b32 s31, exec_lo, s31
	s_cbranch_execnz .LBB4_7532
; %bb.6660:                             ;   in Loop: Header=BB4_6538 Depth=3
	s_or_saveexec_b32 s31, s31
	v_mov_b32_e32 v151, s17
	s_xor_b32 exec_lo, exec_lo, s31
	s_cbranch_execnz .LBB4_7535
.LBB4_6661:                             ;   in Loop: Header=BB4_6538 Depth=3
	s_or_b32 exec_lo, exec_lo, s31
	s_and_saveexec_b32 s17, s13
	s_cbranch_execz .LBB4_6663
.LBB4_6662:                             ;   in Loop: Header=BB4_6538 Depth=3
	v_bfe_u32 v162, v17, 3, 4
	v_lshlrev_b32_e32 v163, 24, v17
	s_delay_alu instid0(VALU_DEP_2) | instskip(SKIP_1) | instid1(VALU_DEP_1)
	v_cmp_eq_u32_e32 vcc_lo, 0, v162
	v_and_b32_e32 v151, 7, v17
	v_clz_i32_u32_e32 v160, v151
	s_delay_alu instid0(VALU_DEP_1) | instskip(NEXT) | instid1(VALU_DEP_1)
	v_min_u32_e32 v160, 32, v160
	v_subrev_nc_u32_e32 v161, 28, v160
	v_sub_nc_u32_e32 v160, 29, v160
	s_delay_alu instid0(VALU_DEP_1) | instskip(NEXT) | instid1(VALU_DEP_1)
	v_dual_cndmask_b32 v160, v162, v160 :: v_dual_lshlrev_b32 v161, v161, v17
	v_and_b32_e32 v161, 7, v161
	s_delay_alu instid0(VALU_DEP_2) | instskip(NEXT) | instid1(VALU_DEP_2)
	v_lshl_add_u32 v160, v160, 23, 0x3b800000
	v_cndmask_b32_e32 v151, v151, v161, vcc_lo
	v_and_b32_e32 v161, 0x80000000, v163
	s_delay_alu instid0(VALU_DEP_2) | instskip(NEXT) | instid1(VALU_DEP_1)
	v_lshlrev_b32_e32 v151, 20, v151
	v_or3_b32 v151, v161, v160, v151
.LBB4_6663:                             ;   in Loop: Header=BB4_6538 Depth=3
	s_or_b32 exec_lo, exec_lo, s17
	s_delay_alu instid0(VALU_DEP_1) | instskip(SKIP_1) | instid1(VALU_DEP_1)
	v_dual_max_f32 v151, v151, v151 :: v_dual_max_f32 v20, v20, v20
	s_mov_b32 s13, 0
	v_max_f32_e32 v151, v20, v151
	s_branch .LBB4_6665
.LBB4_6664:                             ;   in Loop: Header=BB4_6538 Depth=3
	s_mov_b32 s13, -1
                                        ; implicit-def: $vgpr151
.LBB4_6665:                             ;   in Loop: Header=BB4_6538 Depth=3
	s_delay_alu instid0(SALU_CYCLE_1)
	s_and_b32 vcc_lo, exec_lo, s13
	s_cbranch_vccz .LBB4_6675
; %bb.6666:                             ;   in Loop: Header=BB4_6538 Depth=3
	v_and_b32_e32 v151, 0xff, v21
	s_mov_b32 s13, 0
	s_mov_b32 s31, exec_lo
                                        ; implicit-def: $sgpr17
	s_delay_alu instid0(VALU_DEP_1)
	v_cmpx_lt_i16_e64 0x7f, v151
	s_xor_b32 s31, exec_lo, s31
	s_cbranch_execnz .LBB4_7536
; %bb.6667:                             ;   in Loop: Header=BB4_6538 Depth=3
	s_or_saveexec_b32 s31, s31
	v_mov_b32_e32 v20, s17
	s_xor_b32 exec_lo, exec_lo, s31
	s_cbranch_execnz .LBB4_7539
.LBB4_6668:                             ;   in Loop: Header=BB4_6538 Depth=3
	s_or_b32 exec_lo, exec_lo, s31
	s_and_saveexec_b32 s17, s13
	s_cbranch_execz .LBB4_6670
.LBB4_6669:                             ;   in Loop: Header=BB4_6538 Depth=3
	v_bfe_u32 v161, v21, 3, 4
	v_lshlrev_b32_e32 v162, 24, v21
	s_delay_alu instid0(VALU_DEP_2) | instskip(SKIP_1) | instid1(VALU_DEP_1)
	v_cmp_eq_u32_e32 vcc_lo, 0, v161
	v_and_b32_e32 v20, 7, v21
	v_clz_i32_u32_e32 v151, v20
	s_delay_alu instid0(VALU_DEP_1) | instskip(NEXT) | instid1(VALU_DEP_1)
	v_min_u32_e32 v151, 32, v151
	v_subrev_nc_u32_e32 v160, 28, v151
	v_sub_nc_u32_e32 v151, 29, v151
	s_delay_alu instid0(VALU_DEP_1) | instskip(NEXT) | instid1(VALU_DEP_1)
	v_dual_cndmask_b32 v151, v161, v151 :: v_dual_lshlrev_b32 v160, v160, v21
	v_and_b32_e32 v160, 7, v160
	s_delay_alu instid0(VALU_DEP_2) | instskip(NEXT) | instid1(VALU_DEP_2)
	v_lshl_add_u32 v151, v151, 23, 0x3b800000
	v_cndmask_b32_e32 v20, v20, v160, vcc_lo
	v_and_b32_e32 v160, 0x80000000, v162
	s_delay_alu instid0(VALU_DEP_2) | instskip(NEXT) | instid1(VALU_DEP_1)
	v_lshlrev_b32_e32 v20, 20, v20
	v_or3_b32 v20, v160, v151, v20
.LBB4_6670:                             ;   in Loop: Header=BB4_6538 Depth=3
	s_or_b32 exec_lo, exec_lo, s17
	v_and_b32_e32 v160, 0xff, v17
	s_mov_b32 s13, 0
	s_mov_b32 s31, exec_lo
                                        ; implicit-def: $sgpr17
	s_delay_alu instid0(VALU_DEP_1)
	v_cmpx_lt_i16_e64 0x7f, v160
	s_xor_b32 s31, exec_lo, s31
	s_cbranch_execnz .LBB4_7540
; %bb.6671:                             ;   in Loop: Header=BB4_6538 Depth=3
	s_or_saveexec_b32 s31, s31
	v_mov_b32_e32 v151, s17
	s_xor_b32 exec_lo, exec_lo, s31
	s_cbranch_execnz .LBB4_7543
.LBB4_6672:                             ;   in Loop: Header=BB4_6538 Depth=3
	s_or_b32 exec_lo, exec_lo, s31
	s_and_saveexec_b32 s17, s13
	s_cbranch_execz .LBB4_6674
.LBB4_6673:                             ;   in Loop: Header=BB4_6538 Depth=3
	v_bfe_u32 v162, v17, 3, 4
	v_lshlrev_b32_e32 v163, 24, v17
	s_delay_alu instid0(VALU_DEP_2) | instskip(SKIP_1) | instid1(VALU_DEP_1)
	v_cmp_eq_u32_e32 vcc_lo, 0, v162
	v_and_b32_e32 v151, 7, v17
	v_clz_i32_u32_e32 v160, v151
	s_delay_alu instid0(VALU_DEP_1) | instskip(NEXT) | instid1(VALU_DEP_1)
	v_min_u32_e32 v160, 32, v160
	v_subrev_nc_u32_e32 v161, 28, v160
	v_sub_nc_u32_e32 v160, 29, v160
	s_delay_alu instid0(VALU_DEP_1) | instskip(NEXT) | instid1(VALU_DEP_1)
	v_dual_cndmask_b32 v160, v162, v160 :: v_dual_lshlrev_b32 v161, v161, v17
	v_and_b32_e32 v161, 7, v161
	s_delay_alu instid0(VALU_DEP_2) | instskip(NEXT) | instid1(VALU_DEP_2)
	v_lshl_add_u32 v160, v160, 23, 0x3b800000
	v_cndmask_b32_e32 v151, v151, v161, vcc_lo
	v_and_b32_e32 v161, 0x80000000, v163
	s_delay_alu instid0(VALU_DEP_2) | instskip(NEXT) | instid1(VALU_DEP_1)
	v_lshlrev_b32_e32 v151, 20, v151
	v_or3_b32 v151, v161, v160, v151
.LBB4_6674:                             ;   in Loop: Header=BB4_6538 Depth=3
	s_or_b32 exec_lo, exec_lo, s17
	s_delay_alu instid0(VALU_DEP_1) | instskip(NEXT) | instid1(VALU_DEP_1)
	v_dual_max_f32 v151, v151, v151 :: v_dual_max_f32 v20, v20, v20
	v_min_f32_e32 v151, v20, v151
.LBB4_6675:                             ;   in Loop: Header=BB4_6538 Depth=3
	s_delay_alu instid0(VALU_DEP_1) | instskip(NEXT) | instid1(VALU_DEP_1)
	v_and_b32_e32 v20, 0x7f800000, v151
	v_cmp_ne_u32_e32 vcc_lo, 0x7f800000, v20
	v_mov_b32_e32 v20, 0x80
	s_and_saveexec_b32 s17, vcc_lo
	s_cbranch_execz .LBB4_6683
; %bb.6676:                             ;   in Loop: Header=BB4_6538 Depth=3
	v_mov_b32_e32 v20, 0
	s_mov_b32 s31, exec_lo
	v_cmpx_ne_u32_e32 0, v151
	s_cbranch_execz .LBB4_6682
; %bb.6677:                             ;   in Loop: Header=BB4_6538 Depth=3
	v_bfe_u32 v20, v151, 23, 8
	s_delay_alu instid0(VALU_DEP_1) | instskip(SKIP_1) | instid1(VALU_DEP_2)
	v_sub_nc_u32_e32 v161, 0x78, v20
	v_cmp_gt_u32_e32 vcc_lo, 0x79, v20
	v_dual_cndmask_b32 v161, 0, v161 :: v_dual_and_b32 v160, 0x7fffff, v151
	s_delay_alu instid0(VALU_DEP_1) | instskip(SKIP_2) | instid1(VALU_DEP_4)
	v_or_b32_e32 v162, 0x800000, v160
	v_cmp_eq_u32_e32 vcc_lo, 0, v20
	v_add_nc_u32_e32 v20, 0xffffff89, v20
	v_cndmask_b32_e64 v161, v161, 0x77, vcc_lo
	s_delay_alu instid0(VALU_DEP_4) | instskip(NEXT) | instid1(VALU_DEP_3)
	v_cndmask_b32_e32 v160, v162, v160, vcc_lo
	v_cndmask_b32_e64 v20, v20, 0xffffff8a, vcc_lo
	s_delay_alu instid0(VALU_DEP_3) | instskip(NEXT) | instid1(VALU_DEP_3)
	v_lshl_add_u32 v162, 0x100000, v161, -1
	v_lshrrev_b32_e32 v163, v161, v160
	v_lshlrev_b32_e64 v165, v161, 0x80000
	s_delay_alu instid0(VALU_DEP_4) | instskip(NEXT) | instid1(VALU_DEP_4)
	v_add_nc_u32_e32 v161, v161, v20
	v_and_b32_e32 v160, v162, v160
	s_delay_alu instid0(VALU_DEP_4) | instskip(NEXT) | instid1(VALU_DEP_2)
	v_bfe_u32 v164, v163, 20, 1
	v_cmp_eq_u32_e64 s13, v160, v165
	s_delay_alu instid0(VALU_DEP_2) | instskip(NEXT) | instid1(VALU_DEP_1)
	v_add_nc_u32_e32 v162, -1, v164
	v_cndmask_b32_e64 v160, 0, v162, s13
	v_lshrrev_b32_e32 v162, 23, v163
	s_mov_b32 s13, exec_lo
	s_delay_alu instid0(VALU_DEP_2) | instskip(NEXT) | instid1(VALU_DEP_2)
	v_add_nc_u32_e32 v160, v160, v163
	v_xor_b32_e32 v162, 1, v162
	s_delay_alu instid0(VALU_DEP_2) | instskip(NEXT) | instid1(VALU_DEP_1)
	v_and_b32_e32 v20, 0xfffff, v160
	v_add_nc_u32_e32 v160, v20, v163
                                        ; implicit-def: $vgpr20
	s_delay_alu instid0(VALU_DEP_3)
	v_cmpx_ne_u32_e64 v161, v162
	s_xor_b32 s13, exec_lo, s13
; %bb.6678:                             ;   in Loop: Header=BB4_6538 Depth=3
	s_delay_alu instid0(VALU_DEP_2) | instskip(SKIP_2) | instid1(VALU_DEP_2)
	v_cmp_lt_u32_e32 vcc_lo, 0xffffff, v160
	v_sub_nc_u32_e32 v20, v161, v162
	v_cndmask_b32_e64 v161, 0, 1, vcc_lo
	v_add_co_ci_u32_e32 v20, vcc_lo, 0, v20, vcc_lo
	s_delay_alu instid0(VALU_DEP_2)
	v_lshrrev_b32_e32 v160, v161, v160
; %bb.6679:                             ;   in Loop: Header=BB4_6538 Depth=3
	s_and_not1_saveexec_b32 s13, s13
; %bb.6680:                             ;   in Loop: Header=BB4_6538 Depth=3
	s_delay_alu instid0(VALU_DEP_1)
	v_bfe_u32 v20, v160, 23, 1
; %bb.6681:                             ;   in Loop: Header=BB4_6538 Depth=3
	s_or_b32 exec_lo, exec_lo, s13
	v_lshrrev_b32_e32 v160, 20, v160
	s_delay_alu instid0(VALU_DEP_2) | instskip(SKIP_2) | instid1(VALU_DEP_2)
	v_cmp_gt_i32_e32 vcc_lo, 16, v20
	v_lshrrev_b32_e32 v151, 24, v151
	v_min_i32_e32 v161, 15, v20
	v_dual_cndmask_b32 v160, 7, v160 :: v_dual_and_b32 v151, 0x80, v151
	s_delay_alu instid0(VALU_DEP_1) | instskip(SKIP_1) | instid1(VALU_DEP_2)
	v_or_b32_e32 v20, v20, v160
	v_and_b32_e32 v162, 7, v160
	v_cmp_ne_u32_e32 vcc_lo, 0, v20
	v_lshlrev_b32_e32 v161, 3, v161
	s_delay_alu instid0(VALU_DEP_1) | instskip(NEXT) | instid1(VALU_DEP_1)
	v_or3_b32 v151, v161, v151, v162
	v_cndmask_b32_e32 v20, 0, v151, vcc_lo
.LBB4_6682:                             ;   in Loop: Header=BB4_6538 Depth=3
	s_or_b32 exec_lo, exec_lo, s31
.LBB4_6683:                             ;   in Loop: Header=BB4_6538 Depth=3
	s_delay_alu instid0(SALU_CYCLE_1)
	s_or_b32 exec_lo, exec_lo, s17
	v_lshrrev_b16 v160, 8, v21
	v_lshrrev_b16 v151, 8, v17
	s_and_b32 vcc_lo, exec_lo, s16
	s_cbranch_vccz .LBB4_6693
; %bb.6684:                             ;   in Loop: Header=BB4_6538 Depth=3
	s_mov_b32 s13, 0
	s_mov_b32 s31, exec_lo
                                        ; implicit-def: $sgpr17
	v_cmpx_lt_i16_e64 0x7f, v160
	s_xor_b32 s31, exec_lo, s31
	s_cbranch_execnz .LBB4_7544
; %bb.6685:                             ;   in Loop: Header=BB4_6538 Depth=3
	s_or_saveexec_b32 s31, s31
	v_mov_b32_e32 v161, s17
	s_xor_b32 exec_lo, exec_lo, s31
	s_cbranch_execnz .LBB4_7547
.LBB4_6686:                             ;   in Loop: Header=BB4_6538 Depth=3
	s_or_b32 exec_lo, exec_lo, s31
	s_and_saveexec_b32 s17, s13
	s_cbranch_execz .LBB4_6688
.LBB4_6687:                             ;   in Loop: Header=BB4_6538 Depth=3
	v_and_b32_e32 v161, 0xffff, v160
	s_delay_alu instid0(VALU_DEP_1) | instskip(NEXT) | instid1(VALU_DEP_1)
	v_and_b32_e32 v162, 7, v161
	v_clz_i32_u32_e32 v163, v162
	s_delay_alu instid0(VALU_DEP_1) | instskip(NEXT) | instid1(VALU_DEP_1)
	v_min_u32_e32 v163, 32, v163
	v_subrev_nc_u32_e32 v164, 28, v163
	v_sub_nc_u32_e32 v163, 29, v163
	s_delay_alu instid0(VALU_DEP_2) | instskip(SKIP_1) | instid1(VALU_DEP_2)
	v_lshlrev_b32_e32 v164, v164, v161
	v_bfe_u32 v161, v161, 3, 4
	v_and_b32_e32 v164, 7, v164
	s_delay_alu instid0(VALU_DEP_2) | instskip(SKIP_1) | instid1(VALU_DEP_3)
	v_cmp_eq_u32_e32 vcc_lo, 0, v161
	v_cndmask_b32_e32 v161, v161, v163, vcc_lo
	v_dual_cndmask_b32 v162, v162, v164 :: v_dual_lshlrev_b32 v165, 16, v21
	s_delay_alu instid0(VALU_DEP_2) | instskip(NEXT) | instid1(VALU_DEP_2)
	v_lshl_add_u32 v161, v161, 23, 0x3b800000
	v_and_b32_e32 v163, 0x80000000, v165
	s_delay_alu instid0(VALU_DEP_3) | instskip(NEXT) | instid1(VALU_DEP_1)
	v_lshlrev_b32_e32 v162, 20, v162
	v_or3_b32 v161, v163, v161, v162
.LBB4_6688:                             ;   in Loop: Header=BB4_6538 Depth=3
	s_or_b32 exec_lo, exec_lo, s17
	s_mov_b32 s13, 0
	s_mov_b32 s31, exec_lo
                                        ; implicit-def: $sgpr17
	v_cmpx_lt_i16_e64 0x7f, v151
	s_xor_b32 s31, exec_lo, s31
	s_cbranch_execnz .LBB4_7548
; %bb.6689:                             ;   in Loop: Header=BB4_6538 Depth=3
	s_or_saveexec_b32 s31, s31
	v_mov_b32_e32 v162, s17
	s_xor_b32 exec_lo, exec_lo, s31
	s_cbranch_execnz .LBB4_7551
.LBB4_6690:                             ;   in Loop: Header=BB4_6538 Depth=3
	s_or_b32 exec_lo, exec_lo, s31
	s_and_saveexec_b32 s17, s13
	s_cbranch_execz .LBB4_6692
.LBB4_6691:                             ;   in Loop: Header=BB4_6538 Depth=3
	v_and_b32_e32 v162, 0xffff, v151
	v_lshlrev_b32_e32 v166, 16, v17
	s_delay_alu instid0(VALU_DEP_2) | instskip(NEXT) | instid1(VALU_DEP_1)
	v_and_b32_e32 v163, 7, v162
	v_clz_i32_u32_e32 v164, v163
	s_delay_alu instid0(VALU_DEP_1) | instskip(NEXT) | instid1(VALU_DEP_1)
	v_min_u32_e32 v164, 32, v164
	v_subrev_nc_u32_e32 v165, 28, v164
	v_sub_nc_u32_e32 v164, 29, v164
	s_delay_alu instid0(VALU_DEP_2) | instskip(SKIP_1) | instid1(VALU_DEP_2)
	v_lshlrev_b32_e32 v165, v165, v162
	v_bfe_u32 v162, v162, 3, 4
	v_and_b32_e32 v165, 7, v165
	s_delay_alu instid0(VALU_DEP_2) | instskip(NEXT) | instid1(VALU_DEP_2)
	v_cmp_eq_u32_e32 vcc_lo, 0, v162
	v_dual_cndmask_b32 v162, v162, v164 :: v_dual_cndmask_b32 v163, v163, v165
	v_and_b32_e32 v164, 0x80000000, v166
	s_delay_alu instid0(VALU_DEP_2) | instskip(NEXT) | instid1(VALU_DEP_3)
	v_lshl_add_u32 v162, v162, 23, 0x3b800000
	v_lshlrev_b32_e32 v163, 20, v163
	s_delay_alu instid0(VALU_DEP_1)
	v_or3_b32 v162, v164, v162, v163
.LBB4_6692:                             ;   in Loop: Header=BB4_6538 Depth=3
	s_or_b32 exec_lo, exec_lo, s17
	s_delay_alu instid0(VALU_DEP_1) | instskip(SKIP_1) | instid1(VALU_DEP_1)
	v_dual_max_f32 v162, v162, v162 :: v_dual_max_f32 v161, v161, v161
	s_mov_b32 s13, 0
	v_max_f32_e32 v161, v161, v162
	s_branch .LBB4_6694
.LBB4_6693:                             ;   in Loop: Header=BB4_6538 Depth=3
	s_mov_b32 s13, -1
                                        ; implicit-def: $vgpr161
.LBB4_6694:                             ;   in Loop: Header=BB4_6538 Depth=3
	s_delay_alu instid0(SALU_CYCLE_1)
	s_and_b32 vcc_lo, exec_lo, s13
	s_cbranch_vccz .LBB4_6704
; %bb.6695:                             ;   in Loop: Header=BB4_6538 Depth=3
	s_mov_b32 s13, 0
	s_mov_b32 s31, exec_lo
                                        ; implicit-def: $sgpr17
	v_cmpx_lt_i16_e64 0x7f, v160
	s_xor_b32 s31, exec_lo, s31
	s_cbranch_execnz .LBB4_7552
; %bb.6696:                             ;   in Loop: Header=BB4_6538 Depth=3
	s_or_saveexec_b32 s31, s31
	v_mov_b32_e32 v161, s17
	s_xor_b32 exec_lo, exec_lo, s31
	s_cbranch_execnz .LBB4_7555
.LBB4_6697:                             ;   in Loop: Header=BB4_6538 Depth=3
	s_or_b32 exec_lo, exec_lo, s31
	s_and_saveexec_b32 s17, s13
	s_cbranch_execz .LBB4_6699
.LBB4_6698:                             ;   in Loop: Header=BB4_6538 Depth=3
	v_and_b32_e32 v160, 0xffff, v160
	v_lshlrev_b32_e32 v164, 16, v21
	s_delay_alu instid0(VALU_DEP_2) | instskip(NEXT) | instid1(VALU_DEP_1)
	v_and_b32_e32 v161, 7, v160
	v_clz_i32_u32_e32 v162, v161
	s_delay_alu instid0(VALU_DEP_1) | instskip(NEXT) | instid1(VALU_DEP_1)
	v_min_u32_e32 v162, 32, v162
	v_subrev_nc_u32_e32 v163, 28, v162
	v_sub_nc_u32_e32 v162, 29, v162
	s_delay_alu instid0(VALU_DEP_2) | instskip(SKIP_1) | instid1(VALU_DEP_2)
	v_lshlrev_b32_e32 v163, v163, v160
	v_bfe_u32 v160, v160, 3, 4
	v_and_b32_e32 v163, 7, v163
	s_delay_alu instid0(VALU_DEP_2) | instskip(NEXT) | instid1(VALU_DEP_2)
	v_cmp_eq_u32_e32 vcc_lo, 0, v160
	v_dual_cndmask_b32 v160, v160, v162 :: v_dual_cndmask_b32 v161, v161, v163
	v_and_b32_e32 v162, 0x80000000, v164
	s_delay_alu instid0(VALU_DEP_2) | instskip(NEXT) | instid1(VALU_DEP_3)
	v_lshl_add_u32 v160, v160, 23, 0x3b800000
	v_lshlrev_b32_e32 v161, 20, v161
	s_delay_alu instid0(VALU_DEP_1)
	v_or3_b32 v161, v162, v160, v161
.LBB4_6699:                             ;   in Loop: Header=BB4_6538 Depth=3
	s_or_b32 exec_lo, exec_lo, s17
	s_mov_b32 s13, 0
	s_mov_b32 s31, exec_lo
                                        ; implicit-def: $sgpr17
	v_cmpx_lt_i16_e64 0x7f, v151
	s_xor_b32 s31, exec_lo, s31
	s_cbranch_execnz .LBB4_7556
; %bb.6700:                             ;   in Loop: Header=BB4_6538 Depth=3
	s_or_saveexec_b32 s31, s31
	v_mov_b32_e32 v160, s17
	s_xor_b32 exec_lo, exec_lo, s31
	s_cbranch_execnz .LBB4_7559
.LBB4_6701:                             ;   in Loop: Header=BB4_6538 Depth=3
	s_or_b32 exec_lo, exec_lo, s31
	s_and_saveexec_b32 s17, s13
	s_cbranch_execz .LBB4_6703
.LBB4_6702:                             ;   in Loop: Header=BB4_6538 Depth=3
	v_and_b32_e32 v151, 0xffff, v151
	v_lshlrev_b32_e32 v164, 16, v17
	s_delay_alu instid0(VALU_DEP_2) | instskip(NEXT) | instid1(VALU_DEP_1)
	v_and_b32_e32 v160, 7, v151
	v_clz_i32_u32_e32 v162, v160
	s_delay_alu instid0(VALU_DEP_1) | instskip(NEXT) | instid1(VALU_DEP_1)
	v_min_u32_e32 v162, 32, v162
	v_subrev_nc_u32_e32 v163, 28, v162
	v_sub_nc_u32_e32 v162, 29, v162
	s_delay_alu instid0(VALU_DEP_2) | instskip(SKIP_1) | instid1(VALU_DEP_2)
	v_lshlrev_b32_e32 v163, v163, v151
	v_bfe_u32 v151, v151, 3, 4
	v_and_b32_e32 v163, 7, v163
	s_delay_alu instid0(VALU_DEP_2) | instskip(NEXT) | instid1(VALU_DEP_2)
	v_cmp_eq_u32_e32 vcc_lo, 0, v151
	v_dual_cndmask_b32 v151, v151, v162 :: v_dual_cndmask_b32 v160, v160, v163
	v_and_b32_e32 v162, 0x80000000, v164
	s_delay_alu instid0(VALU_DEP_2) | instskip(NEXT) | instid1(VALU_DEP_3)
	v_lshl_add_u32 v151, v151, 23, 0x3b800000
	v_lshlrev_b32_e32 v160, 20, v160
	s_delay_alu instid0(VALU_DEP_1)
	v_or3_b32 v160, v162, v151, v160
.LBB4_6703:                             ;   in Loop: Header=BB4_6538 Depth=3
	s_or_b32 exec_lo, exec_lo, s17
	s_delay_alu instid0(VALU_DEP_1) | instskip(NEXT) | instid1(VALU_DEP_1)
	v_dual_max_f32 v151, v160, v160 :: v_dual_max_f32 v160, v161, v161
	v_min_f32_e32 v161, v160, v151
.LBB4_6704:                             ;   in Loop: Header=BB4_6538 Depth=3
	s_delay_alu instid0(VALU_DEP_1) | instskip(NEXT) | instid1(VALU_DEP_1)
	v_and_b32_e32 v151, 0x7f800000, v161
	v_cmp_ne_u32_e32 vcc_lo, 0x7f800000, v151
	v_mov_b32_e32 v151, 0x80
	s_and_saveexec_b32 s17, vcc_lo
	s_cbranch_execz .LBB4_6712
; %bb.6705:                             ;   in Loop: Header=BB4_6538 Depth=3
	v_mov_b32_e32 v151, 0
	s_mov_b32 s31, exec_lo
	v_cmpx_ne_u32_e32 0, v161
	s_cbranch_execz .LBB4_6711
; %bb.6706:                             ;   in Loop: Header=BB4_6538 Depth=3
	v_bfe_u32 v151, v161, 23, 8
	v_and_b32_e32 v160, 0x7fffff, v161
	s_delay_alu instid0(VALU_DEP_2) | instskip(SKIP_1) | instid1(VALU_DEP_3)
	v_sub_nc_u32_e32 v162, 0x78, v151
	v_cmp_gt_u32_e32 vcc_lo, 0x79, v151
	v_or_b32_e32 v163, 0x800000, v160
	s_delay_alu instid0(VALU_DEP_3) | instskip(SKIP_2) | instid1(VALU_DEP_3)
	v_cndmask_b32_e32 v162, 0, v162, vcc_lo
	v_cmp_eq_u32_e32 vcc_lo, 0, v151
	v_add_nc_u32_e32 v151, 0xffffff89, v151
	v_cndmask_b32_e64 v162, v162, 0x77, vcc_lo
	v_cndmask_b32_e32 v160, v163, v160, vcc_lo
	s_delay_alu instid0(VALU_DEP_3) | instskip(NEXT) | instid1(VALU_DEP_3)
	v_cndmask_b32_e64 v151, v151, 0xffffff8a, vcc_lo
	v_lshl_add_u32 v163, 0x100000, v162, -1
	s_delay_alu instid0(VALU_DEP_3) | instskip(SKIP_1) | instid1(VALU_DEP_4)
	v_lshrrev_b32_e32 v164, v162, v160
	v_lshlrev_b32_e64 v166, v162, 0x80000
	v_add_nc_u32_e32 v162, v162, v151
	s_delay_alu instid0(VALU_DEP_4) | instskip(NEXT) | instid1(VALU_DEP_4)
	v_and_b32_e32 v160, v163, v160
	v_bfe_u32 v165, v164, 20, 1
	s_delay_alu instid0(VALU_DEP_2) | instskip(NEXT) | instid1(VALU_DEP_2)
	v_cmp_eq_u32_e64 s13, v160, v166
	v_add_nc_u32_e32 v163, -1, v165
	s_delay_alu instid0(VALU_DEP_1) | instskip(SKIP_2) | instid1(VALU_DEP_2)
	v_cndmask_b32_e64 v160, 0, v163, s13
	v_lshrrev_b32_e32 v163, 23, v164
	s_mov_b32 s13, exec_lo
	v_add_nc_u32_e32 v160, v160, v164
	s_delay_alu instid0(VALU_DEP_2) | instskip(NEXT) | instid1(VALU_DEP_2)
	v_xor_b32_e32 v163, 1, v163
	v_and_b32_e32 v151, 0xfffff, v160
	s_delay_alu instid0(VALU_DEP_1) | instskip(NEXT) | instid1(VALU_DEP_3)
	v_add_nc_u32_e32 v160, v151, v164
                                        ; implicit-def: $vgpr151
	v_cmpx_ne_u32_e64 v162, v163
	s_xor_b32 s13, exec_lo, s13
; %bb.6707:                             ;   in Loop: Header=BB4_6538 Depth=3
	s_delay_alu instid0(VALU_DEP_2) | instskip(SKIP_2) | instid1(VALU_DEP_2)
	v_cmp_lt_u32_e32 vcc_lo, 0xffffff, v160
	v_sub_nc_u32_e32 v151, v162, v163
	v_cndmask_b32_e64 v162, 0, 1, vcc_lo
	v_add_co_ci_u32_e32 v151, vcc_lo, 0, v151, vcc_lo
	s_delay_alu instid0(VALU_DEP_2)
	v_lshrrev_b32_e32 v160, v162, v160
; %bb.6708:                             ;   in Loop: Header=BB4_6538 Depth=3
	s_and_not1_saveexec_b32 s13, s13
; %bb.6709:                             ;   in Loop: Header=BB4_6538 Depth=3
	s_delay_alu instid0(VALU_DEP_1)
	v_bfe_u32 v151, v160, 23, 1
; %bb.6710:                             ;   in Loop: Header=BB4_6538 Depth=3
	s_or_b32 exec_lo, exec_lo, s13
	v_lshrrev_b32_e32 v160, 20, v160
	s_delay_alu instid0(VALU_DEP_2) | instskip(SKIP_2) | instid1(VALU_DEP_2)
	v_cmp_gt_i32_e32 vcc_lo, 16, v151
	v_lshrrev_b32_e32 v161, 24, v161
	v_min_i32_e32 v162, 15, v151
	v_dual_cndmask_b32 v160, 7, v160 :: v_dual_and_b32 v161, 0x80, v161
	s_delay_alu instid0(VALU_DEP_1) | instskip(SKIP_1) | instid1(VALU_DEP_2)
	v_or_b32_e32 v151, v151, v160
	v_and_b32_e32 v163, 7, v160
	v_cmp_ne_u32_e32 vcc_lo, 0, v151
	v_lshlrev_b32_e32 v162, 3, v162
	s_delay_alu instid0(VALU_DEP_1) | instskip(NEXT) | instid1(VALU_DEP_1)
	v_or3_b32 v160, v162, v161, v163
	v_cndmask_b32_e32 v151, 0, v160, vcc_lo
.LBB4_6711:                             ;   in Loop: Header=BB4_6538 Depth=3
	s_or_b32 exec_lo, exec_lo, s31
.LBB4_6712:                             ;   in Loop: Header=BB4_6538 Depth=3
	s_delay_alu instid0(SALU_CYCLE_1)
	s_or_b32 exec_lo, exec_lo, s17
	v_lshrrev_b32_e32 v161, 16, v21
	v_lshrrev_b32_e32 v160, 16, v17
	s_and_b32 vcc_lo, exec_lo, s16
	s_cbranch_vccz .LBB4_6722
; %bb.6713:                             ;   in Loop: Header=BB4_6538 Depth=3
	s_delay_alu instid0(VALU_DEP_2) | instskip(SKIP_2) | instid1(VALU_DEP_1)
	v_and_b32_e32 v163, 0xff, v161
	s_mov_b32 s13, 0
	s_mov_b32 s31, exec_lo
                                        ; implicit-def: $sgpr17
	v_cmpx_lt_i16_e64 0x7f, v163
	s_xor_b32 s31, exec_lo, s31
	s_cbranch_execnz .LBB4_7560
; %bb.6714:                             ;   in Loop: Header=BB4_6538 Depth=3
	s_or_saveexec_b32 s31, s31
	v_mov_b32_e32 v162, s17
	s_xor_b32 exec_lo, exec_lo, s31
	s_cbranch_execnz .LBB4_7563
.LBB4_6715:                             ;   in Loop: Header=BB4_6538 Depth=3
	s_or_b32 exec_lo, exec_lo, s31
	s_and_saveexec_b32 s17, s13
	s_cbranch_execz .LBB4_6717
.LBB4_6716:                             ;   in Loop: Header=BB4_6538 Depth=3
	v_bfe_u32 v162, v21, 16, 3
	v_bfe_u32 v165, v21, 19, 4
	v_lshlrev_b32_e32 v166, 24, v161
	s_delay_alu instid0(VALU_DEP_3) | instskip(NEXT) | instid1(VALU_DEP_3)
	v_clz_i32_u32_e32 v163, v162
	v_cmp_eq_u32_e32 vcc_lo, 0, v165
	s_delay_alu instid0(VALU_DEP_2) | instskip(NEXT) | instid1(VALU_DEP_1)
	v_min_u32_e32 v163, 32, v163
	v_subrev_nc_u32_e32 v164, 28, v163
	v_sub_nc_u32_e32 v163, 29, v163
	s_delay_alu instid0(VALU_DEP_1) | instskip(NEXT) | instid1(VALU_DEP_1)
	v_dual_cndmask_b32 v163, v165, v163 :: v_dual_lshlrev_b32 v164, v164, v161
	v_and_b32_e32 v164, 7, v164
	s_delay_alu instid0(VALU_DEP_2) | instskip(NEXT) | instid1(VALU_DEP_2)
	v_lshl_add_u32 v163, v163, 23, 0x3b800000
	v_cndmask_b32_e32 v162, v162, v164, vcc_lo
	v_and_b32_e32 v164, 0x80000000, v166
	s_delay_alu instid0(VALU_DEP_2) | instskip(NEXT) | instid1(VALU_DEP_1)
	v_lshlrev_b32_e32 v162, 20, v162
	v_or3_b32 v162, v164, v163, v162
.LBB4_6717:                             ;   in Loop: Header=BB4_6538 Depth=3
	s_or_b32 exec_lo, exec_lo, s17
	v_and_b32_e32 v164, 0xff, v160
	s_mov_b32 s13, 0
	s_mov_b32 s31, exec_lo
                                        ; implicit-def: $sgpr17
	s_delay_alu instid0(VALU_DEP_1)
	v_cmpx_lt_i16_e64 0x7f, v164
	s_xor_b32 s31, exec_lo, s31
	s_cbranch_execnz .LBB4_7564
; %bb.6718:                             ;   in Loop: Header=BB4_6538 Depth=3
	s_or_saveexec_b32 s31, s31
	v_mov_b32_e32 v163, s17
	s_xor_b32 exec_lo, exec_lo, s31
	s_cbranch_execnz .LBB4_7567
.LBB4_6719:                             ;   in Loop: Header=BB4_6538 Depth=3
	s_or_b32 exec_lo, exec_lo, s31
	s_and_saveexec_b32 s17, s13
	s_cbranch_execz .LBB4_6721
.LBB4_6720:                             ;   in Loop: Header=BB4_6538 Depth=3
	v_bfe_u32 v163, v17, 16, 3
	v_bfe_u32 v166, v17, 19, 4
	v_lshlrev_b32_e32 v167, 24, v160
	s_delay_alu instid0(VALU_DEP_3) | instskip(NEXT) | instid1(VALU_DEP_3)
	v_clz_i32_u32_e32 v164, v163
	v_cmp_eq_u32_e32 vcc_lo, 0, v166
	s_delay_alu instid0(VALU_DEP_2) | instskip(NEXT) | instid1(VALU_DEP_1)
	v_min_u32_e32 v164, 32, v164
	v_subrev_nc_u32_e32 v165, 28, v164
	v_sub_nc_u32_e32 v164, 29, v164
	s_delay_alu instid0(VALU_DEP_2) | instskip(NEXT) | instid1(VALU_DEP_1)
	v_lshlrev_b32_e32 v165, v165, v160
	v_dual_cndmask_b32 v164, v166, v164 :: v_dual_and_b32 v165, 7, v165
	s_delay_alu instid0(VALU_DEP_1) | instskip(NEXT) | instid1(VALU_DEP_2)
	v_lshl_add_u32 v164, v164, 23, 0x3b800000
	v_cndmask_b32_e32 v163, v163, v165, vcc_lo
	v_and_b32_e32 v165, 0x80000000, v167
	s_delay_alu instid0(VALU_DEP_2) | instskip(NEXT) | instid1(VALU_DEP_1)
	v_lshlrev_b32_e32 v163, 20, v163
	v_or3_b32 v163, v165, v164, v163
.LBB4_6721:                             ;   in Loop: Header=BB4_6538 Depth=3
	s_or_b32 exec_lo, exec_lo, s17
	s_delay_alu instid0(VALU_DEP_1) | instskip(SKIP_1) | instid1(VALU_DEP_1)
	v_dual_max_f32 v163, v163, v163 :: v_dual_max_f32 v162, v162, v162
	s_mov_b32 s13, 0
	v_max_f32_e32 v162, v162, v163
	s_branch .LBB4_6723
.LBB4_6722:                             ;   in Loop: Header=BB4_6538 Depth=3
	s_mov_b32 s13, -1
                                        ; implicit-def: $vgpr162
.LBB4_6723:                             ;   in Loop: Header=BB4_6538 Depth=3
	s_delay_alu instid0(SALU_CYCLE_1)
	s_and_b32 vcc_lo, exec_lo, s13
	s_cbranch_vccz .LBB4_6733
; %bb.6724:                             ;   in Loop: Header=BB4_6538 Depth=3
	v_and_b32_e32 v163, 0xff, v161
	s_mov_b32 s13, 0
	s_mov_b32 s31, exec_lo
                                        ; implicit-def: $sgpr17
	s_delay_alu instid0(VALU_DEP_1)
	v_cmpx_lt_i16_e64 0x7f, v163
	s_xor_b32 s31, exec_lo, s31
	s_cbranch_execnz .LBB4_7568
; %bb.6725:                             ;   in Loop: Header=BB4_6538 Depth=3
	s_or_saveexec_b32 s31, s31
	v_mov_b32_e32 v162, s17
	s_xor_b32 exec_lo, exec_lo, s31
	s_cbranch_execnz .LBB4_7571
.LBB4_6726:                             ;   in Loop: Header=BB4_6538 Depth=3
	s_or_b32 exec_lo, exec_lo, s31
	s_and_saveexec_b32 s17, s13
	s_cbranch_execz .LBB4_6728
.LBB4_6727:                             ;   in Loop: Header=BB4_6538 Depth=3
	v_bfe_u32 v162, v21, 16, 3
	v_bfe_u32 v165, v21, 19, 4
	s_delay_alu instid0(VALU_DEP_2) | instskip(NEXT) | instid1(VALU_DEP_2)
	v_clz_i32_u32_e32 v163, v162
	v_cmp_eq_u32_e32 vcc_lo, 0, v165
	s_delay_alu instid0(VALU_DEP_2) | instskip(NEXT) | instid1(VALU_DEP_1)
	v_min_u32_e32 v163, 32, v163
	v_subrev_nc_u32_e32 v164, 28, v163
	v_sub_nc_u32_e32 v163, 29, v163
	s_delay_alu instid0(VALU_DEP_1) | instskip(NEXT) | instid1(VALU_DEP_1)
	v_dual_cndmask_b32 v163, v165, v163 :: v_dual_lshlrev_b32 v164, v164, v161
	v_and_b32_e32 v164, 7, v164
	v_lshlrev_b32_e32 v161, 24, v161
	s_delay_alu instid0(VALU_DEP_3) | instskip(NEXT) | instid1(VALU_DEP_2)
	v_lshl_add_u32 v163, v163, 23, 0x3b800000
	v_dual_cndmask_b32 v162, v162, v164 :: v_dual_and_b32 v161, 0x80000000, v161
	s_delay_alu instid0(VALU_DEP_1) | instskip(NEXT) | instid1(VALU_DEP_1)
	v_lshlrev_b32_e32 v162, 20, v162
	v_or3_b32 v162, v161, v163, v162
.LBB4_6728:                             ;   in Loop: Header=BB4_6538 Depth=3
	s_or_b32 exec_lo, exec_lo, s17
	v_and_b32_e32 v163, 0xff, v160
	s_mov_b32 s13, 0
	s_mov_b32 s31, exec_lo
                                        ; implicit-def: $sgpr17
	s_delay_alu instid0(VALU_DEP_1)
	v_cmpx_lt_i16_e64 0x7f, v163
	s_xor_b32 s31, exec_lo, s31
	s_cbranch_execnz .LBB4_7572
; %bb.6729:                             ;   in Loop: Header=BB4_6538 Depth=3
	s_or_saveexec_b32 s31, s31
	v_mov_b32_e32 v161, s17
	s_xor_b32 exec_lo, exec_lo, s31
	s_cbranch_execnz .LBB4_7575
.LBB4_6730:                             ;   in Loop: Header=BB4_6538 Depth=3
	s_or_b32 exec_lo, exec_lo, s31
	s_and_saveexec_b32 s17, s13
	s_cbranch_execz .LBB4_6732
.LBB4_6731:                             ;   in Loop: Header=BB4_6538 Depth=3
	v_bfe_u32 v161, v17, 16, 3
	v_bfe_u32 v165, v17, 19, 4
	s_delay_alu instid0(VALU_DEP_2) | instskip(NEXT) | instid1(VALU_DEP_2)
	v_clz_i32_u32_e32 v163, v161
	v_cmp_eq_u32_e32 vcc_lo, 0, v165
	s_delay_alu instid0(VALU_DEP_2) | instskip(NEXT) | instid1(VALU_DEP_1)
	v_min_u32_e32 v163, 32, v163
	v_subrev_nc_u32_e32 v164, 28, v163
	v_sub_nc_u32_e32 v163, 29, v163
	s_delay_alu instid0(VALU_DEP_1) | instskip(SKIP_1) | instid1(VALU_DEP_2)
	v_dual_cndmask_b32 v163, v165, v163 :: v_dual_lshlrev_b32 v164, v164, v160
	v_lshlrev_b32_e32 v160, 24, v160
	v_and_b32_e32 v164, 7, v164
	s_delay_alu instid0(VALU_DEP_3) | instskip(NEXT) | instid1(VALU_DEP_3)
	v_lshl_add_u32 v163, v163, 23, 0x3b800000
	v_and_b32_e32 v160, 0x80000000, v160
	s_delay_alu instid0(VALU_DEP_3) | instskip(NEXT) | instid1(VALU_DEP_1)
	v_cndmask_b32_e32 v161, v161, v164, vcc_lo
	v_lshlrev_b32_e32 v161, 20, v161
	s_delay_alu instid0(VALU_DEP_1)
	v_or3_b32 v161, v160, v163, v161
.LBB4_6732:                             ;   in Loop: Header=BB4_6538 Depth=3
	s_or_b32 exec_lo, exec_lo, s17
	s_delay_alu instid0(VALU_DEP_1) | instskip(NEXT) | instid1(VALU_DEP_1)
	v_dual_max_f32 v160, v161, v161 :: v_dual_max_f32 v161, v162, v162
	v_min_f32_e32 v162, v161, v160
.LBB4_6733:                             ;   in Loop: Header=BB4_6538 Depth=3
	s_delay_alu instid0(VALU_DEP_1) | instskip(NEXT) | instid1(VALU_DEP_1)
	v_and_b32_e32 v160, 0x7f800000, v162
	v_cmp_ne_u32_e32 vcc_lo, 0x7f800000, v160
	v_mov_b32_e32 v160, 0x80
	s_and_saveexec_b32 s17, vcc_lo
	s_cbranch_execz .LBB4_6741
; %bb.6734:                             ;   in Loop: Header=BB4_6538 Depth=3
	v_mov_b32_e32 v160, 0
	s_mov_b32 s31, exec_lo
	v_cmpx_ne_u32_e32 0, v162
	s_cbranch_execz .LBB4_6740
; %bb.6735:                             ;   in Loop: Header=BB4_6538 Depth=3
	v_bfe_u32 v160, v162, 23, 8
	v_and_b32_e32 v161, 0x7fffff, v162
	s_delay_alu instid0(VALU_DEP_2) | instskip(SKIP_1) | instid1(VALU_DEP_3)
	v_sub_nc_u32_e32 v163, 0x78, v160
	v_cmp_gt_u32_e32 vcc_lo, 0x79, v160
	v_or_b32_e32 v164, 0x800000, v161
	s_delay_alu instid0(VALU_DEP_3) | instskip(SKIP_2) | instid1(VALU_DEP_3)
	v_cndmask_b32_e32 v163, 0, v163, vcc_lo
	v_cmp_eq_u32_e32 vcc_lo, 0, v160
	v_add_nc_u32_e32 v160, 0xffffff89, v160
	v_cndmask_b32_e64 v163, v163, 0x77, vcc_lo
	v_cndmask_b32_e32 v161, v164, v161, vcc_lo
	s_delay_alu instid0(VALU_DEP_3) | instskip(NEXT) | instid1(VALU_DEP_3)
	v_cndmask_b32_e64 v160, v160, 0xffffff8a, vcc_lo
	v_lshl_add_u32 v164, 0x100000, v163, -1
	s_delay_alu instid0(VALU_DEP_3) | instskip(SKIP_1) | instid1(VALU_DEP_4)
	v_lshrrev_b32_e32 v165, v163, v161
	v_lshlrev_b32_e64 v167, v163, 0x80000
	v_add_nc_u32_e32 v163, v163, v160
	s_delay_alu instid0(VALU_DEP_4) | instskip(NEXT) | instid1(VALU_DEP_4)
	v_and_b32_e32 v161, v164, v161
	v_bfe_u32 v166, v165, 20, 1
	s_delay_alu instid0(VALU_DEP_2) | instskip(NEXT) | instid1(VALU_DEP_2)
	v_cmp_eq_u32_e64 s13, v161, v167
	v_add_nc_u32_e32 v164, -1, v166
	s_delay_alu instid0(VALU_DEP_1) | instskip(SKIP_2) | instid1(VALU_DEP_2)
	v_cndmask_b32_e64 v161, 0, v164, s13
	v_lshrrev_b32_e32 v164, 23, v165
	s_mov_b32 s13, exec_lo
	v_add_nc_u32_e32 v161, v161, v165
	s_delay_alu instid0(VALU_DEP_2) | instskip(NEXT) | instid1(VALU_DEP_2)
	v_xor_b32_e32 v164, 1, v164
	v_and_b32_e32 v160, 0xfffff, v161
	s_delay_alu instid0(VALU_DEP_1) | instskip(NEXT) | instid1(VALU_DEP_3)
	v_add_nc_u32_e32 v161, v160, v165
                                        ; implicit-def: $vgpr160
	v_cmpx_ne_u32_e64 v163, v164
	s_xor_b32 s13, exec_lo, s13
; %bb.6736:                             ;   in Loop: Header=BB4_6538 Depth=3
	s_delay_alu instid0(VALU_DEP_2) | instskip(SKIP_2) | instid1(VALU_DEP_2)
	v_cmp_lt_u32_e32 vcc_lo, 0xffffff, v161
	v_sub_nc_u32_e32 v160, v163, v164
	v_cndmask_b32_e64 v163, 0, 1, vcc_lo
	v_add_co_ci_u32_e32 v160, vcc_lo, 0, v160, vcc_lo
	s_delay_alu instid0(VALU_DEP_2)
	v_lshrrev_b32_e32 v161, v163, v161
; %bb.6737:                             ;   in Loop: Header=BB4_6538 Depth=3
	s_and_not1_saveexec_b32 s13, s13
; %bb.6738:                             ;   in Loop: Header=BB4_6538 Depth=3
	s_delay_alu instid0(VALU_DEP_1)
	v_bfe_u32 v160, v161, 23, 1
; %bb.6739:                             ;   in Loop: Header=BB4_6538 Depth=3
	s_or_b32 exec_lo, exec_lo, s13
	v_lshrrev_b32_e32 v161, 20, v161
	s_delay_alu instid0(VALU_DEP_2) | instskip(SKIP_2) | instid1(VALU_DEP_2)
	v_cmp_gt_i32_e32 vcc_lo, 16, v160
	v_lshrrev_b32_e32 v162, 24, v162
	v_min_i32_e32 v163, 15, v160
	v_dual_cndmask_b32 v161, 7, v161 :: v_dual_and_b32 v162, 0x80, v162
	s_delay_alu instid0(VALU_DEP_1) | instskip(SKIP_1) | instid1(VALU_DEP_2)
	v_or_b32_e32 v160, v160, v161
	v_and_b32_e32 v164, 7, v161
	v_cmp_ne_u32_e32 vcc_lo, 0, v160
	v_lshlrev_b32_e32 v163, 3, v163
	s_delay_alu instid0(VALU_DEP_1) | instskip(NEXT) | instid1(VALU_DEP_1)
	v_and_b32_e32 v163, 0xf8, v163
	v_or3_b32 v161, v163, v162, v164
	s_delay_alu instid0(VALU_DEP_1)
	v_cndmask_b32_e32 v160, 0, v161, vcc_lo
.LBB4_6740:                             ;   in Loop: Header=BB4_6538 Depth=3
	s_or_b32 exec_lo, exec_lo, s31
.LBB4_6741:                             ;   in Loop: Header=BB4_6538 Depth=3
	s_delay_alu instid0(SALU_CYCLE_1)
	s_or_b32 exec_lo, exec_lo, s17
	v_lshrrev_b32_e32 v162, 24, v21
	v_lshrrev_b32_e32 v161, 24, v17
	s_and_b32 vcc_lo, exec_lo, s16
	s_cbranch_vccz .LBB4_6751
; %bb.6742:                             ;   in Loop: Header=BB4_6538 Depth=3
	s_mov_b32 s13, 0
	s_mov_b32 s31, exec_lo
                                        ; implicit-def: $sgpr17
	v_cmpx_lt_i16_e64 0x7f, v162
	s_xor_b32 s31, exec_lo, s31
	s_cbranch_execnz .LBB4_7576
; %bb.6743:                             ;   in Loop: Header=BB4_6538 Depth=3
	s_or_saveexec_b32 s31, s31
	v_mov_b32_e32 v163, s17
	s_xor_b32 exec_lo, exec_lo, s31
	s_cbranch_execnz .LBB4_7579
.LBB4_6744:                             ;   in Loop: Header=BB4_6538 Depth=3
	s_or_b32 exec_lo, exec_lo, s31
	s_and_saveexec_b32 s17, s13
	s_cbranch_execz .LBB4_6746
.LBB4_6745:                             ;   in Loop: Header=BB4_6538 Depth=3
	v_bfe_u32 v163, v21, 24, 3
	v_bfe_u32 v166, v21, 27, 4
	s_delay_alu instid0(VALU_DEP_2) | instskip(NEXT) | instid1(VALU_DEP_2)
	v_clz_i32_u32_e32 v164, v163
	v_cmp_eq_u32_e32 vcc_lo, 0, v166
	s_delay_alu instid0(VALU_DEP_2) | instskip(NEXT) | instid1(VALU_DEP_1)
	v_min_u32_e32 v164, 32, v164
	v_subrev_nc_u32_e32 v165, 28, v164
	v_sub_nc_u32_e32 v164, 29, v164
	s_delay_alu instid0(VALU_DEP_1) | instskip(NEXT) | instid1(VALU_DEP_1)
	v_dual_cndmask_b32 v164, v166, v164 :: v_dual_lshlrev_b32 v165, v165, v162
	v_and_b32_e32 v165, 7, v165
	s_delay_alu instid0(VALU_DEP_2) | instskip(NEXT) | instid1(VALU_DEP_2)
	v_lshl_add_u32 v164, v164, 23, 0x3b800000
	v_cndmask_b32_e32 v163, v163, v165, vcc_lo
	v_and_b32_e32 v165, 0x80000000, v21
	s_delay_alu instid0(VALU_DEP_2) | instskip(NEXT) | instid1(VALU_DEP_1)
	v_lshlrev_b32_e32 v163, 20, v163
	v_or3_b32 v163, v165, v164, v163
.LBB4_6746:                             ;   in Loop: Header=BB4_6538 Depth=3
	s_or_b32 exec_lo, exec_lo, s17
	s_mov_b32 s13, 0
	s_mov_b32 s31, exec_lo
                                        ; implicit-def: $sgpr17
	v_cmpx_lt_i16_e64 0x7f, v161
	s_xor_b32 s31, exec_lo, s31
	s_cbranch_execnz .LBB4_7580
; %bb.6747:                             ;   in Loop: Header=BB4_6538 Depth=3
	s_or_saveexec_b32 s31, s31
	v_mov_b32_e32 v164, s17
	s_xor_b32 exec_lo, exec_lo, s31
	s_cbranch_execnz .LBB4_7583
.LBB4_6748:                             ;   in Loop: Header=BB4_6538 Depth=3
	s_or_b32 exec_lo, exec_lo, s31
	s_and_saveexec_b32 s17, s13
	s_cbranch_execz .LBB4_6750
.LBB4_6749:                             ;   in Loop: Header=BB4_6538 Depth=3
	v_bfe_u32 v164, v17, 24, 3
	v_bfe_u32 v167, v17, 27, 4
	s_delay_alu instid0(VALU_DEP_2) | instskip(NEXT) | instid1(VALU_DEP_2)
	v_clz_i32_u32_e32 v165, v164
	v_cmp_eq_u32_e32 vcc_lo, 0, v167
	s_delay_alu instid0(VALU_DEP_2) | instskip(NEXT) | instid1(VALU_DEP_1)
	v_min_u32_e32 v165, 32, v165
	v_subrev_nc_u32_e32 v166, 28, v165
	v_sub_nc_u32_e32 v165, 29, v165
	s_delay_alu instid0(VALU_DEP_2) | instskip(NEXT) | instid1(VALU_DEP_1)
	v_lshlrev_b32_e32 v166, v166, v161
	v_dual_cndmask_b32 v165, v167, v165 :: v_dual_and_b32 v166, 7, v166
	s_delay_alu instid0(VALU_DEP_1) | instskip(NEXT) | instid1(VALU_DEP_2)
	v_lshl_add_u32 v165, v165, 23, 0x3b800000
	v_cndmask_b32_e32 v164, v164, v166, vcc_lo
	v_and_b32_e32 v166, 0x80000000, v17
	s_delay_alu instid0(VALU_DEP_2) | instskip(NEXT) | instid1(VALU_DEP_1)
	v_lshlrev_b32_e32 v164, 20, v164
	v_or3_b32 v164, v166, v165, v164
.LBB4_6750:                             ;   in Loop: Header=BB4_6538 Depth=3
	s_or_b32 exec_lo, exec_lo, s17
	s_delay_alu instid0(VALU_DEP_1) | instskip(SKIP_1) | instid1(VALU_DEP_1)
	v_dual_max_f32 v164, v164, v164 :: v_dual_max_f32 v163, v163, v163
	s_mov_b32 s13, 0
	v_max_f32_e32 v163, v163, v164
	s_branch .LBB4_6752
.LBB4_6751:                             ;   in Loop: Header=BB4_6538 Depth=3
	s_mov_b32 s13, -1
                                        ; implicit-def: $vgpr163
.LBB4_6752:                             ;   in Loop: Header=BB4_6538 Depth=3
	s_delay_alu instid0(SALU_CYCLE_1)
	s_and_b32 vcc_lo, exec_lo, s13
	s_cbranch_vccz .LBB4_6762
; %bb.6753:                             ;   in Loop: Header=BB4_6538 Depth=3
	s_mov_b32 s13, 0
	s_mov_b32 s31, exec_lo
                                        ; implicit-def: $sgpr17
	v_cmpx_lt_i16_e64 0x7f, v162
	s_xor_b32 s31, exec_lo, s31
	s_cbranch_execnz .LBB4_7584
; %bb.6754:                             ;   in Loop: Header=BB4_6538 Depth=3
	s_or_saveexec_b32 s31, s31
	v_mov_b32_e32 v163, s17
	s_xor_b32 exec_lo, exec_lo, s31
	s_cbranch_execnz .LBB4_7587
.LBB4_6755:                             ;   in Loop: Header=BB4_6538 Depth=3
	s_or_b32 exec_lo, exec_lo, s31
	s_and_saveexec_b32 s17, s13
	s_cbranch_execz .LBB4_6757
.LBB4_6756:                             ;   in Loop: Header=BB4_6538 Depth=3
	v_bfe_u32 v163, v21, 24, 3
	s_delay_alu instid0(VALU_DEP_1) | instskip(NEXT) | instid1(VALU_DEP_1)
	v_clz_i32_u32_e32 v164, v163
	v_min_u32_e32 v164, 32, v164
	s_delay_alu instid0(VALU_DEP_1) | instskip(SKIP_1) | instid1(VALU_DEP_2)
	v_subrev_nc_u32_e32 v165, 28, v164
	v_sub_nc_u32_e32 v164, 29, v164
	v_lshlrev_b32_e32 v162, v165, v162
	v_bfe_u32 v165, v21, 27, 4
	v_and_b32_e32 v21, 0x80000000, v21
	s_delay_alu instid0(VALU_DEP_3) | instskip(NEXT) | instid1(VALU_DEP_3)
	v_and_b32_e32 v162, 7, v162
	v_cmp_eq_u32_e32 vcc_lo, 0, v165
	v_cndmask_b32_e32 v164, v165, v164, vcc_lo
	s_delay_alu instid0(VALU_DEP_3) | instskip(NEXT) | instid1(VALU_DEP_2)
	v_cndmask_b32_e32 v162, v163, v162, vcc_lo
	v_lshl_add_u32 v163, v164, 23, 0x3b800000
	s_delay_alu instid0(VALU_DEP_2) | instskip(NEXT) | instid1(VALU_DEP_1)
	v_lshlrev_b32_e32 v162, 20, v162
	v_or3_b32 v163, v21, v163, v162
.LBB4_6757:                             ;   in Loop: Header=BB4_6538 Depth=3
	s_or_b32 exec_lo, exec_lo, s17
	s_mov_b32 s13, 0
	s_mov_b32 s31, exec_lo
                                        ; implicit-def: $sgpr17
	v_cmpx_lt_i16_e64 0x7f, v161
	s_xor_b32 s31, exec_lo, s31
	s_cbranch_execnz .LBB4_7588
; %bb.6758:                             ;   in Loop: Header=BB4_6538 Depth=3
	s_or_saveexec_b32 s31, s31
	v_mov_b32_e32 v21, s17
	s_xor_b32 exec_lo, exec_lo, s31
	s_cbranch_execnz .LBB4_7591
.LBB4_6759:                             ;   in Loop: Header=BB4_6538 Depth=3
	s_or_b32 exec_lo, exec_lo, s31
	s_and_saveexec_b32 s17, s13
	s_cbranch_execz .LBB4_6761
.LBB4_6760:                             ;   in Loop: Header=BB4_6538 Depth=3
	v_bfe_u32 v21, v17, 24, 3
	s_delay_alu instid0(VALU_DEP_1) | instskip(NEXT) | instid1(VALU_DEP_1)
	v_clz_i32_u32_e32 v162, v21
	v_min_u32_e32 v162, 32, v162
	s_delay_alu instid0(VALU_DEP_1) | instskip(SKIP_1) | instid1(VALU_DEP_2)
	v_subrev_nc_u32_e32 v164, 28, v162
	v_sub_nc_u32_e32 v162, 29, v162
	v_lshlrev_b32_e32 v161, v164, v161
	v_bfe_u32 v164, v17, 27, 4
	v_and_b32_e32 v17, 0x80000000, v17
	s_delay_alu instid0(VALU_DEP_2) | instskip(NEXT) | instid1(VALU_DEP_4)
	v_cmp_eq_u32_e32 vcc_lo, 0, v164
	v_dual_cndmask_b32 v162, v164, v162 :: v_dual_and_b32 v161, 7, v161
	s_delay_alu instid0(VALU_DEP_1) | instskip(NEXT) | instid1(VALU_DEP_2)
	v_cndmask_b32_e32 v21, v21, v161, vcc_lo
	v_lshl_add_u32 v161, v162, 23, 0x3b800000
	s_delay_alu instid0(VALU_DEP_2) | instskip(NEXT) | instid1(VALU_DEP_1)
	v_lshlrev_b32_e32 v21, 20, v21
	v_or3_b32 v21, v17, v161, v21
.LBB4_6761:                             ;   in Loop: Header=BB4_6538 Depth=3
	s_or_b32 exec_lo, exec_lo, s17
	s_delay_alu instid0(VALU_DEP_1) | instskip(SKIP_1) | instid1(VALU_DEP_1)
	v_max_f32_e32 v17, v21, v21
	v_max_f32_e32 v21, v163, v163
	v_min_f32_e32 v163, v21, v17
.LBB4_6762:                             ;   in Loop: Header=BB4_6538 Depth=3
	s_delay_alu instid0(VALU_DEP_1) | instskip(NEXT) | instid1(VALU_DEP_1)
	v_and_b32_e32 v17, 0x7f800000, v163
	v_cmp_ne_u32_e32 vcc_lo, 0x7f800000, v17
	v_mov_b32_e32 v17, 0x8000
	s_and_saveexec_b32 s17, vcc_lo
	s_cbranch_execz .LBB4_6770
; %bb.6763:                             ;   in Loop: Header=BB4_6538 Depth=3
	v_mov_b32_e32 v17, 0
	s_mov_b32 s31, exec_lo
	v_cmpx_ne_u32_e32 0, v163
	s_cbranch_execz .LBB4_6769
; %bb.6764:                             ;   in Loop: Header=BB4_6538 Depth=3
	v_bfe_u32 v17, v163, 23, 8
	v_and_b32_e32 v21, 0x7fffff, v163
	s_delay_alu instid0(VALU_DEP_2) | instskip(SKIP_1) | instid1(VALU_DEP_3)
	v_sub_nc_u32_e32 v161, 0x78, v17
	v_cmp_gt_u32_e32 vcc_lo, 0x79, v17
	v_or_b32_e32 v162, 0x800000, v21
	s_delay_alu instid0(VALU_DEP_3) | instskip(SKIP_2) | instid1(VALU_DEP_3)
	v_cndmask_b32_e32 v161, 0, v161, vcc_lo
	v_cmp_eq_u32_e32 vcc_lo, 0, v17
	v_add_nc_u32_e32 v17, 0xffffff89, v17
	v_cndmask_b32_e64 v161, v161, 0x77, vcc_lo
	v_cndmask_b32_e32 v21, v162, v21, vcc_lo
	s_delay_alu instid0(VALU_DEP_3) | instskip(NEXT) | instid1(VALU_DEP_3)
	v_cndmask_b32_e64 v17, v17, 0xffffff8a, vcc_lo
	v_lshl_add_u32 v162, 0x100000, v161, -1
	s_delay_alu instid0(VALU_DEP_3) | instskip(SKIP_1) | instid1(VALU_DEP_4)
	v_lshrrev_b32_e32 v164, v161, v21
	v_lshlrev_b32_e64 v166, v161, 0x80000
	v_add_nc_u32_e32 v161, v161, v17
	s_delay_alu instid0(VALU_DEP_4) | instskip(NEXT) | instid1(VALU_DEP_4)
	v_and_b32_e32 v21, v162, v21
	v_bfe_u32 v165, v164, 20, 1
	s_delay_alu instid0(VALU_DEP_2) | instskip(NEXT) | instid1(VALU_DEP_2)
	v_cmp_eq_u32_e64 s13, v21, v166
	v_add_nc_u32_e32 v162, -1, v165
	s_delay_alu instid0(VALU_DEP_1) | instskip(SKIP_2) | instid1(VALU_DEP_2)
	v_cndmask_b32_e64 v21, 0, v162, s13
	v_lshrrev_b32_e32 v162, 23, v164
	s_mov_b32 s13, exec_lo
	v_add_nc_u32_e32 v21, v21, v164
	s_delay_alu instid0(VALU_DEP_2) | instskip(NEXT) | instid1(VALU_DEP_2)
	v_xor_b32_e32 v162, 1, v162
	v_and_b32_e32 v17, 0xfffff, v21
	s_delay_alu instid0(VALU_DEP_1) | instskip(NEXT) | instid1(VALU_DEP_3)
	v_add_nc_u32_e32 v21, v17, v164
                                        ; implicit-def: $vgpr17
	v_cmpx_ne_u32_e64 v161, v162
	s_xor_b32 s13, exec_lo, s13
; %bb.6765:                             ;   in Loop: Header=BB4_6538 Depth=3
	s_delay_alu instid0(VALU_DEP_2) | instskip(SKIP_2) | instid1(VALU_DEP_2)
	v_cmp_lt_u32_e32 vcc_lo, 0xffffff, v21
	v_sub_nc_u32_e32 v17, v161, v162
	v_cndmask_b32_e64 v161, 0, 1, vcc_lo
	v_add_co_ci_u32_e32 v17, vcc_lo, 0, v17, vcc_lo
	s_delay_alu instid0(VALU_DEP_2)
	v_lshrrev_b32_e32 v21, v161, v21
; %bb.6766:                             ;   in Loop: Header=BB4_6538 Depth=3
	s_and_not1_saveexec_b32 s13, s13
; %bb.6767:                             ;   in Loop: Header=BB4_6538 Depth=3
	s_delay_alu instid0(VALU_DEP_1)
	v_bfe_u32 v17, v21, 23, 1
; %bb.6768:                             ;   in Loop: Header=BB4_6538 Depth=3
	s_or_b32 exec_lo, exec_lo, s13
	v_lshrrev_b32_e32 v21, 20, v21
	s_delay_alu instid0(VALU_DEP_2) | instskip(SKIP_2) | instid1(VALU_DEP_3)
	v_min_i32_e32 v161, 15, v17
	v_cmp_gt_i32_e32 vcc_lo, 16, v17
	v_lshrrev_b32_e32 v162, 24, v163
	v_lshlrev_b32_e32 v161, 3, v161
	s_delay_alu instid0(VALU_DEP_2) | instskip(NEXT) | instid1(VALU_DEP_2)
	v_dual_cndmask_b32 v21, 7, v21 :: v_dual_and_b32 v162, 0x80, v162
	v_and_b32_e32 v161, 0xf8, v161
	s_delay_alu instid0(VALU_DEP_2) | instskip(SKIP_1) | instid1(VALU_DEP_2)
	v_and_b32_e32 v163, 7, v21
	v_or_b32_e32 v17, v17, v21
	v_or3_b32 v161, v162, v161, v163
	s_delay_alu instid0(VALU_DEP_2) | instskip(NEXT) | instid1(VALU_DEP_2)
	v_cmp_ne_u32_e32 vcc_lo, 0, v17
	v_lshlrev_b32_e32 v21, 8, v161
	s_delay_alu instid0(VALU_DEP_1)
	v_cndmask_b32_e32 v17, 0, v21, vcc_lo
.LBB4_6769:                             ;   in Loop: Header=BB4_6538 Depth=3
	s_or_b32 exec_lo, exec_lo, s31
.LBB4_6770:                             ;   in Loop: Header=BB4_6538 Depth=3
	s_delay_alu instid0(SALU_CYCLE_1) | instskip(NEXT) | instid1(SALU_CYCLE_1)
	s_or_b32 exec_lo, exec_lo, s17
	s_and_b32 vcc_lo, exec_lo, s16
	s_cbranch_vccz .LBB4_6780
; %bb.6771:                             ;   in Loop: Header=BB4_6538 Depth=3
	v_and_b32_e32 v161, 0xff, v22
	s_mov_b32 s13, 0
	s_mov_b32 s31, exec_lo
                                        ; implicit-def: $sgpr17
	s_delay_alu instid0(VALU_DEP_1)
	v_cmpx_lt_i16_e64 0x7f, v161
	s_xor_b32 s31, exec_lo, s31
	s_cbranch_execnz .LBB4_7592
; %bb.6772:                             ;   in Loop: Header=BB4_6538 Depth=3
	s_or_saveexec_b32 s31, s31
	v_mov_b32_e32 v21, s17
	s_xor_b32 exec_lo, exec_lo, s31
	s_cbranch_execnz .LBB4_7595
.LBB4_6773:                             ;   in Loop: Header=BB4_6538 Depth=3
	s_or_b32 exec_lo, exec_lo, s31
	s_and_saveexec_b32 s17, s13
	s_cbranch_execz .LBB4_6775
.LBB4_6774:                             ;   in Loop: Header=BB4_6538 Depth=3
	v_and_b32_e32 v21, 7, v22
	v_bfe_u32 v163, v22, 3, 4
	v_lshlrev_b32_e32 v164, 24, v22
	s_delay_alu instid0(VALU_DEP_3) | instskip(NEXT) | instid1(VALU_DEP_3)
	v_clz_i32_u32_e32 v161, v21
	v_cmp_eq_u32_e32 vcc_lo, 0, v163
	s_delay_alu instid0(VALU_DEP_2) | instskip(NEXT) | instid1(VALU_DEP_1)
	v_min_u32_e32 v161, 32, v161
	v_subrev_nc_u32_e32 v162, 28, v161
	v_sub_nc_u32_e32 v161, 29, v161
	s_delay_alu instid0(VALU_DEP_1) | instskip(NEXT) | instid1(VALU_DEP_1)
	v_dual_cndmask_b32 v161, v163, v161 :: v_dual_lshlrev_b32 v162, v162, v22
	v_and_b32_e32 v162, 7, v162
	s_delay_alu instid0(VALU_DEP_2) | instskip(NEXT) | instid1(VALU_DEP_2)
	v_lshl_add_u32 v161, v161, 23, 0x3b800000
	v_dual_cndmask_b32 v21, v21, v162 :: v_dual_and_b32 v162, 0x80000000, v164
	s_delay_alu instid0(VALU_DEP_1) | instskip(NEXT) | instid1(VALU_DEP_1)
	v_lshlrev_b32_e32 v21, 20, v21
	v_or3_b32 v21, v162, v161, v21
.LBB4_6775:                             ;   in Loop: Header=BB4_6538 Depth=3
	s_or_b32 exec_lo, exec_lo, s17
	v_and_b32_e32 v162, 0xff, v18
	s_mov_b32 s13, 0
	s_mov_b32 s31, exec_lo
                                        ; implicit-def: $sgpr17
	s_delay_alu instid0(VALU_DEP_1)
	v_cmpx_lt_i16_e64 0x7f, v162
	s_xor_b32 s31, exec_lo, s31
	s_cbranch_execnz .LBB4_7596
; %bb.6776:                             ;   in Loop: Header=BB4_6538 Depth=3
	s_or_saveexec_b32 s31, s31
	v_mov_b32_e32 v161, s17
	s_xor_b32 exec_lo, exec_lo, s31
	s_cbranch_execnz .LBB4_7599
.LBB4_6777:                             ;   in Loop: Header=BB4_6538 Depth=3
	s_or_b32 exec_lo, exec_lo, s31
	s_and_saveexec_b32 s17, s13
	s_cbranch_execz .LBB4_6779
.LBB4_6778:                             ;   in Loop: Header=BB4_6538 Depth=3
	v_and_b32_e32 v161, 7, v18
	v_bfe_u32 v164, v18, 3, 4
	v_lshlrev_b32_e32 v165, 24, v18
	s_delay_alu instid0(VALU_DEP_3) | instskip(NEXT) | instid1(VALU_DEP_3)
	v_clz_i32_u32_e32 v162, v161
	v_cmp_eq_u32_e32 vcc_lo, 0, v164
	s_delay_alu instid0(VALU_DEP_2) | instskip(NEXT) | instid1(VALU_DEP_1)
	v_min_u32_e32 v162, 32, v162
	v_subrev_nc_u32_e32 v163, 28, v162
	v_sub_nc_u32_e32 v162, 29, v162
	s_delay_alu instid0(VALU_DEP_2) | instskip(NEXT) | instid1(VALU_DEP_1)
	v_lshlrev_b32_e32 v163, v163, v18
	v_dual_cndmask_b32 v162, v164, v162 :: v_dual_and_b32 v163, 7, v163
	s_delay_alu instid0(VALU_DEP_1) | instskip(NEXT) | instid1(VALU_DEP_2)
	v_lshl_add_u32 v162, v162, 23, 0x3b800000
	v_cndmask_b32_e32 v161, v161, v163, vcc_lo
	v_and_b32_e32 v163, 0x80000000, v165
	s_delay_alu instid0(VALU_DEP_2) | instskip(NEXT) | instid1(VALU_DEP_1)
	v_lshlrev_b32_e32 v161, 20, v161
	v_or3_b32 v161, v163, v162, v161
.LBB4_6779:                             ;   in Loop: Header=BB4_6538 Depth=3
	s_or_b32 exec_lo, exec_lo, s17
	s_delay_alu instid0(VALU_DEP_1) | instskip(SKIP_2) | instid1(VALU_DEP_1)
	v_max_f32_e32 v161, v161, v161
	v_max_f32_e32 v21, v21, v21
	s_mov_b32 s13, 0
	v_max_f32_e32 v161, v21, v161
	s_branch .LBB4_6781
.LBB4_6780:                             ;   in Loop: Header=BB4_6538 Depth=3
	s_mov_b32 s13, -1
                                        ; implicit-def: $vgpr161
.LBB4_6781:                             ;   in Loop: Header=BB4_6538 Depth=3
	s_delay_alu instid0(SALU_CYCLE_1)
	s_and_b32 vcc_lo, exec_lo, s13
	s_cbranch_vccz .LBB4_6791
; %bb.6782:                             ;   in Loop: Header=BB4_6538 Depth=3
	v_and_b32_e32 v161, 0xff, v22
	s_mov_b32 s13, 0
	s_mov_b32 s31, exec_lo
                                        ; implicit-def: $sgpr17
	s_delay_alu instid0(VALU_DEP_1)
	v_cmpx_lt_i16_e64 0x7f, v161
	s_xor_b32 s31, exec_lo, s31
	s_cbranch_execnz .LBB4_7600
; %bb.6783:                             ;   in Loop: Header=BB4_6538 Depth=3
	s_or_saveexec_b32 s31, s31
	v_mov_b32_e32 v21, s17
	s_xor_b32 exec_lo, exec_lo, s31
	s_cbranch_execnz .LBB4_7603
.LBB4_6784:                             ;   in Loop: Header=BB4_6538 Depth=3
	s_or_b32 exec_lo, exec_lo, s31
	s_and_saveexec_b32 s17, s13
	s_cbranch_execz .LBB4_6786
.LBB4_6785:                             ;   in Loop: Header=BB4_6538 Depth=3
	v_and_b32_e32 v21, 7, v22
	v_bfe_u32 v163, v22, 3, 4
	v_lshlrev_b32_e32 v164, 24, v22
	s_delay_alu instid0(VALU_DEP_3) | instskip(NEXT) | instid1(VALU_DEP_3)
	v_clz_i32_u32_e32 v161, v21
	v_cmp_eq_u32_e32 vcc_lo, 0, v163
	s_delay_alu instid0(VALU_DEP_2) | instskip(NEXT) | instid1(VALU_DEP_1)
	v_min_u32_e32 v161, 32, v161
	v_subrev_nc_u32_e32 v162, 28, v161
	v_sub_nc_u32_e32 v161, 29, v161
	s_delay_alu instid0(VALU_DEP_1) | instskip(NEXT) | instid1(VALU_DEP_1)
	v_dual_cndmask_b32 v161, v163, v161 :: v_dual_lshlrev_b32 v162, v162, v22
	v_and_b32_e32 v162, 7, v162
	s_delay_alu instid0(VALU_DEP_2) | instskip(NEXT) | instid1(VALU_DEP_2)
	v_lshl_add_u32 v161, v161, 23, 0x3b800000
	v_dual_cndmask_b32 v21, v21, v162 :: v_dual_and_b32 v162, 0x80000000, v164
	s_delay_alu instid0(VALU_DEP_1) | instskip(NEXT) | instid1(VALU_DEP_1)
	v_lshlrev_b32_e32 v21, 20, v21
	v_or3_b32 v21, v162, v161, v21
.LBB4_6786:                             ;   in Loop: Header=BB4_6538 Depth=3
	s_or_b32 exec_lo, exec_lo, s17
	v_and_b32_e32 v162, 0xff, v18
	s_mov_b32 s13, 0
	s_mov_b32 s31, exec_lo
                                        ; implicit-def: $sgpr17
	s_delay_alu instid0(VALU_DEP_1)
	v_cmpx_lt_i16_e64 0x7f, v162
	s_xor_b32 s31, exec_lo, s31
	s_cbranch_execnz .LBB4_7604
; %bb.6787:                             ;   in Loop: Header=BB4_6538 Depth=3
	s_or_saveexec_b32 s31, s31
	v_mov_b32_e32 v161, s17
	s_xor_b32 exec_lo, exec_lo, s31
	s_cbranch_execnz .LBB4_7607
.LBB4_6788:                             ;   in Loop: Header=BB4_6538 Depth=3
	s_or_b32 exec_lo, exec_lo, s31
	s_and_saveexec_b32 s17, s13
	s_cbranch_execz .LBB4_6790
.LBB4_6789:                             ;   in Loop: Header=BB4_6538 Depth=3
	v_and_b32_e32 v161, 7, v18
	v_bfe_u32 v164, v18, 3, 4
	v_lshlrev_b32_e32 v165, 24, v18
	s_delay_alu instid0(VALU_DEP_3) | instskip(NEXT) | instid1(VALU_DEP_3)
	v_clz_i32_u32_e32 v162, v161
	v_cmp_eq_u32_e32 vcc_lo, 0, v164
	s_delay_alu instid0(VALU_DEP_2) | instskip(NEXT) | instid1(VALU_DEP_1)
	v_min_u32_e32 v162, 32, v162
	v_subrev_nc_u32_e32 v163, 28, v162
	v_sub_nc_u32_e32 v162, 29, v162
	s_delay_alu instid0(VALU_DEP_2) | instskip(NEXT) | instid1(VALU_DEP_1)
	v_lshlrev_b32_e32 v163, v163, v18
	v_dual_cndmask_b32 v162, v164, v162 :: v_dual_and_b32 v163, 7, v163
	s_delay_alu instid0(VALU_DEP_1) | instskip(NEXT) | instid1(VALU_DEP_2)
	v_lshl_add_u32 v162, v162, 23, 0x3b800000
	v_cndmask_b32_e32 v161, v161, v163, vcc_lo
	v_and_b32_e32 v163, 0x80000000, v165
	s_delay_alu instid0(VALU_DEP_2) | instskip(NEXT) | instid1(VALU_DEP_1)
	v_lshlrev_b32_e32 v161, 20, v161
	v_or3_b32 v161, v163, v162, v161
.LBB4_6790:                             ;   in Loop: Header=BB4_6538 Depth=3
	s_or_b32 exec_lo, exec_lo, s17
	s_delay_alu instid0(VALU_DEP_1) | instskip(SKIP_1) | instid1(VALU_DEP_1)
	v_max_f32_e32 v161, v161, v161
	v_max_f32_e32 v21, v21, v21
	v_min_f32_e32 v161, v21, v161
.LBB4_6791:                             ;   in Loop: Header=BB4_6538 Depth=3
	s_delay_alu instid0(VALU_DEP_1) | instskip(NEXT) | instid1(VALU_DEP_1)
	v_and_b32_e32 v21, 0x7f800000, v161
	v_cmp_ne_u32_e32 vcc_lo, 0x7f800000, v21
	v_mov_b32_e32 v21, 0x80
	s_and_saveexec_b32 s17, vcc_lo
	s_cbranch_execz .LBB4_6799
; %bb.6792:                             ;   in Loop: Header=BB4_6538 Depth=3
	v_mov_b32_e32 v21, 0
	s_mov_b32 s31, exec_lo
	v_cmpx_ne_u32_e32 0, v161
	s_cbranch_execz .LBB4_6798
; %bb.6793:                             ;   in Loop: Header=BB4_6538 Depth=3
	v_bfe_u32 v21, v161, 23, 8
	s_delay_alu instid0(VALU_DEP_1) | instskip(SKIP_1) | instid1(VALU_DEP_2)
	v_sub_nc_u32_e32 v163, 0x78, v21
	v_cmp_gt_u32_e32 vcc_lo, 0x79, v21
	v_dual_cndmask_b32 v163, 0, v163 :: v_dual_and_b32 v162, 0x7fffff, v161
	s_delay_alu instid0(VALU_DEP_1) | instskip(SKIP_2) | instid1(VALU_DEP_4)
	v_or_b32_e32 v164, 0x800000, v162
	v_cmp_eq_u32_e32 vcc_lo, 0, v21
	v_add_nc_u32_e32 v21, 0xffffff89, v21
	v_cndmask_b32_e64 v163, v163, 0x77, vcc_lo
	s_delay_alu instid0(VALU_DEP_4) | instskip(NEXT) | instid1(VALU_DEP_3)
	v_cndmask_b32_e32 v162, v164, v162, vcc_lo
	v_cndmask_b32_e64 v21, v21, 0xffffff8a, vcc_lo
	s_delay_alu instid0(VALU_DEP_3) | instskip(NEXT) | instid1(VALU_DEP_3)
	v_lshl_add_u32 v164, 0x100000, v163, -1
	v_lshrrev_b32_e32 v165, v163, v162
	v_lshlrev_b32_e64 v167, v163, 0x80000
	s_delay_alu instid0(VALU_DEP_4) | instskip(NEXT) | instid1(VALU_DEP_4)
	v_add_nc_u32_e32 v163, v163, v21
	v_and_b32_e32 v162, v164, v162
	s_delay_alu instid0(VALU_DEP_4) | instskip(NEXT) | instid1(VALU_DEP_2)
	v_bfe_u32 v166, v165, 20, 1
	v_cmp_eq_u32_e64 s13, v162, v167
	s_delay_alu instid0(VALU_DEP_2) | instskip(NEXT) | instid1(VALU_DEP_1)
	v_add_nc_u32_e32 v164, -1, v166
	v_cndmask_b32_e64 v162, 0, v164, s13
	v_lshrrev_b32_e32 v164, 23, v165
	s_mov_b32 s13, exec_lo
	s_delay_alu instid0(VALU_DEP_2) | instskip(NEXT) | instid1(VALU_DEP_2)
	v_add_nc_u32_e32 v162, v162, v165
	v_xor_b32_e32 v164, 1, v164
	s_delay_alu instid0(VALU_DEP_2) | instskip(NEXT) | instid1(VALU_DEP_1)
	v_and_b32_e32 v21, 0xfffff, v162
	v_add_nc_u32_e32 v162, v21, v165
                                        ; implicit-def: $vgpr21
	s_delay_alu instid0(VALU_DEP_3)
	v_cmpx_ne_u32_e64 v163, v164
	s_xor_b32 s13, exec_lo, s13
; %bb.6794:                             ;   in Loop: Header=BB4_6538 Depth=3
	s_delay_alu instid0(VALU_DEP_2) | instskip(SKIP_2) | instid1(VALU_DEP_2)
	v_cmp_lt_u32_e32 vcc_lo, 0xffffff, v162
	v_sub_nc_u32_e32 v21, v163, v164
	v_cndmask_b32_e64 v163, 0, 1, vcc_lo
	v_add_co_ci_u32_e32 v21, vcc_lo, 0, v21, vcc_lo
	s_delay_alu instid0(VALU_DEP_2)
	v_lshrrev_b32_e32 v162, v163, v162
; %bb.6795:                             ;   in Loop: Header=BB4_6538 Depth=3
	s_and_not1_saveexec_b32 s13, s13
; %bb.6796:                             ;   in Loop: Header=BB4_6538 Depth=3
	s_delay_alu instid0(VALU_DEP_1)
	v_bfe_u32 v21, v162, 23, 1
; %bb.6797:                             ;   in Loop: Header=BB4_6538 Depth=3
	s_or_b32 exec_lo, exec_lo, s13
	v_lshrrev_b32_e32 v162, 20, v162
	s_delay_alu instid0(VALU_DEP_2) | instskip(SKIP_2) | instid1(VALU_DEP_2)
	v_cmp_gt_i32_e32 vcc_lo, 16, v21
	v_lshrrev_b32_e32 v161, 24, v161
	v_min_i32_e32 v163, 15, v21
	v_dual_cndmask_b32 v162, 7, v162 :: v_dual_and_b32 v161, 0x80, v161
	s_delay_alu instid0(VALU_DEP_2) | instskip(NEXT) | instid1(VALU_DEP_2)
	v_lshlrev_b32_e32 v163, 3, v163
	v_or_b32_e32 v21, v21, v162
	s_delay_alu instid0(VALU_DEP_1) | instskip(SKIP_1) | instid1(VALU_DEP_1)
	v_cmp_ne_u32_e32 vcc_lo, 0, v21
	v_and_b32_e32 v164, 7, v162
	v_or3_b32 v161, v163, v161, v164
	s_delay_alu instid0(VALU_DEP_1)
	v_cndmask_b32_e32 v21, 0, v161, vcc_lo
.LBB4_6798:                             ;   in Loop: Header=BB4_6538 Depth=3
	s_or_b32 exec_lo, exec_lo, s31
.LBB4_6799:                             ;   in Loop: Header=BB4_6538 Depth=3
	s_delay_alu instid0(SALU_CYCLE_1)
	s_or_b32 exec_lo, exec_lo, s17
	v_lshrrev_b16 v162, 8, v22
	v_lshrrev_b16 v161, 8, v18
	s_and_b32 vcc_lo, exec_lo, s16
	s_cbranch_vccz .LBB4_6809
; %bb.6800:                             ;   in Loop: Header=BB4_6538 Depth=3
	s_mov_b32 s13, 0
	s_mov_b32 s31, exec_lo
                                        ; implicit-def: $sgpr17
	v_cmpx_lt_i16_e64 0x7f, v162
	s_xor_b32 s31, exec_lo, s31
	s_cbranch_execnz .LBB4_7608
; %bb.6801:                             ;   in Loop: Header=BB4_6538 Depth=3
	s_or_saveexec_b32 s31, s31
	v_mov_b32_e32 v163, s17
	s_xor_b32 exec_lo, exec_lo, s31
	s_cbranch_execnz .LBB4_7611
.LBB4_6802:                             ;   in Loop: Header=BB4_6538 Depth=3
	s_or_b32 exec_lo, exec_lo, s31
	s_and_saveexec_b32 s17, s13
	s_cbranch_execz .LBB4_6804
.LBB4_6803:                             ;   in Loop: Header=BB4_6538 Depth=3
	v_and_b32_e32 v163, 0xffff, v162
	v_lshlrev_b32_e32 v167, 16, v22
	s_delay_alu instid0(VALU_DEP_2) | instskip(NEXT) | instid1(VALU_DEP_1)
	v_and_b32_e32 v164, 7, v163
	v_clz_i32_u32_e32 v165, v164
	s_delay_alu instid0(VALU_DEP_1) | instskip(NEXT) | instid1(VALU_DEP_1)
	v_min_u32_e32 v165, 32, v165
	v_subrev_nc_u32_e32 v166, 28, v165
	v_sub_nc_u32_e32 v165, 29, v165
	s_delay_alu instid0(VALU_DEP_2) | instskip(SKIP_1) | instid1(VALU_DEP_2)
	v_lshlrev_b32_e32 v166, v166, v163
	v_bfe_u32 v163, v163, 3, 4
	v_and_b32_e32 v166, 7, v166
	s_delay_alu instid0(VALU_DEP_2) | instskip(NEXT) | instid1(VALU_DEP_2)
	v_cmp_eq_u32_e32 vcc_lo, 0, v163
	v_dual_cndmask_b32 v163, v163, v165 :: v_dual_cndmask_b32 v164, v164, v166
	v_and_b32_e32 v165, 0x80000000, v167
	s_delay_alu instid0(VALU_DEP_2) | instskip(NEXT) | instid1(VALU_DEP_3)
	v_lshl_add_u32 v163, v163, 23, 0x3b800000
	v_lshlrev_b32_e32 v164, 20, v164
	s_delay_alu instid0(VALU_DEP_1)
	v_or3_b32 v163, v165, v163, v164
.LBB4_6804:                             ;   in Loop: Header=BB4_6538 Depth=3
	s_or_b32 exec_lo, exec_lo, s17
	s_mov_b32 s13, 0
	s_mov_b32 s31, exec_lo
                                        ; implicit-def: $sgpr17
	v_cmpx_lt_i16_e64 0x7f, v161
	s_xor_b32 s31, exec_lo, s31
	s_cbranch_execnz .LBB4_7612
; %bb.6805:                             ;   in Loop: Header=BB4_6538 Depth=3
	s_or_saveexec_b32 s31, s31
	v_mov_b32_e32 v164, s17
	s_xor_b32 exec_lo, exec_lo, s31
	s_cbranch_execnz .LBB4_7615
.LBB4_6806:                             ;   in Loop: Header=BB4_6538 Depth=3
	s_or_b32 exec_lo, exec_lo, s31
	s_and_saveexec_b32 s17, s13
	s_cbranch_execz .LBB4_6808
.LBB4_6807:                             ;   in Loop: Header=BB4_6538 Depth=3
	v_and_b32_e32 v164, 0xffff, v161
	v_lshlrev_b32_e32 v176, 16, v18
	s_delay_alu instid0(VALU_DEP_2) | instskip(NEXT) | instid1(VALU_DEP_1)
	v_and_b32_e32 v165, 7, v164
	v_clz_i32_u32_e32 v166, v165
	s_delay_alu instid0(VALU_DEP_1) | instskip(NEXT) | instid1(VALU_DEP_1)
	v_min_u32_e32 v166, 32, v166
	v_subrev_nc_u32_e32 v167, 28, v166
	v_sub_nc_u32_e32 v166, 29, v166
	s_delay_alu instid0(VALU_DEP_2) | instskip(SKIP_1) | instid1(VALU_DEP_2)
	v_lshlrev_b32_e32 v167, v167, v164
	v_bfe_u32 v164, v164, 3, 4
	v_and_b32_e32 v167, 7, v167
	s_delay_alu instid0(VALU_DEP_2) | instskip(NEXT) | instid1(VALU_DEP_2)
	v_cmp_eq_u32_e32 vcc_lo, 0, v164
	v_dual_cndmask_b32 v164, v164, v166 :: v_dual_cndmask_b32 v165, v165, v167
	v_and_b32_e32 v166, 0x80000000, v176
	s_delay_alu instid0(VALU_DEP_2) | instskip(NEXT) | instid1(VALU_DEP_3)
	v_lshl_add_u32 v164, v164, 23, 0x3b800000
	v_lshlrev_b32_e32 v165, 20, v165
	s_delay_alu instid0(VALU_DEP_1)
	v_or3_b32 v164, v166, v164, v165
.LBB4_6808:                             ;   in Loop: Header=BB4_6538 Depth=3
	s_or_b32 exec_lo, exec_lo, s17
	s_delay_alu instid0(VALU_DEP_1) | instskip(SKIP_1) | instid1(VALU_DEP_1)
	v_dual_max_f32 v164, v164, v164 :: v_dual_max_f32 v163, v163, v163
	s_mov_b32 s13, 0
	v_max_f32_e32 v163, v163, v164
	s_branch .LBB4_6810
.LBB4_6809:                             ;   in Loop: Header=BB4_6538 Depth=3
	s_mov_b32 s13, -1
                                        ; implicit-def: $vgpr163
.LBB4_6810:                             ;   in Loop: Header=BB4_6538 Depth=3
	s_delay_alu instid0(SALU_CYCLE_1)
	s_and_b32 vcc_lo, exec_lo, s13
	s_cbranch_vccz .LBB4_6820
; %bb.6811:                             ;   in Loop: Header=BB4_6538 Depth=3
	s_mov_b32 s13, 0
	s_mov_b32 s31, exec_lo
                                        ; implicit-def: $sgpr17
	v_cmpx_lt_i16_e64 0x7f, v162
	s_xor_b32 s31, exec_lo, s31
	s_cbranch_execnz .LBB4_7616
; %bb.6812:                             ;   in Loop: Header=BB4_6538 Depth=3
	s_or_saveexec_b32 s31, s31
	v_mov_b32_e32 v163, s17
	s_xor_b32 exec_lo, exec_lo, s31
	s_cbranch_execnz .LBB4_7619
.LBB4_6813:                             ;   in Loop: Header=BB4_6538 Depth=3
	s_or_b32 exec_lo, exec_lo, s31
	s_and_saveexec_b32 s17, s13
	s_cbranch_execz .LBB4_6815
.LBB4_6814:                             ;   in Loop: Header=BB4_6538 Depth=3
	v_and_b32_e32 v162, 0xffff, v162
	v_lshlrev_b32_e32 v166, 16, v22
	s_delay_alu instid0(VALU_DEP_2) | instskip(NEXT) | instid1(VALU_DEP_1)
	v_and_b32_e32 v163, 7, v162
	v_clz_i32_u32_e32 v164, v163
	s_delay_alu instid0(VALU_DEP_1) | instskip(NEXT) | instid1(VALU_DEP_1)
	v_min_u32_e32 v164, 32, v164
	v_subrev_nc_u32_e32 v165, 28, v164
	v_sub_nc_u32_e32 v164, 29, v164
	s_delay_alu instid0(VALU_DEP_2) | instskip(SKIP_1) | instid1(VALU_DEP_2)
	v_lshlrev_b32_e32 v165, v165, v162
	v_bfe_u32 v162, v162, 3, 4
	v_and_b32_e32 v165, 7, v165
	s_delay_alu instid0(VALU_DEP_2) | instskip(NEXT) | instid1(VALU_DEP_2)
	v_cmp_eq_u32_e32 vcc_lo, 0, v162
	v_dual_cndmask_b32 v162, v162, v164 :: v_dual_cndmask_b32 v163, v163, v165
	v_and_b32_e32 v164, 0x80000000, v166
	s_delay_alu instid0(VALU_DEP_2) | instskip(NEXT) | instid1(VALU_DEP_3)
	v_lshl_add_u32 v162, v162, 23, 0x3b800000
	v_lshlrev_b32_e32 v163, 20, v163
	s_delay_alu instid0(VALU_DEP_1)
	v_or3_b32 v163, v164, v162, v163
.LBB4_6815:                             ;   in Loop: Header=BB4_6538 Depth=3
	s_or_b32 exec_lo, exec_lo, s17
	s_mov_b32 s13, 0
	s_mov_b32 s31, exec_lo
                                        ; implicit-def: $sgpr17
	v_cmpx_lt_i16_e64 0x7f, v161
	s_xor_b32 s31, exec_lo, s31
	s_cbranch_execnz .LBB4_7620
; %bb.6816:                             ;   in Loop: Header=BB4_6538 Depth=3
	s_or_saveexec_b32 s31, s31
	v_mov_b32_e32 v162, s17
	s_xor_b32 exec_lo, exec_lo, s31
	s_cbranch_execnz .LBB4_7623
.LBB4_6817:                             ;   in Loop: Header=BB4_6538 Depth=3
	s_or_b32 exec_lo, exec_lo, s31
	s_and_saveexec_b32 s17, s13
	s_cbranch_execz .LBB4_6819
.LBB4_6818:                             ;   in Loop: Header=BB4_6538 Depth=3
	v_and_b32_e32 v161, 0xffff, v161
	v_lshlrev_b32_e32 v166, 16, v18
	s_delay_alu instid0(VALU_DEP_2) | instskip(NEXT) | instid1(VALU_DEP_1)
	v_and_b32_e32 v162, 7, v161
	v_clz_i32_u32_e32 v164, v162
	s_delay_alu instid0(VALU_DEP_1) | instskip(NEXT) | instid1(VALU_DEP_1)
	v_min_u32_e32 v164, 32, v164
	v_subrev_nc_u32_e32 v165, 28, v164
	v_sub_nc_u32_e32 v164, 29, v164
	s_delay_alu instid0(VALU_DEP_2) | instskip(SKIP_1) | instid1(VALU_DEP_2)
	v_lshlrev_b32_e32 v165, v165, v161
	v_bfe_u32 v161, v161, 3, 4
	v_and_b32_e32 v165, 7, v165
	s_delay_alu instid0(VALU_DEP_2) | instskip(NEXT) | instid1(VALU_DEP_2)
	v_cmp_eq_u32_e32 vcc_lo, 0, v161
	v_dual_cndmask_b32 v161, v161, v164 :: v_dual_cndmask_b32 v162, v162, v165
	v_and_b32_e32 v164, 0x80000000, v166
	s_delay_alu instid0(VALU_DEP_2) | instskip(NEXT) | instid1(VALU_DEP_3)
	v_lshl_add_u32 v161, v161, 23, 0x3b800000
	v_lshlrev_b32_e32 v162, 20, v162
	s_delay_alu instid0(VALU_DEP_1)
	v_or3_b32 v162, v164, v161, v162
.LBB4_6819:                             ;   in Loop: Header=BB4_6538 Depth=3
	s_or_b32 exec_lo, exec_lo, s17
	s_delay_alu instid0(VALU_DEP_1) | instskip(NEXT) | instid1(VALU_DEP_1)
	v_dual_max_f32 v161, v162, v162 :: v_dual_max_f32 v162, v163, v163
	v_min_f32_e32 v163, v162, v161
.LBB4_6820:                             ;   in Loop: Header=BB4_6538 Depth=3
	s_delay_alu instid0(VALU_DEP_1) | instskip(NEXT) | instid1(VALU_DEP_1)
	v_and_b32_e32 v161, 0x7f800000, v163
	v_cmp_ne_u32_e32 vcc_lo, 0x7f800000, v161
	v_mov_b32_e32 v161, 0x80
	s_and_saveexec_b32 s17, vcc_lo
	s_cbranch_execz .LBB4_6828
; %bb.6821:                             ;   in Loop: Header=BB4_6538 Depth=3
	v_mov_b32_e32 v161, 0
	s_mov_b32 s31, exec_lo
	v_cmpx_ne_u32_e32 0, v163
	s_cbranch_execz .LBB4_6827
; %bb.6822:                             ;   in Loop: Header=BB4_6538 Depth=3
	v_bfe_u32 v161, v163, 23, 8
	v_and_b32_e32 v162, 0x7fffff, v163
	s_delay_alu instid0(VALU_DEP_2) | instskip(SKIP_1) | instid1(VALU_DEP_3)
	v_sub_nc_u32_e32 v164, 0x78, v161
	v_cmp_gt_u32_e32 vcc_lo, 0x79, v161
	v_or_b32_e32 v165, 0x800000, v162
	s_delay_alu instid0(VALU_DEP_3) | instskip(SKIP_2) | instid1(VALU_DEP_3)
	v_cndmask_b32_e32 v164, 0, v164, vcc_lo
	v_cmp_eq_u32_e32 vcc_lo, 0, v161
	v_add_nc_u32_e32 v161, 0xffffff89, v161
	v_cndmask_b32_e64 v164, v164, 0x77, vcc_lo
	v_cndmask_b32_e32 v162, v165, v162, vcc_lo
	s_delay_alu instid0(VALU_DEP_3) | instskip(NEXT) | instid1(VALU_DEP_3)
	v_cndmask_b32_e64 v161, v161, 0xffffff8a, vcc_lo
	v_lshl_add_u32 v165, 0x100000, v164, -1
	s_delay_alu instid0(VALU_DEP_3) | instskip(SKIP_1) | instid1(VALU_DEP_4)
	v_lshrrev_b32_e32 v166, v164, v162
	v_lshlrev_b32_e64 v176, v164, 0x80000
	v_add_nc_u32_e32 v164, v164, v161
	s_delay_alu instid0(VALU_DEP_4) | instskip(NEXT) | instid1(VALU_DEP_4)
	v_and_b32_e32 v162, v165, v162
	v_bfe_u32 v167, v166, 20, 1
	s_delay_alu instid0(VALU_DEP_2) | instskip(NEXT) | instid1(VALU_DEP_2)
	v_cmp_eq_u32_e64 s13, v162, v176
	v_add_nc_u32_e32 v165, -1, v167
	s_delay_alu instid0(VALU_DEP_1) | instskip(SKIP_2) | instid1(VALU_DEP_2)
	v_cndmask_b32_e64 v162, 0, v165, s13
	v_lshrrev_b32_e32 v165, 23, v166
	s_mov_b32 s13, exec_lo
	v_add_nc_u32_e32 v162, v162, v166
	s_delay_alu instid0(VALU_DEP_2) | instskip(NEXT) | instid1(VALU_DEP_2)
	v_xor_b32_e32 v165, 1, v165
	v_and_b32_e32 v161, 0xfffff, v162
	s_delay_alu instid0(VALU_DEP_1) | instskip(NEXT) | instid1(VALU_DEP_3)
	v_add_nc_u32_e32 v162, v161, v166
                                        ; implicit-def: $vgpr161
	v_cmpx_ne_u32_e64 v164, v165
	s_xor_b32 s13, exec_lo, s13
; %bb.6823:                             ;   in Loop: Header=BB4_6538 Depth=3
	s_delay_alu instid0(VALU_DEP_2) | instskip(SKIP_2) | instid1(VALU_DEP_2)
	v_cmp_lt_u32_e32 vcc_lo, 0xffffff, v162
	v_sub_nc_u32_e32 v161, v164, v165
	v_cndmask_b32_e64 v164, 0, 1, vcc_lo
	v_add_co_ci_u32_e32 v161, vcc_lo, 0, v161, vcc_lo
	s_delay_alu instid0(VALU_DEP_2)
	v_lshrrev_b32_e32 v162, v164, v162
; %bb.6824:                             ;   in Loop: Header=BB4_6538 Depth=3
	s_and_not1_saveexec_b32 s13, s13
; %bb.6825:                             ;   in Loop: Header=BB4_6538 Depth=3
	s_delay_alu instid0(VALU_DEP_1)
	v_bfe_u32 v161, v162, 23, 1
; %bb.6826:                             ;   in Loop: Header=BB4_6538 Depth=3
	s_or_b32 exec_lo, exec_lo, s13
	v_lshrrev_b32_e32 v162, 20, v162
	s_delay_alu instid0(VALU_DEP_2) | instskip(SKIP_2) | instid1(VALU_DEP_2)
	v_cmp_gt_i32_e32 vcc_lo, 16, v161
	v_lshrrev_b32_e32 v163, 24, v163
	v_min_i32_e32 v164, 15, v161
	v_dual_cndmask_b32 v162, 7, v162 :: v_dual_and_b32 v163, 0x80, v163
	s_delay_alu instid0(VALU_DEP_1) | instskip(SKIP_1) | instid1(VALU_DEP_2)
	v_or_b32_e32 v161, v161, v162
	v_and_b32_e32 v165, 7, v162
	v_cmp_ne_u32_e32 vcc_lo, 0, v161
	v_lshlrev_b32_e32 v164, 3, v164
	s_delay_alu instid0(VALU_DEP_1) | instskip(NEXT) | instid1(VALU_DEP_1)
	v_or3_b32 v162, v164, v163, v165
	v_cndmask_b32_e32 v161, 0, v162, vcc_lo
.LBB4_6827:                             ;   in Loop: Header=BB4_6538 Depth=3
	s_or_b32 exec_lo, exec_lo, s31
.LBB4_6828:                             ;   in Loop: Header=BB4_6538 Depth=3
	s_delay_alu instid0(SALU_CYCLE_1)
	s_or_b32 exec_lo, exec_lo, s17
	v_lshrrev_b32_e32 v163, 16, v22
	v_lshrrev_b32_e32 v162, 16, v18
	s_and_b32 vcc_lo, exec_lo, s16
	s_cbranch_vccz .LBB4_6838
; %bb.6829:                             ;   in Loop: Header=BB4_6538 Depth=3
	s_delay_alu instid0(VALU_DEP_2) | instskip(SKIP_2) | instid1(VALU_DEP_1)
	v_and_b32_e32 v165, 0xff, v163
	s_mov_b32 s13, 0
	s_mov_b32 s31, exec_lo
                                        ; implicit-def: $sgpr17
	v_cmpx_lt_i16_e64 0x7f, v165
	s_xor_b32 s31, exec_lo, s31
	s_cbranch_execnz .LBB4_7624
; %bb.6830:                             ;   in Loop: Header=BB4_6538 Depth=3
	s_or_saveexec_b32 s31, s31
	v_mov_b32_e32 v164, s17
	s_xor_b32 exec_lo, exec_lo, s31
	s_cbranch_execnz .LBB4_7627
.LBB4_6831:                             ;   in Loop: Header=BB4_6538 Depth=3
	s_or_b32 exec_lo, exec_lo, s31
	s_and_saveexec_b32 s17, s13
	s_cbranch_execz .LBB4_6833
.LBB4_6832:                             ;   in Loop: Header=BB4_6538 Depth=3
	v_bfe_u32 v164, v22, 16, 3
	v_bfe_u32 v167, v22, 19, 4
	v_lshlrev_b32_e32 v176, 24, v163
	s_delay_alu instid0(VALU_DEP_3) | instskip(NEXT) | instid1(VALU_DEP_3)
	v_clz_i32_u32_e32 v165, v164
	v_cmp_eq_u32_e32 vcc_lo, 0, v167
	s_delay_alu instid0(VALU_DEP_2) | instskip(NEXT) | instid1(VALU_DEP_1)
	v_min_u32_e32 v165, 32, v165
	v_subrev_nc_u32_e32 v166, 28, v165
	v_sub_nc_u32_e32 v165, 29, v165
	s_delay_alu instid0(VALU_DEP_1) | instskip(NEXT) | instid1(VALU_DEP_1)
	v_dual_cndmask_b32 v165, v167, v165 :: v_dual_lshlrev_b32 v166, v166, v163
	v_and_b32_e32 v166, 7, v166
	s_delay_alu instid0(VALU_DEP_2) | instskip(NEXT) | instid1(VALU_DEP_2)
	v_lshl_add_u32 v165, v165, 23, 0x3b800000
	v_cndmask_b32_e32 v164, v164, v166, vcc_lo
	v_and_b32_e32 v166, 0x80000000, v176
	s_delay_alu instid0(VALU_DEP_2) | instskip(NEXT) | instid1(VALU_DEP_1)
	v_lshlrev_b32_e32 v164, 20, v164
	v_or3_b32 v164, v166, v165, v164
.LBB4_6833:                             ;   in Loop: Header=BB4_6538 Depth=3
	s_or_b32 exec_lo, exec_lo, s17
	v_and_b32_e32 v166, 0xff, v162
	s_mov_b32 s13, 0
	s_mov_b32 s31, exec_lo
                                        ; implicit-def: $sgpr17
	s_delay_alu instid0(VALU_DEP_1)
	v_cmpx_lt_i16_e64 0x7f, v166
	s_xor_b32 s31, exec_lo, s31
	s_cbranch_execnz .LBB4_7628
; %bb.6834:                             ;   in Loop: Header=BB4_6538 Depth=3
	s_or_saveexec_b32 s31, s31
	v_mov_b32_e32 v165, s17
	s_xor_b32 exec_lo, exec_lo, s31
	s_cbranch_execnz .LBB4_7631
.LBB4_6835:                             ;   in Loop: Header=BB4_6538 Depth=3
	s_or_b32 exec_lo, exec_lo, s31
	s_and_saveexec_b32 s17, s13
	s_cbranch_execz .LBB4_6837
.LBB4_6836:                             ;   in Loop: Header=BB4_6538 Depth=3
	v_bfe_u32 v165, v18, 16, 3
	v_bfe_u32 v176, v18, 19, 4
	v_lshlrev_b32_e32 v177, 24, v162
	s_delay_alu instid0(VALU_DEP_3) | instskip(NEXT) | instid1(VALU_DEP_3)
	v_clz_i32_u32_e32 v166, v165
	v_cmp_eq_u32_e32 vcc_lo, 0, v176
	s_delay_alu instid0(VALU_DEP_2) | instskip(NEXT) | instid1(VALU_DEP_1)
	v_min_u32_e32 v166, 32, v166
	v_subrev_nc_u32_e32 v167, 28, v166
	v_sub_nc_u32_e32 v166, 29, v166
	s_delay_alu instid0(VALU_DEP_2) | instskip(NEXT) | instid1(VALU_DEP_1)
	v_lshlrev_b32_e32 v167, v167, v162
	v_dual_cndmask_b32 v166, v176, v166 :: v_dual_and_b32 v167, 7, v167
	s_delay_alu instid0(VALU_DEP_1) | instskip(NEXT) | instid1(VALU_DEP_2)
	v_lshl_add_u32 v166, v166, 23, 0x3b800000
	v_cndmask_b32_e32 v165, v165, v167, vcc_lo
	v_and_b32_e32 v167, 0x80000000, v177
	s_delay_alu instid0(VALU_DEP_2) | instskip(NEXT) | instid1(VALU_DEP_1)
	v_lshlrev_b32_e32 v165, 20, v165
	v_or3_b32 v165, v167, v166, v165
.LBB4_6837:                             ;   in Loop: Header=BB4_6538 Depth=3
	s_or_b32 exec_lo, exec_lo, s17
	s_delay_alu instid0(VALU_DEP_1) | instskip(SKIP_1) | instid1(VALU_DEP_1)
	v_dual_max_f32 v165, v165, v165 :: v_dual_max_f32 v164, v164, v164
	s_mov_b32 s13, 0
	v_max_f32_e32 v164, v164, v165
	s_branch .LBB4_6839
.LBB4_6838:                             ;   in Loop: Header=BB4_6538 Depth=3
	s_mov_b32 s13, -1
                                        ; implicit-def: $vgpr164
.LBB4_6839:                             ;   in Loop: Header=BB4_6538 Depth=3
	s_delay_alu instid0(SALU_CYCLE_1)
	s_and_b32 vcc_lo, exec_lo, s13
	s_cbranch_vccz .LBB4_6849
; %bb.6840:                             ;   in Loop: Header=BB4_6538 Depth=3
	v_and_b32_e32 v165, 0xff, v163
	s_mov_b32 s13, 0
	s_mov_b32 s31, exec_lo
                                        ; implicit-def: $sgpr17
	s_delay_alu instid0(VALU_DEP_1)
	v_cmpx_lt_i16_e64 0x7f, v165
	s_xor_b32 s31, exec_lo, s31
	s_cbranch_execnz .LBB4_7632
; %bb.6841:                             ;   in Loop: Header=BB4_6538 Depth=3
	s_or_saveexec_b32 s31, s31
	v_mov_b32_e32 v164, s17
	s_xor_b32 exec_lo, exec_lo, s31
	s_cbranch_execnz .LBB4_7635
.LBB4_6842:                             ;   in Loop: Header=BB4_6538 Depth=3
	s_or_b32 exec_lo, exec_lo, s31
	s_and_saveexec_b32 s17, s13
	s_cbranch_execz .LBB4_6844
.LBB4_6843:                             ;   in Loop: Header=BB4_6538 Depth=3
	v_bfe_u32 v164, v22, 16, 3
	v_bfe_u32 v167, v22, 19, 4
	s_delay_alu instid0(VALU_DEP_2) | instskip(NEXT) | instid1(VALU_DEP_2)
	v_clz_i32_u32_e32 v165, v164
	v_cmp_eq_u32_e32 vcc_lo, 0, v167
	s_delay_alu instid0(VALU_DEP_2) | instskip(NEXT) | instid1(VALU_DEP_1)
	v_min_u32_e32 v165, 32, v165
	v_subrev_nc_u32_e32 v166, 28, v165
	v_sub_nc_u32_e32 v165, 29, v165
	s_delay_alu instid0(VALU_DEP_1) | instskip(NEXT) | instid1(VALU_DEP_1)
	v_dual_cndmask_b32 v165, v167, v165 :: v_dual_lshlrev_b32 v166, v166, v163
	v_and_b32_e32 v166, 7, v166
	v_lshlrev_b32_e32 v163, 24, v163
	s_delay_alu instid0(VALU_DEP_3) | instskip(NEXT) | instid1(VALU_DEP_2)
	v_lshl_add_u32 v165, v165, 23, 0x3b800000
	v_dual_cndmask_b32 v164, v164, v166 :: v_dual_and_b32 v163, 0x80000000, v163
	s_delay_alu instid0(VALU_DEP_1) | instskip(NEXT) | instid1(VALU_DEP_1)
	v_lshlrev_b32_e32 v164, 20, v164
	v_or3_b32 v164, v163, v165, v164
.LBB4_6844:                             ;   in Loop: Header=BB4_6538 Depth=3
	s_or_b32 exec_lo, exec_lo, s17
	v_and_b32_e32 v165, 0xff, v162
	s_mov_b32 s13, 0
	s_mov_b32 s31, exec_lo
                                        ; implicit-def: $sgpr17
	s_delay_alu instid0(VALU_DEP_1)
	v_cmpx_lt_i16_e64 0x7f, v165
	s_xor_b32 s31, exec_lo, s31
	s_cbranch_execnz .LBB4_7636
; %bb.6845:                             ;   in Loop: Header=BB4_6538 Depth=3
	s_or_saveexec_b32 s31, s31
	v_mov_b32_e32 v163, s17
	s_xor_b32 exec_lo, exec_lo, s31
	s_cbranch_execnz .LBB4_7639
.LBB4_6846:                             ;   in Loop: Header=BB4_6538 Depth=3
	s_or_b32 exec_lo, exec_lo, s31
	s_and_saveexec_b32 s17, s13
	s_cbranch_execz .LBB4_6848
.LBB4_6847:                             ;   in Loop: Header=BB4_6538 Depth=3
	v_bfe_u32 v163, v18, 16, 3
	v_bfe_u32 v167, v18, 19, 4
	s_delay_alu instid0(VALU_DEP_2) | instskip(NEXT) | instid1(VALU_DEP_2)
	v_clz_i32_u32_e32 v165, v163
	v_cmp_eq_u32_e32 vcc_lo, 0, v167
	s_delay_alu instid0(VALU_DEP_2) | instskip(NEXT) | instid1(VALU_DEP_1)
	v_min_u32_e32 v165, 32, v165
	v_subrev_nc_u32_e32 v166, 28, v165
	v_sub_nc_u32_e32 v165, 29, v165
	s_delay_alu instid0(VALU_DEP_1) | instskip(SKIP_1) | instid1(VALU_DEP_2)
	v_dual_cndmask_b32 v165, v167, v165 :: v_dual_lshlrev_b32 v166, v166, v162
	v_lshlrev_b32_e32 v162, 24, v162
	v_and_b32_e32 v166, 7, v166
	s_delay_alu instid0(VALU_DEP_3) | instskip(NEXT) | instid1(VALU_DEP_3)
	v_lshl_add_u32 v165, v165, 23, 0x3b800000
	v_and_b32_e32 v162, 0x80000000, v162
	s_delay_alu instid0(VALU_DEP_3) | instskip(NEXT) | instid1(VALU_DEP_1)
	v_cndmask_b32_e32 v163, v163, v166, vcc_lo
	v_lshlrev_b32_e32 v163, 20, v163
	s_delay_alu instid0(VALU_DEP_1)
	v_or3_b32 v163, v162, v165, v163
.LBB4_6848:                             ;   in Loop: Header=BB4_6538 Depth=3
	s_or_b32 exec_lo, exec_lo, s17
	s_delay_alu instid0(VALU_DEP_1) | instskip(NEXT) | instid1(VALU_DEP_1)
	v_dual_max_f32 v162, v163, v163 :: v_dual_max_f32 v163, v164, v164
	v_min_f32_e32 v164, v163, v162
.LBB4_6849:                             ;   in Loop: Header=BB4_6538 Depth=3
	s_delay_alu instid0(VALU_DEP_1) | instskip(NEXT) | instid1(VALU_DEP_1)
	v_and_b32_e32 v162, 0x7f800000, v164
	v_cmp_ne_u32_e32 vcc_lo, 0x7f800000, v162
	v_mov_b32_e32 v162, 0x80
	s_and_saveexec_b32 s17, vcc_lo
	s_cbranch_execz .LBB4_6857
; %bb.6850:                             ;   in Loop: Header=BB4_6538 Depth=3
	v_mov_b32_e32 v162, 0
	s_mov_b32 s31, exec_lo
	v_cmpx_ne_u32_e32 0, v164
	s_cbranch_execz .LBB4_6856
; %bb.6851:                             ;   in Loop: Header=BB4_6538 Depth=3
	v_bfe_u32 v162, v164, 23, 8
	v_and_b32_e32 v163, 0x7fffff, v164
	s_delay_alu instid0(VALU_DEP_2) | instskip(SKIP_1) | instid1(VALU_DEP_3)
	v_sub_nc_u32_e32 v165, 0x78, v162
	v_cmp_gt_u32_e32 vcc_lo, 0x79, v162
	v_or_b32_e32 v166, 0x800000, v163
	s_delay_alu instid0(VALU_DEP_3) | instskip(SKIP_2) | instid1(VALU_DEP_3)
	v_cndmask_b32_e32 v165, 0, v165, vcc_lo
	v_cmp_eq_u32_e32 vcc_lo, 0, v162
	v_add_nc_u32_e32 v162, 0xffffff89, v162
	v_cndmask_b32_e64 v165, v165, 0x77, vcc_lo
	v_cndmask_b32_e32 v163, v166, v163, vcc_lo
	s_delay_alu instid0(VALU_DEP_3) | instskip(NEXT) | instid1(VALU_DEP_3)
	v_cndmask_b32_e64 v162, v162, 0xffffff8a, vcc_lo
	v_lshl_add_u32 v166, 0x100000, v165, -1
	s_delay_alu instid0(VALU_DEP_3) | instskip(SKIP_1) | instid1(VALU_DEP_4)
	v_lshrrev_b32_e32 v167, v165, v163
	v_lshlrev_b32_e64 v177, v165, 0x80000
	v_add_nc_u32_e32 v165, v165, v162
	s_delay_alu instid0(VALU_DEP_4) | instskip(NEXT) | instid1(VALU_DEP_4)
	v_and_b32_e32 v163, v166, v163
	v_bfe_u32 v176, v167, 20, 1
	s_delay_alu instid0(VALU_DEP_2) | instskip(NEXT) | instid1(VALU_DEP_2)
	v_cmp_eq_u32_e64 s13, v163, v177
	v_add_nc_u32_e32 v166, -1, v176
	s_delay_alu instid0(VALU_DEP_1) | instskip(SKIP_2) | instid1(VALU_DEP_2)
	v_cndmask_b32_e64 v163, 0, v166, s13
	v_lshrrev_b32_e32 v166, 23, v167
	s_mov_b32 s13, exec_lo
	v_add_nc_u32_e32 v163, v163, v167
	s_delay_alu instid0(VALU_DEP_2) | instskip(NEXT) | instid1(VALU_DEP_2)
	v_xor_b32_e32 v166, 1, v166
	v_and_b32_e32 v162, 0xfffff, v163
	s_delay_alu instid0(VALU_DEP_1) | instskip(NEXT) | instid1(VALU_DEP_3)
	v_add_nc_u32_e32 v163, v162, v167
                                        ; implicit-def: $vgpr162
	v_cmpx_ne_u32_e64 v165, v166
	s_xor_b32 s13, exec_lo, s13
; %bb.6852:                             ;   in Loop: Header=BB4_6538 Depth=3
	s_delay_alu instid0(VALU_DEP_2) | instskip(SKIP_2) | instid1(VALU_DEP_2)
	v_cmp_lt_u32_e32 vcc_lo, 0xffffff, v163
	v_sub_nc_u32_e32 v162, v165, v166
	v_cndmask_b32_e64 v165, 0, 1, vcc_lo
	v_add_co_ci_u32_e32 v162, vcc_lo, 0, v162, vcc_lo
	s_delay_alu instid0(VALU_DEP_2)
	v_lshrrev_b32_e32 v163, v165, v163
; %bb.6853:                             ;   in Loop: Header=BB4_6538 Depth=3
	s_and_not1_saveexec_b32 s13, s13
; %bb.6854:                             ;   in Loop: Header=BB4_6538 Depth=3
	s_delay_alu instid0(VALU_DEP_1)
	v_bfe_u32 v162, v163, 23, 1
; %bb.6855:                             ;   in Loop: Header=BB4_6538 Depth=3
	s_or_b32 exec_lo, exec_lo, s13
	v_lshrrev_b32_e32 v163, 20, v163
	s_delay_alu instid0(VALU_DEP_2) | instskip(SKIP_2) | instid1(VALU_DEP_2)
	v_cmp_gt_i32_e32 vcc_lo, 16, v162
	v_lshrrev_b32_e32 v164, 24, v164
	v_min_i32_e32 v165, 15, v162
	v_dual_cndmask_b32 v163, 7, v163 :: v_dual_and_b32 v164, 0x80, v164
	s_delay_alu instid0(VALU_DEP_1) | instskip(SKIP_1) | instid1(VALU_DEP_2)
	v_or_b32_e32 v162, v162, v163
	v_and_b32_e32 v166, 7, v163
	v_cmp_ne_u32_e32 vcc_lo, 0, v162
	v_lshlrev_b32_e32 v165, 3, v165
	s_delay_alu instid0(VALU_DEP_1) | instskip(NEXT) | instid1(VALU_DEP_1)
	v_or3_b32 v163, v165, v164, v166
	v_cndmask_b32_e32 v162, 0, v163, vcc_lo
.LBB4_6856:                             ;   in Loop: Header=BB4_6538 Depth=3
	s_or_b32 exec_lo, exec_lo, s31
.LBB4_6857:                             ;   in Loop: Header=BB4_6538 Depth=3
	s_delay_alu instid0(SALU_CYCLE_1)
	s_or_b32 exec_lo, exec_lo, s17
	v_lshrrev_b32_e32 v164, 24, v22
	v_lshrrev_b32_e32 v163, 24, v18
	s_and_b32 vcc_lo, exec_lo, s16
	s_cbranch_vccz .LBB4_6867
; %bb.6858:                             ;   in Loop: Header=BB4_6538 Depth=3
	s_mov_b32 s13, 0
	s_mov_b32 s31, exec_lo
                                        ; implicit-def: $sgpr17
	v_cmpx_lt_i16_e64 0x7f, v164
	s_xor_b32 s31, exec_lo, s31
	s_cbranch_execnz .LBB4_7640
; %bb.6859:                             ;   in Loop: Header=BB4_6538 Depth=3
	s_or_saveexec_b32 s31, s31
	v_mov_b32_e32 v165, s17
	s_xor_b32 exec_lo, exec_lo, s31
	s_cbranch_execnz .LBB4_7643
.LBB4_6860:                             ;   in Loop: Header=BB4_6538 Depth=3
	s_or_b32 exec_lo, exec_lo, s31
	s_and_saveexec_b32 s17, s13
	s_cbranch_execz .LBB4_6862
.LBB4_6861:                             ;   in Loop: Header=BB4_6538 Depth=3
	v_bfe_u32 v165, v22, 24, 3
	v_bfe_u32 v176, v22, 27, 4
	s_delay_alu instid0(VALU_DEP_2) | instskip(NEXT) | instid1(VALU_DEP_2)
	v_clz_i32_u32_e32 v166, v165
	v_cmp_eq_u32_e32 vcc_lo, 0, v176
	s_delay_alu instid0(VALU_DEP_2) | instskip(NEXT) | instid1(VALU_DEP_1)
	v_min_u32_e32 v166, 32, v166
	v_subrev_nc_u32_e32 v167, 28, v166
	v_sub_nc_u32_e32 v166, 29, v166
	s_delay_alu instid0(VALU_DEP_1) | instskip(NEXT) | instid1(VALU_DEP_1)
	v_dual_cndmask_b32 v166, v176, v166 :: v_dual_lshlrev_b32 v167, v167, v164
	v_and_b32_e32 v167, 7, v167
	s_delay_alu instid0(VALU_DEP_2) | instskip(NEXT) | instid1(VALU_DEP_2)
	v_lshl_add_u32 v166, v166, 23, 0x3b800000
	v_cndmask_b32_e32 v165, v165, v167, vcc_lo
	v_and_b32_e32 v167, 0x80000000, v22
	s_delay_alu instid0(VALU_DEP_2) | instskip(NEXT) | instid1(VALU_DEP_1)
	v_lshlrev_b32_e32 v165, 20, v165
	v_or3_b32 v165, v167, v166, v165
.LBB4_6862:                             ;   in Loop: Header=BB4_6538 Depth=3
	s_or_b32 exec_lo, exec_lo, s17
	s_mov_b32 s13, 0
	s_mov_b32 s31, exec_lo
                                        ; implicit-def: $sgpr17
	v_cmpx_lt_i16_e64 0x7f, v163
	s_xor_b32 s31, exec_lo, s31
	s_cbranch_execnz .LBB4_7644
; %bb.6863:                             ;   in Loop: Header=BB4_6538 Depth=3
	s_or_saveexec_b32 s31, s31
	v_mov_b32_e32 v166, s17
	s_xor_b32 exec_lo, exec_lo, s31
	s_cbranch_execnz .LBB4_7647
.LBB4_6864:                             ;   in Loop: Header=BB4_6538 Depth=3
	s_or_b32 exec_lo, exec_lo, s31
	s_and_saveexec_b32 s17, s13
	s_cbranch_execz .LBB4_6866
.LBB4_6865:                             ;   in Loop: Header=BB4_6538 Depth=3
	v_bfe_u32 v166, v18, 24, 3
	v_bfe_u32 v177, v18, 27, 4
	s_delay_alu instid0(VALU_DEP_2) | instskip(NEXT) | instid1(VALU_DEP_2)
	v_clz_i32_u32_e32 v167, v166
	v_cmp_eq_u32_e32 vcc_lo, 0, v177
	s_delay_alu instid0(VALU_DEP_2) | instskip(NEXT) | instid1(VALU_DEP_1)
	v_min_u32_e32 v167, 32, v167
	v_subrev_nc_u32_e32 v176, 28, v167
	v_sub_nc_u32_e32 v167, 29, v167
	s_delay_alu instid0(VALU_DEP_2) | instskip(NEXT) | instid1(VALU_DEP_1)
	v_lshlrev_b32_e32 v176, v176, v163
	v_dual_cndmask_b32 v167, v177, v167 :: v_dual_and_b32 v176, 7, v176
	s_delay_alu instid0(VALU_DEP_1) | instskip(NEXT) | instid1(VALU_DEP_2)
	v_lshl_add_u32 v167, v167, 23, 0x3b800000
	v_cndmask_b32_e32 v166, v166, v176, vcc_lo
	v_and_b32_e32 v176, 0x80000000, v18
	s_delay_alu instid0(VALU_DEP_2) | instskip(NEXT) | instid1(VALU_DEP_1)
	v_lshlrev_b32_e32 v166, 20, v166
	v_or3_b32 v166, v176, v167, v166
.LBB4_6866:                             ;   in Loop: Header=BB4_6538 Depth=3
	s_or_b32 exec_lo, exec_lo, s17
	s_delay_alu instid0(VALU_DEP_1) | instskip(SKIP_1) | instid1(VALU_DEP_1)
	v_dual_max_f32 v166, v166, v166 :: v_dual_max_f32 v165, v165, v165
	s_mov_b32 s13, 0
	v_max_f32_e32 v165, v165, v166
	s_branch .LBB4_6868
.LBB4_6867:                             ;   in Loop: Header=BB4_6538 Depth=3
	s_mov_b32 s13, -1
                                        ; implicit-def: $vgpr165
.LBB4_6868:                             ;   in Loop: Header=BB4_6538 Depth=3
	s_delay_alu instid0(SALU_CYCLE_1)
	s_and_b32 vcc_lo, exec_lo, s13
	s_cbranch_vccz .LBB4_6878
; %bb.6869:                             ;   in Loop: Header=BB4_6538 Depth=3
	s_mov_b32 s13, 0
	s_mov_b32 s31, exec_lo
                                        ; implicit-def: $sgpr17
	v_cmpx_lt_i16_e64 0x7f, v164
	s_xor_b32 s31, exec_lo, s31
	s_cbranch_execnz .LBB4_7648
; %bb.6870:                             ;   in Loop: Header=BB4_6538 Depth=3
	s_or_saveexec_b32 s31, s31
	v_mov_b32_e32 v165, s17
	s_xor_b32 exec_lo, exec_lo, s31
	s_cbranch_execnz .LBB4_7651
.LBB4_6871:                             ;   in Loop: Header=BB4_6538 Depth=3
	s_or_b32 exec_lo, exec_lo, s31
	s_and_saveexec_b32 s17, s13
	s_cbranch_execz .LBB4_6873
.LBB4_6872:                             ;   in Loop: Header=BB4_6538 Depth=3
	v_bfe_u32 v165, v22, 24, 3
	s_delay_alu instid0(VALU_DEP_1) | instskip(NEXT) | instid1(VALU_DEP_1)
	v_clz_i32_u32_e32 v166, v165
	v_min_u32_e32 v166, 32, v166
	s_delay_alu instid0(VALU_DEP_1) | instskip(SKIP_1) | instid1(VALU_DEP_2)
	v_subrev_nc_u32_e32 v167, 28, v166
	v_sub_nc_u32_e32 v166, 29, v166
	v_lshlrev_b32_e32 v164, v167, v164
	v_bfe_u32 v167, v22, 27, 4
	v_and_b32_e32 v22, 0x80000000, v22
	s_delay_alu instid0(VALU_DEP_3) | instskip(NEXT) | instid1(VALU_DEP_3)
	v_and_b32_e32 v164, 7, v164
	v_cmp_eq_u32_e32 vcc_lo, 0, v167
	v_cndmask_b32_e32 v166, v167, v166, vcc_lo
	s_delay_alu instid0(VALU_DEP_3) | instskip(NEXT) | instid1(VALU_DEP_2)
	v_cndmask_b32_e32 v164, v165, v164, vcc_lo
	v_lshl_add_u32 v165, v166, 23, 0x3b800000
	s_delay_alu instid0(VALU_DEP_2) | instskip(NEXT) | instid1(VALU_DEP_1)
	v_lshlrev_b32_e32 v164, 20, v164
	v_or3_b32 v165, v22, v165, v164
.LBB4_6873:                             ;   in Loop: Header=BB4_6538 Depth=3
	s_or_b32 exec_lo, exec_lo, s17
	s_mov_b32 s13, 0
	s_mov_b32 s31, exec_lo
                                        ; implicit-def: $sgpr17
	v_cmpx_lt_i16_e64 0x7f, v163
	s_xor_b32 s31, exec_lo, s31
	s_cbranch_execnz .LBB4_7652
; %bb.6874:                             ;   in Loop: Header=BB4_6538 Depth=3
	s_or_saveexec_b32 s31, s31
	v_mov_b32_e32 v22, s17
	s_xor_b32 exec_lo, exec_lo, s31
	s_cbranch_execnz .LBB4_7655
.LBB4_6875:                             ;   in Loop: Header=BB4_6538 Depth=3
	s_or_b32 exec_lo, exec_lo, s31
	s_and_saveexec_b32 s17, s13
	s_cbranch_execz .LBB4_6877
.LBB4_6876:                             ;   in Loop: Header=BB4_6538 Depth=3
	v_bfe_u32 v22, v18, 24, 3
	s_delay_alu instid0(VALU_DEP_1) | instskip(NEXT) | instid1(VALU_DEP_1)
	v_clz_i32_u32_e32 v164, v22
	v_min_u32_e32 v164, 32, v164
	s_delay_alu instid0(VALU_DEP_1) | instskip(SKIP_1) | instid1(VALU_DEP_2)
	v_subrev_nc_u32_e32 v166, 28, v164
	v_sub_nc_u32_e32 v164, 29, v164
	v_lshlrev_b32_e32 v163, v166, v163
	v_bfe_u32 v166, v18, 27, 4
	v_and_b32_e32 v18, 0x80000000, v18
	s_delay_alu instid0(VALU_DEP_2) | instskip(NEXT) | instid1(VALU_DEP_4)
	v_cmp_eq_u32_e32 vcc_lo, 0, v166
	v_dual_cndmask_b32 v164, v166, v164 :: v_dual_and_b32 v163, 7, v163
	s_delay_alu instid0(VALU_DEP_1) | instskip(NEXT) | instid1(VALU_DEP_2)
	v_cndmask_b32_e32 v22, v22, v163, vcc_lo
	v_lshl_add_u32 v163, v164, 23, 0x3b800000
	s_delay_alu instid0(VALU_DEP_2) | instskip(NEXT) | instid1(VALU_DEP_1)
	v_lshlrev_b32_e32 v22, 20, v22
	v_or3_b32 v22, v18, v163, v22
.LBB4_6877:                             ;   in Loop: Header=BB4_6538 Depth=3
	s_or_b32 exec_lo, exec_lo, s17
	s_delay_alu instid0(VALU_DEP_1) | instskip(SKIP_1) | instid1(VALU_DEP_1)
	v_max_f32_e32 v18, v22, v22
	v_max_f32_e32 v22, v165, v165
	v_min_f32_e32 v165, v22, v18
.LBB4_6878:                             ;   in Loop: Header=BB4_6538 Depth=3
	s_delay_alu instid0(VALU_DEP_1) | instskip(NEXT) | instid1(VALU_DEP_1)
	v_and_b32_e32 v18, 0x7f800000, v165
	v_cmp_ne_u32_e32 vcc_lo, 0x7f800000, v18
	v_mov_b32_e32 v18, 0x80
	s_and_saveexec_b32 s17, vcc_lo
	s_cbranch_execz .LBB4_6886
; %bb.6879:                             ;   in Loop: Header=BB4_6538 Depth=3
	v_mov_b32_e32 v18, 0
	s_mov_b32 s31, exec_lo
	v_cmpx_ne_u32_e32 0, v165
	s_cbranch_execz .LBB4_6885
; %bb.6880:                             ;   in Loop: Header=BB4_6538 Depth=3
	v_bfe_u32 v18, v165, 23, 8
	s_delay_alu instid0(VALU_DEP_1) | instskip(SKIP_1) | instid1(VALU_DEP_2)
	v_sub_nc_u32_e32 v163, 0x78, v18
	v_cmp_gt_u32_e32 vcc_lo, 0x79, v18
	v_dual_cndmask_b32 v163, 0, v163 :: v_dual_and_b32 v22, 0x7fffff, v165
	s_delay_alu instid0(VALU_DEP_1) | instskip(SKIP_2) | instid1(VALU_DEP_4)
	v_or_b32_e32 v164, 0x800000, v22
	v_cmp_eq_u32_e32 vcc_lo, 0, v18
	v_add_nc_u32_e32 v18, 0xffffff89, v18
	v_cndmask_b32_e64 v163, v163, 0x77, vcc_lo
	s_delay_alu instid0(VALU_DEP_4) | instskip(NEXT) | instid1(VALU_DEP_3)
	v_cndmask_b32_e32 v22, v164, v22, vcc_lo
	v_cndmask_b32_e64 v18, v18, 0xffffff8a, vcc_lo
	s_delay_alu instid0(VALU_DEP_3) | instskip(NEXT) | instid1(VALU_DEP_3)
	v_lshl_add_u32 v164, 0x100000, v163, -1
	v_lshrrev_b32_e32 v166, v163, v22
	v_lshlrev_b32_e64 v176, v163, 0x80000
	s_delay_alu instid0(VALU_DEP_4) | instskip(NEXT) | instid1(VALU_DEP_4)
	v_add_nc_u32_e32 v163, v163, v18
	v_and_b32_e32 v22, v164, v22
	s_delay_alu instid0(VALU_DEP_4) | instskip(NEXT) | instid1(VALU_DEP_2)
	v_bfe_u32 v167, v166, 20, 1
	v_cmp_eq_u32_e64 s13, v22, v176
	s_delay_alu instid0(VALU_DEP_2) | instskip(NEXT) | instid1(VALU_DEP_1)
	v_add_nc_u32_e32 v164, -1, v167
	v_cndmask_b32_e64 v22, 0, v164, s13
	v_lshrrev_b32_e32 v164, 23, v166
	s_mov_b32 s13, exec_lo
	s_delay_alu instid0(VALU_DEP_2) | instskip(NEXT) | instid1(VALU_DEP_2)
	v_add_nc_u32_e32 v22, v22, v166
	v_xor_b32_e32 v164, 1, v164
	s_delay_alu instid0(VALU_DEP_2) | instskip(NEXT) | instid1(VALU_DEP_1)
	v_and_b32_e32 v18, 0xfffff, v22
	v_add_nc_u32_e32 v22, v18, v166
                                        ; implicit-def: $vgpr18
	s_delay_alu instid0(VALU_DEP_3)
	v_cmpx_ne_u32_e64 v163, v164
	s_xor_b32 s13, exec_lo, s13
; %bb.6881:                             ;   in Loop: Header=BB4_6538 Depth=3
	s_delay_alu instid0(VALU_DEP_2) | instskip(SKIP_2) | instid1(VALU_DEP_2)
	v_cmp_lt_u32_e32 vcc_lo, 0xffffff, v22
	v_sub_nc_u32_e32 v18, v163, v164
	v_cndmask_b32_e64 v163, 0, 1, vcc_lo
	v_add_co_ci_u32_e32 v18, vcc_lo, 0, v18, vcc_lo
	s_delay_alu instid0(VALU_DEP_2)
	v_lshrrev_b32_e32 v22, v163, v22
; %bb.6882:                             ;   in Loop: Header=BB4_6538 Depth=3
	s_and_not1_saveexec_b32 s13, s13
; %bb.6883:                             ;   in Loop: Header=BB4_6538 Depth=3
	s_delay_alu instid0(VALU_DEP_1)
	v_bfe_u32 v18, v22, 23, 1
; %bb.6884:                             ;   in Loop: Header=BB4_6538 Depth=3
	s_or_b32 exec_lo, exec_lo, s13
	v_lshrrev_b32_e32 v22, 20, v22
	s_delay_alu instid0(VALU_DEP_2) | instskip(SKIP_2) | instid1(VALU_DEP_2)
	v_cmp_gt_i32_e32 vcc_lo, 16, v18
	v_lshrrev_b32_e32 v163, 24, v165
	v_min_i32_e32 v164, 15, v18
	v_dual_cndmask_b32 v22, 7, v22 :: v_dual_and_b32 v163, 0x80, v163
	s_delay_alu instid0(VALU_DEP_2) | instskip(NEXT) | instid1(VALU_DEP_2)
	v_lshlrev_b32_e32 v164, 3, v164
	v_and_b32_e32 v165, 7, v22
	v_or_b32_e32 v18, v18, v22
	s_delay_alu instid0(VALU_DEP_2) | instskip(NEXT) | instid1(VALU_DEP_2)
	v_or3_b32 v22, v164, v163, v165
	v_cmp_ne_u32_e32 vcc_lo, 0, v18
	s_delay_alu instid0(VALU_DEP_2)
	v_cndmask_b32_e32 v18, 0, v22, vcc_lo
.LBB4_6885:                             ;   in Loop: Header=BB4_6538 Depth=3
	s_or_b32 exec_lo, exec_lo, s31
.LBB4_6886:                             ;   in Loop: Header=BB4_6538 Depth=3
	s_delay_alu instid0(SALU_CYCLE_1) | instskip(NEXT) | instid1(SALU_CYCLE_1)
	s_or_b32 exec_lo, exec_lo, s17
	s_and_b32 vcc_lo, exec_lo, s16
	s_cbranch_vccz .LBB4_6896
; %bb.6887:                             ;   in Loop: Header=BB4_6538 Depth=3
	v_and_b32_e32 v163, 0xff, v23
	s_mov_b32 s13, 0
	s_mov_b32 s31, exec_lo
                                        ; implicit-def: $sgpr17
	s_delay_alu instid0(VALU_DEP_1)
	v_cmpx_lt_i16_e64 0x7f, v163
	s_xor_b32 s31, exec_lo, s31
	s_cbranch_execnz .LBB4_7656
; %bb.6888:                             ;   in Loop: Header=BB4_6538 Depth=3
	s_or_saveexec_b32 s31, s31
	v_mov_b32_e32 v22, s17
	s_xor_b32 exec_lo, exec_lo, s31
	s_cbranch_execnz .LBB4_7659
.LBB4_6889:                             ;   in Loop: Header=BB4_6538 Depth=3
	s_or_b32 exec_lo, exec_lo, s31
	s_and_saveexec_b32 s17, s13
	s_cbranch_execz .LBB4_6891
.LBB4_6890:                             ;   in Loop: Header=BB4_6538 Depth=3
	v_and_b32_e32 v22, 7, v23
	v_bfe_u32 v165, v23, 3, 4
	v_lshlrev_b32_e32 v166, 24, v23
	s_delay_alu instid0(VALU_DEP_3) | instskip(NEXT) | instid1(VALU_DEP_3)
	v_clz_i32_u32_e32 v163, v22
	v_cmp_eq_u32_e32 vcc_lo, 0, v165
	s_delay_alu instid0(VALU_DEP_2) | instskip(NEXT) | instid1(VALU_DEP_1)
	v_min_u32_e32 v163, 32, v163
	v_subrev_nc_u32_e32 v164, 28, v163
	v_sub_nc_u32_e32 v163, 29, v163
	s_delay_alu instid0(VALU_DEP_2) | instskip(NEXT) | instid1(VALU_DEP_1)
	v_lshlrev_b32_e32 v164, v164, v23
	v_dual_cndmask_b32 v163, v165, v163 :: v_dual_and_b32 v164, 7, v164
	s_delay_alu instid0(VALU_DEP_1) | instskip(NEXT) | instid1(VALU_DEP_2)
	v_lshl_add_u32 v163, v163, 23, 0x3b800000
	v_cndmask_b32_e32 v22, v22, v164, vcc_lo
	v_and_b32_e32 v164, 0x80000000, v166
	s_delay_alu instid0(VALU_DEP_2) | instskip(NEXT) | instid1(VALU_DEP_1)
	v_lshlrev_b32_e32 v22, 20, v22
	v_or3_b32 v22, v164, v163, v22
.LBB4_6891:                             ;   in Loop: Header=BB4_6538 Depth=3
	s_or_b32 exec_lo, exec_lo, s17
	v_and_b32_e32 v164, 0xff, v19
	s_mov_b32 s13, 0
	s_mov_b32 s31, exec_lo
                                        ; implicit-def: $sgpr17
	s_delay_alu instid0(VALU_DEP_1)
	v_cmpx_lt_i16_e64 0x7f, v164
	s_xor_b32 s31, exec_lo, s31
	s_cbranch_execnz .LBB4_7660
; %bb.6892:                             ;   in Loop: Header=BB4_6538 Depth=3
	s_or_saveexec_b32 s31, s31
	v_mov_b32_e32 v163, s17
	s_xor_b32 exec_lo, exec_lo, s31
	s_cbranch_execnz .LBB4_7663
.LBB4_6893:                             ;   in Loop: Header=BB4_6538 Depth=3
	s_or_b32 exec_lo, exec_lo, s31
	s_and_saveexec_b32 s17, s13
	s_cbranch_execz .LBB4_6895
.LBB4_6894:                             ;   in Loop: Header=BB4_6538 Depth=3
	v_bfe_u32 v166, v19, 3, 4
	v_lshlrev_b32_e32 v167, 24, v19
	s_delay_alu instid0(VALU_DEP_2) | instskip(SKIP_1) | instid1(VALU_DEP_1)
	v_cmp_eq_u32_e32 vcc_lo, 0, v166
	v_and_b32_e32 v163, 7, v19
	v_clz_i32_u32_e32 v164, v163
	s_delay_alu instid0(VALU_DEP_1) | instskip(NEXT) | instid1(VALU_DEP_1)
	v_min_u32_e32 v164, 32, v164
	v_subrev_nc_u32_e32 v165, 28, v164
	v_sub_nc_u32_e32 v164, 29, v164
	s_delay_alu instid0(VALU_DEP_1) | instskip(NEXT) | instid1(VALU_DEP_1)
	v_dual_cndmask_b32 v164, v166, v164 :: v_dual_lshlrev_b32 v165, v165, v19
	v_and_b32_e32 v165, 7, v165
	s_delay_alu instid0(VALU_DEP_2) | instskip(NEXT) | instid1(VALU_DEP_2)
	v_lshl_add_u32 v164, v164, 23, 0x3b800000
	v_cndmask_b32_e32 v163, v163, v165, vcc_lo
	v_and_b32_e32 v165, 0x80000000, v167
	s_delay_alu instid0(VALU_DEP_2) | instskip(NEXT) | instid1(VALU_DEP_1)
	v_lshlrev_b32_e32 v163, 20, v163
	v_or3_b32 v163, v165, v164, v163
.LBB4_6895:                             ;   in Loop: Header=BB4_6538 Depth=3
	s_or_b32 exec_lo, exec_lo, s17
	s_delay_alu instid0(VALU_DEP_1) | instskip(SKIP_1) | instid1(VALU_DEP_1)
	v_dual_max_f32 v163, v163, v163 :: v_dual_max_f32 v22, v22, v22
	s_mov_b32 s13, 0
	v_max_f32_e32 v163, v22, v163
	s_branch .LBB4_6897
.LBB4_6896:                             ;   in Loop: Header=BB4_6538 Depth=3
	s_mov_b32 s13, -1
                                        ; implicit-def: $vgpr163
.LBB4_6897:                             ;   in Loop: Header=BB4_6538 Depth=3
	s_delay_alu instid0(SALU_CYCLE_1)
	s_and_b32 vcc_lo, exec_lo, s13
	s_cbranch_vccz .LBB4_6907
; %bb.6898:                             ;   in Loop: Header=BB4_6538 Depth=3
	v_and_b32_e32 v163, 0xff, v23
	s_mov_b32 s13, 0
	s_mov_b32 s31, exec_lo
                                        ; implicit-def: $sgpr17
	s_delay_alu instid0(VALU_DEP_1)
	v_cmpx_lt_i16_e64 0x7f, v163
	s_xor_b32 s31, exec_lo, s31
	s_cbranch_execnz .LBB4_7664
; %bb.6899:                             ;   in Loop: Header=BB4_6538 Depth=3
	s_or_saveexec_b32 s31, s31
	v_mov_b32_e32 v22, s17
	s_xor_b32 exec_lo, exec_lo, s31
	s_cbranch_execnz .LBB4_7667
.LBB4_6900:                             ;   in Loop: Header=BB4_6538 Depth=3
	s_or_b32 exec_lo, exec_lo, s31
	s_and_saveexec_b32 s17, s13
	s_cbranch_execz .LBB4_6902
.LBB4_6901:                             ;   in Loop: Header=BB4_6538 Depth=3
	v_and_b32_e32 v22, 7, v23
	v_bfe_u32 v165, v23, 3, 4
	v_lshlrev_b32_e32 v166, 24, v23
	s_delay_alu instid0(VALU_DEP_3) | instskip(NEXT) | instid1(VALU_DEP_3)
	v_clz_i32_u32_e32 v163, v22
	v_cmp_eq_u32_e32 vcc_lo, 0, v165
	s_delay_alu instid0(VALU_DEP_2) | instskip(NEXT) | instid1(VALU_DEP_1)
	v_min_u32_e32 v163, 32, v163
	v_subrev_nc_u32_e32 v164, 28, v163
	v_sub_nc_u32_e32 v163, 29, v163
	s_delay_alu instid0(VALU_DEP_2) | instskip(NEXT) | instid1(VALU_DEP_1)
	v_lshlrev_b32_e32 v164, v164, v23
	v_dual_cndmask_b32 v163, v165, v163 :: v_dual_and_b32 v164, 7, v164
	s_delay_alu instid0(VALU_DEP_1) | instskip(NEXT) | instid1(VALU_DEP_2)
	v_lshl_add_u32 v163, v163, 23, 0x3b800000
	v_cndmask_b32_e32 v22, v22, v164, vcc_lo
	v_and_b32_e32 v164, 0x80000000, v166
	s_delay_alu instid0(VALU_DEP_2) | instskip(NEXT) | instid1(VALU_DEP_1)
	v_lshlrev_b32_e32 v22, 20, v22
	v_or3_b32 v22, v164, v163, v22
.LBB4_6902:                             ;   in Loop: Header=BB4_6538 Depth=3
	s_or_b32 exec_lo, exec_lo, s17
	v_and_b32_e32 v164, 0xff, v19
	s_mov_b32 s13, 0
	s_mov_b32 s31, exec_lo
                                        ; implicit-def: $sgpr17
	s_delay_alu instid0(VALU_DEP_1)
	v_cmpx_lt_i16_e64 0x7f, v164
	s_xor_b32 s31, exec_lo, s31
	s_cbranch_execnz .LBB4_7668
; %bb.6903:                             ;   in Loop: Header=BB4_6538 Depth=3
	s_or_saveexec_b32 s31, s31
	v_mov_b32_e32 v163, s17
	s_xor_b32 exec_lo, exec_lo, s31
	s_cbranch_execnz .LBB4_7671
.LBB4_6904:                             ;   in Loop: Header=BB4_6538 Depth=3
	s_or_b32 exec_lo, exec_lo, s31
	s_and_saveexec_b32 s17, s13
	s_cbranch_execz .LBB4_6906
.LBB4_6905:                             ;   in Loop: Header=BB4_6538 Depth=3
	v_bfe_u32 v166, v19, 3, 4
	v_lshlrev_b32_e32 v167, 24, v19
	s_delay_alu instid0(VALU_DEP_2) | instskip(SKIP_1) | instid1(VALU_DEP_1)
	v_cmp_eq_u32_e32 vcc_lo, 0, v166
	v_and_b32_e32 v163, 7, v19
	v_clz_i32_u32_e32 v164, v163
	s_delay_alu instid0(VALU_DEP_1) | instskip(NEXT) | instid1(VALU_DEP_1)
	v_min_u32_e32 v164, 32, v164
	v_subrev_nc_u32_e32 v165, 28, v164
	v_sub_nc_u32_e32 v164, 29, v164
	s_delay_alu instid0(VALU_DEP_1) | instskip(NEXT) | instid1(VALU_DEP_1)
	v_dual_cndmask_b32 v164, v166, v164 :: v_dual_lshlrev_b32 v165, v165, v19
	v_and_b32_e32 v165, 7, v165
	s_delay_alu instid0(VALU_DEP_2) | instskip(NEXT) | instid1(VALU_DEP_2)
	v_lshl_add_u32 v164, v164, 23, 0x3b800000
	v_cndmask_b32_e32 v163, v163, v165, vcc_lo
	v_and_b32_e32 v165, 0x80000000, v167
	s_delay_alu instid0(VALU_DEP_2) | instskip(NEXT) | instid1(VALU_DEP_1)
	v_lshlrev_b32_e32 v163, 20, v163
	v_or3_b32 v163, v165, v164, v163
.LBB4_6906:                             ;   in Loop: Header=BB4_6538 Depth=3
	s_or_b32 exec_lo, exec_lo, s17
	s_delay_alu instid0(VALU_DEP_1) | instskip(NEXT) | instid1(VALU_DEP_1)
	v_dual_max_f32 v163, v163, v163 :: v_dual_max_f32 v22, v22, v22
	v_min_f32_e32 v163, v22, v163
.LBB4_6907:                             ;   in Loop: Header=BB4_6538 Depth=3
	s_delay_alu instid0(VALU_DEP_1) | instskip(NEXT) | instid1(VALU_DEP_1)
	v_and_b32_e32 v22, 0x7f800000, v163
	v_cmp_ne_u32_e32 vcc_lo, 0x7f800000, v22
	v_mov_b32_e32 v22, 0x80
	s_and_saveexec_b32 s17, vcc_lo
	s_cbranch_execz .LBB4_6915
; %bb.6908:                             ;   in Loop: Header=BB4_6538 Depth=3
	v_mov_b32_e32 v22, 0
	s_mov_b32 s31, exec_lo
	v_cmpx_ne_u32_e32 0, v163
	s_cbranch_execz .LBB4_6914
; %bb.6909:                             ;   in Loop: Header=BB4_6538 Depth=3
	v_bfe_u32 v22, v163, 23, 8
	s_delay_alu instid0(VALU_DEP_1) | instskip(SKIP_1) | instid1(VALU_DEP_2)
	v_sub_nc_u32_e32 v165, 0x78, v22
	v_cmp_gt_u32_e32 vcc_lo, 0x79, v22
	v_dual_cndmask_b32 v165, 0, v165 :: v_dual_and_b32 v164, 0x7fffff, v163
	s_delay_alu instid0(VALU_DEP_1) | instskip(SKIP_2) | instid1(VALU_DEP_4)
	v_or_b32_e32 v166, 0x800000, v164
	v_cmp_eq_u32_e32 vcc_lo, 0, v22
	v_add_nc_u32_e32 v22, 0xffffff89, v22
	v_cndmask_b32_e64 v165, v165, 0x77, vcc_lo
	s_delay_alu instid0(VALU_DEP_2) | instskip(SKIP_1) | instid1(VALU_DEP_3)
	v_cndmask_b32_e64 v22, v22, 0xffffff8a, vcc_lo
	v_cndmask_b32_e32 v164, v166, v164, vcc_lo
	v_lshl_add_u32 v166, 0x100000, v165, -1
	v_lshlrev_b32_e64 v177, v165, 0x80000
	s_delay_alu instid0(VALU_DEP_3) | instskip(SKIP_1) | instid1(VALU_DEP_4)
	v_lshrrev_b32_e32 v167, v165, v164
	v_add_nc_u32_e32 v165, v165, v22
	v_and_b32_e32 v164, v166, v164
	s_delay_alu instid0(VALU_DEP_3) | instskip(NEXT) | instid1(VALU_DEP_2)
	v_bfe_u32 v176, v167, 20, 1
	v_cmp_eq_u32_e64 s13, v164, v177
	s_delay_alu instid0(VALU_DEP_2) | instskip(NEXT) | instid1(VALU_DEP_1)
	v_add_nc_u32_e32 v166, -1, v176
	v_cndmask_b32_e64 v164, 0, v166, s13
	v_lshrrev_b32_e32 v166, 23, v167
	s_mov_b32 s13, exec_lo
	s_delay_alu instid0(VALU_DEP_2) | instskip(NEXT) | instid1(VALU_DEP_2)
	v_add_nc_u32_e32 v164, v164, v167
	v_xor_b32_e32 v166, 1, v166
	s_delay_alu instid0(VALU_DEP_2) | instskip(NEXT) | instid1(VALU_DEP_1)
	v_and_b32_e32 v22, 0xfffff, v164
	v_add_nc_u32_e32 v164, v22, v167
                                        ; implicit-def: $vgpr22
	s_delay_alu instid0(VALU_DEP_3)
	v_cmpx_ne_u32_e64 v165, v166
	s_xor_b32 s13, exec_lo, s13
; %bb.6910:                             ;   in Loop: Header=BB4_6538 Depth=3
	s_delay_alu instid0(VALU_DEP_2) | instskip(SKIP_2) | instid1(VALU_DEP_2)
	v_cmp_lt_u32_e32 vcc_lo, 0xffffff, v164
	v_sub_nc_u32_e32 v22, v165, v166
	v_cndmask_b32_e64 v165, 0, 1, vcc_lo
	v_add_co_ci_u32_e32 v22, vcc_lo, 0, v22, vcc_lo
	s_delay_alu instid0(VALU_DEP_2)
	v_lshrrev_b32_e32 v164, v165, v164
; %bb.6911:                             ;   in Loop: Header=BB4_6538 Depth=3
	s_and_not1_saveexec_b32 s13, s13
; %bb.6912:                             ;   in Loop: Header=BB4_6538 Depth=3
	s_delay_alu instid0(VALU_DEP_1)
	v_bfe_u32 v22, v164, 23, 1
; %bb.6913:                             ;   in Loop: Header=BB4_6538 Depth=3
	s_or_b32 exec_lo, exec_lo, s13
	v_lshrrev_b32_e32 v164, 20, v164
	s_delay_alu instid0(VALU_DEP_2) | instskip(SKIP_2) | instid1(VALU_DEP_2)
	v_cmp_gt_i32_e32 vcc_lo, 16, v22
	v_lshrrev_b32_e32 v163, 24, v163
	v_min_i32_e32 v165, 15, v22
	v_dual_cndmask_b32 v164, 7, v164 :: v_dual_and_b32 v163, 0x80, v163
	s_delay_alu instid0(VALU_DEP_1) | instskip(SKIP_1) | instid1(VALU_DEP_2)
	v_or_b32_e32 v22, v22, v164
	v_and_b32_e32 v166, 7, v164
	v_cmp_ne_u32_e32 vcc_lo, 0, v22
	v_lshlrev_b32_e32 v165, 3, v165
	s_delay_alu instid0(VALU_DEP_1) | instskip(NEXT) | instid1(VALU_DEP_1)
	v_or3_b32 v163, v165, v163, v166
	v_cndmask_b32_e32 v22, 0, v163, vcc_lo
.LBB4_6914:                             ;   in Loop: Header=BB4_6538 Depth=3
	s_or_b32 exec_lo, exec_lo, s31
.LBB4_6915:                             ;   in Loop: Header=BB4_6538 Depth=3
	s_delay_alu instid0(SALU_CYCLE_1)
	s_or_b32 exec_lo, exec_lo, s17
	v_lshrrev_b16 v164, 8, v23
	v_lshrrev_b16 v163, 8, v19
	s_and_b32 vcc_lo, exec_lo, s16
	s_cbranch_vccz .LBB4_6925
; %bb.6916:                             ;   in Loop: Header=BB4_6538 Depth=3
	s_mov_b32 s13, 0
	s_mov_b32 s31, exec_lo
                                        ; implicit-def: $sgpr17
	v_cmpx_lt_i16_e64 0x7f, v164
	s_xor_b32 s31, exec_lo, s31
	s_cbranch_execnz .LBB4_7672
; %bb.6917:                             ;   in Loop: Header=BB4_6538 Depth=3
	s_or_saveexec_b32 s31, s31
	v_mov_b32_e32 v165, s17
	s_xor_b32 exec_lo, exec_lo, s31
	s_cbranch_execnz .LBB4_7675
.LBB4_6918:                             ;   in Loop: Header=BB4_6538 Depth=3
	s_or_b32 exec_lo, exec_lo, s31
	s_and_saveexec_b32 s17, s13
	s_cbranch_execz .LBB4_6920
.LBB4_6919:                             ;   in Loop: Header=BB4_6538 Depth=3
	v_and_b32_e32 v165, 0xffff, v164
	s_delay_alu instid0(VALU_DEP_1) | instskip(NEXT) | instid1(VALU_DEP_1)
	v_and_b32_e32 v166, 7, v165
	v_clz_i32_u32_e32 v167, v166
	s_delay_alu instid0(VALU_DEP_1) | instskip(NEXT) | instid1(VALU_DEP_1)
	v_min_u32_e32 v167, 32, v167
	v_subrev_nc_u32_e32 v176, 28, v167
	v_sub_nc_u32_e32 v167, 29, v167
	s_delay_alu instid0(VALU_DEP_2) | instskip(SKIP_1) | instid1(VALU_DEP_2)
	v_lshlrev_b32_e32 v176, v176, v165
	v_bfe_u32 v165, v165, 3, 4
	v_and_b32_e32 v176, 7, v176
	s_delay_alu instid0(VALU_DEP_2) | instskip(SKIP_1) | instid1(VALU_DEP_3)
	v_cmp_eq_u32_e32 vcc_lo, 0, v165
	v_cndmask_b32_e32 v165, v165, v167, vcc_lo
	v_dual_cndmask_b32 v166, v166, v176 :: v_dual_lshlrev_b32 v177, 16, v23
	s_delay_alu instid0(VALU_DEP_2) | instskip(NEXT) | instid1(VALU_DEP_2)
	v_lshl_add_u32 v165, v165, 23, 0x3b800000
	v_and_b32_e32 v167, 0x80000000, v177
	s_delay_alu instid0(VALU_DEP_3) | instskip(NEXT) | instid1(VALU_DEP_1)
	v_lshlrev_b32_e32 v166, 20, v166
	v_or3_b32 v165, v167, v165, v166
.LBB4_6920:                             ;   in Loop: Header=BB4_6538 Depth=3
	s_or_b32 exec_lo, exec_lo, s17
	s_mov_b32 s13, 0
	s_mov_b32 s31, exec_lo
                                        ; implicit-def: $sgpr17
	v_cmpx_lt_i16_e64 0x7f, v163
	s_xor_b32 s31, exec_lo, s31
	s_cbranch_execnz .LBB4_7676
; %bb.6921:                             ;   in Loop: Header=BB4_6538 Depth=3
	s_or_saveexec_b32 s31, s31
	v_mov_b32_e32 v166, s17
	s_xor_b32 exec_lo, exec_lo, s31
	s_cbranch_execnz .LBB4_7679
.LBB4_6922:                             ;   in Loop: Header=BB4_6538 Depth=3
	s_or_b32 exec_lo, exec_lo, s31
	s_and_saveexec_b32 s17, s13
	s_cbranch_execz .LBB4_6924
.LBB4_6923:                             ;   in Loop: Header=BB4_6538 Depth=3
	v_and_b32_e32 v166, 0xffff, v163
	v_lshlrev_b32_e32 v178, 16, v19
	s_delay_alu instid0(VALU_DEP_2) | instskip(NEXT) | instid1(VALU_DEP_1)
	v_and_b32_e32 v167, 7, v166
	v_clz_i32_u32_e32 v176, v167
	s_delay_alu instid0(VALU_DEP_1) | instskip(NEXT) | instid1(VALU_DEP_1)
	v_min_u32_e32 v176, 32, v176
	v_subrev_nc_u32_e32 v177, 28, v176
	v_sub_nc_u32_e32 v176, 29, v176
	s_delay_alu instid0(VALU_DEP_2) | instskip(SKIP_1) | instid1(VALU_DEP_2)
	v_lshlrev_b32_e32 v177, v177, v166
	v_bfe_u32 v166, v166, 3, 4
	v_and_b32_e32 v177, 7, v177
	s_delay_alu instid0(VALU_DEP_2) | instskip(NEXT) | instid1(VALU_DEP_2)
	v_cmp_eq_u32_e32 vcc_lo, 0, v166
	v_dual_cndmask_b32 v166, v166, v176 :: v_dual_cndmask_b32 v167, v167, v177
	v_and_b32_e32 v176, 0x80000000, v178
	s_delay_alu instid0(VALU_DEP_2) | instskip(NEXT) | instid1(VALU_DEP_3)
	v_lshl_add_u32 v166, v166, 23, 0x3b800000
	v_lshlrev_b32_e32 v167, 20, v167
	s_delay_alu instid0(VALU_DEP_1)
	v_or3_b32 v166, v176, v166, v167
.LBB4_6924:                             ;   in Loop: Header=BB4_6538 Depth=3
	s_or_b32 exec_lo, exec_lo, s17
	s_delay_alu instid0(VALU_DEP_1) | instskip(SKIP_1) | instid1(VALU_DEP_1)
	v_dual_max_f32 v166, v166, v166 :: v_dual_max_f32 v165, v165, v165
	s_mov_b32 s13, 0
	v_max_f32_e32 v165, v165, v166
	s_branch .LBB4_6926
.LBB4_6925:                             ;   in Loop: Header=BB4_6538 Depth=3
	s_mov_b32 s13, -1
                                        ; implicit-def: $vgpr165
.LBB4_6926:                             ;   in Loop: Header=BB4_6538 Depth=3
	s_delay_alu instid0(SALU_CYCLE_1)
	s_and_b32 vcc_lo, exec_lo, s13
	s_cbranch_vccz .LBB4_6936
; %bb.6927:                             ;   in Loop: Header=BB4_6538 Depth=3
	s_mov_b32 s13, 0
	s_mov_b32 s31, exec_lo
                                        ; implicit-def: $sgpr17
	v_cmpx_lt_i16_e64 0x7f, v164
	s_xor_b32 s31, exec_lo, s31
	s_cbranch_execnz .LBB4_7680
; %bb.6928:                             ;   in Loop: Header=BB4_6538 Depth=3
	s_or_saveexec_b32 s31, s31
	v_mov_b32_e32 v165, s17
	s_xor_b32 exec_lo, exec_lo, s31
	s_cbranch_execnz .LBB4_7683
.LBB4_6929:                             ;   in Loop: Header=BB4_6538 Depth=3
	s_or_b32 exec_lo, exec_lo, s31
	s_and_saveexec_b32 s17, s13
	s_cbranch_execz .LBB4_6931
.LBB4_6930:                             ;   in Loop: Header=BB4_6538 Depth=3
	v_and_b32_e32 v164, 0xffff, v164
	v_lshlrev_b32_e32 v176, 16, v23
	s_delay_alu instid0(VALU_DEP_2) | instskip(NEXT) | instid1(VALU_DEP_1)
	v_and_b32_e32 v165, 7, v164
	v_clz_i32_u32_e32 v166, v165
	s_delay_alu instid0(VALU_DEP_1) | instskip(NEXT) | instid1(VALU_DEP_1)
	v_min_u32_e32 v166, 32, v166
	v_subrev_nc_u32_e32 v167, 28, v166
	v_sub_nc_u32_e32 v166, 29, v166
	s_delay_alu instid0(VALU_DEP_2) | instskip(SKIP_1) | instid1(VALU_DEP_2)
	v_lshlrev_b32_e32 v167, v167, v164
	v_bfe_u32 v164, v164, 3, 4
	v_and_b32_e32 v167, 7, v167
	s_delay_alu instid0(VALU_DEP_2) | instskip(NEXT) | instid1(VALU_DEP_2)
	v_cmp_eq_u32_e32 vcc_lo, 0, v164
	v_dual_cndmask_b32 v164, v164, v166 :: v_dual_cndmask_b32 v165, v165, v167
	v_and_b32_e32 v166, 0x80000000, v176
	s_delay_alu instid0(VALU_DEP_2) | instskip(NEXT) | instid1(VALU_DEP_3)
	v_lshl_add_u32 v164, v164, 23, 0x3b800000
	v_lshlrev_b32_e32 v165, 20, v165
	s_delay_alu instid0(VALU_DEP_1)
	v_or3_b32 v165, v166, v164, v165
.LBB4_6931:                             ;   in Loop: Header=BB4_6538 Depth=3
	s_or_b32 exec_lo, exec_lo, s17
	s_mov_b32 s13, 0
	s_mov_b32 s31, exec_lo
                                        ; implicit-def: $sgpr17
	v_cmpx_lt_i16_e64 0x7f, v163
	s_xor_b32 s31, exec_lo, s31
	s_cbranch_execnz .LBB4_7684
; %bb.6932:                             ;   in Loop: Header=BB4_6538 Depth=3
	s_or_saveexec_b32 s31, s31
	v_mov_b32_e32 v164, s17
	s_xor_b32 exec_lo, exec_lo, s31
	s_cbranch_execnz .LBB4_7687
.LBB4_6933:                             ;   in Loop: Header=BB4_6538 Depth=3
	s_or_b32 exec_lo, exec_lo, s31
	s_and_saveexec_b32 s17, s13
	s_cbranch_execz .LBB4_6935
.LBB4_6934:                             ;   in Loop: Header=BB4_6538 Depth=3
	v_and_b32_e32 v163, 0xffff, v163
	v_lshlrev_b32_e32 v176, 16, v19
	s_delay_alu instid0(VALU_DEP_2) | instskip(NEXT) | instid1(VALU_DEP_1)
	v_and_b32_e32 v164, 7, v163
	v_clz_i32_u32_e32 v166, v164
	s_delay_alu instid0(VALU_DEP_1) | instskip(NEXT) | instid1(VALU_DEP_1)
	v_min_u32_e32 v166, 32, v166
	v_subrev_nc_u32_e32 v167, 28, v166
	v_sub_nc_u32_e32 v166, 29, v166
	s_delay_alu instid0(VALU_DEP_2) | instskip(SKIP_1) | instid1(VALU_DEP_2)
	v_lshlrev_b32_e32 v167, v167, v163
	v_bfe_u32 v163, v163, 3, 4
	v_and_b32_e32 v167, 7, v167
	s_delay_alu instid0(VALU_DEP_2) | instskip(NEXT) | instid1(VALU_DEP_2)
	v_cmp_eq_u32_e32 vcc_lo, 0, v163
	v_dual_cndmask_b32 v163, v163, v166 :: v_dual_cndmask_b32 v164, v164, v167
	v_and_b32_e32 v166, 0x80000000, v176
	s_delay_alu instid0(VALU_DEP_2) | instskip(NEXT) | instid1(VALU_DEP_3)
	v_lshl_add_u32 v163, v163, 23, 0x3b800000
	v_lshlrev_b32_e32 v164, 20, v164
	s_delay_alu instid0(VALU_DEP_1)
	v_or3_b32 v164, v166, v163, v164
.LBB4_6935:                             ;   in Loop: Header=BB4_6538 Depth=3
	s_or_b32 exec_lo, exec_lo, s17
	s_delay_alu instid0(VALU_DEP_1) | instskip(NEXT) | instid1(VALU_DEP_1)
	v_dual_max_f32 v163, v164, v164 :: v_dual_max_f32 v164, v165, v165
	v_min_f32_e32 v165, v164, v163
.LBB4_6936:                             ;   in Loop: Header=BB4_6538 Depth=3
	s_delay_alu instid0(VALU_DEP_1) | instskip(NEXT) | instid1(VALU_DEP_1)
	v_and_b32_e32 v163, 0x7f800000, v165
	v_cmp_ne_u32_e32 vcc_lo, 0x7f800000, v163
	v_mov_b32_e32 v163, 0x80
	s_and_saveexec_b32 s17, vcc_lo
	s_cbranch_execz .LBB4_6944
; %bb.6937:                             ;   in Loop: Header=BB4_6538 Depth=3
	v_mov_b32_e32 v163, 0
	s_mov_b32 s31, exec_lo
	v_cmpx_ne_u32_e32 0, v165
	s_cbranch_execz .LBB4_6943
; %bb.6938:                             ;   in Loop: Header=BB4_6538 Depth=3
	v_bfe_u32 v163, v165, 23, 8
	v_and_b32_e32 v164, 0x7fffff, v165
	s_delay_alu instid0(VALU_DEP_2) | instskip(SKIP_1) | instid1(VALU_DEP_3)
	v_sub_nc_u32_e32 v166, 0x78, v163
	v_cmp_gt_u32_e32 vcc_lo, 0x79, v163
	v_or_b32_e32 v167, 0x800000, v164
	s_delay_alu instid0(VALU_DEP_3) | instskip(SKIP_2) | instid1(VALU_DEP_3)
	v_cndmask_b32_e32 v166, 0, v166, vcc_lo
	v_cmp_eq_u32_e32 vcc_lo, 0, v163
	v_add_nc_u32_e32 v163, 0xffffff89, v163
	v_cndmask_b32_e64 v166, v166, 0x77, vcc_lo
	v_cndmask_b32_e32 v164, v167, v164, vcc_lo
	s_delay_alu instid0(VALU_DEP_3) | instskip(NEXT) | instid1(VALU_DEP_3)
	v_cndmask_b32_e64 v163, v163, 0xffffff8a, vcc_lo
	v_lshl_add_u32 v167, 0x100000, v166, -1
	s_delay_alu instid0(VALU_DEP_3) | instskip(SKIP_1) | instid1(VALU_DEP_4)
	v_lshrrev_b32_e32 v176, v166, v164
	v_lshlrev_b32_e64 v178, v166, 0x80000
	v_add_nc_u32_e32 v166, v166, v163
	s_delay_alu instid0(VALU_DEP_4) | instskip(NEXT) | instid1(VALU_DEP_4)
	v_and_b32_e32 v164, v167, v164
	v_bfe_u32 v177, v176, 20, 1
	s_delay_alu instid0(VALU_DEP_2) | instskip(NEXT) | instid1(VALU_DEP_2)
	v_cmp_eq_u32_e64 s13, v164, v178
	v_add_nc_u32_e32 v167, -1, v177
	s_delay_alu instid0(VALU_DEP_1) | instskip(SKIP_2) | instid1(VALU_DEP_2)
	v_cndmask_b32_e64 v164, 0, v167, s13
	v_lshrrev_b32_e32 v167, 23, v176
	s_mov_b32 s13, exec_lo
	v_add_nc_u32_e32 v164, v164, v176
	s_delay_alu instid0(VALU_DEP_2) | instskip(NEXT) | instid1(VALU_DEP_2)
	v_xor_b32_e32 v167, 1, v167
	v_and_b32_e32 v163, 0xfffff, v164
	s_delay_alu instid0(VALU_DEP_1) | instskip(NEXT) | instid1(VALU_DEP_3)
	v_add_nc_u32_e32 v164, v163, v176
                                        ; implicit-def: $vgpr163
	v_cmpx_ne_u32_e64 v166, v167
	s_xor_b32 s13, exec_lo, s13
; %bb.6939:                             ;   in Loop: Header=BB4_6538 Depth=3
	s_delay_alu instid0(VALU_DEP_2) | instskip(SKIP_2) | instid1(VALU_DEP_2)
	v_cmp_lt_u32_e32 vcc_lo, 0xffffff, v164
	v_sub_nc_u32_e32 v163, v166, v167
	v_cndmask_b32_e64 v166, 0, 1, vcc_lo
	v_add_co_ci_u32_e32 v163, vcc_lo, 0, v163, vcc_lo
	s_delay_alu instid0(VALU_DEP_2)
	v_lshrrev_b32_e32 v164, v166, v164
; %bb.6940:                             ;   in Loop: Header=BB4_6538 Depth=3
	s_and_not1_saveexec_b32 s13, s13
; %bb.6941:                             ;   in Loop: Header=BB4_6538 Depth=3
	s_delay_alu instid0(VALU_DEP_1)
	v_bfe_u32 v163, v164, 23, 1
; %bb.6942:                             ;   in Loop: Header=BB4_6538 Depth=3
	s_or_b32 exec_lo, exec_lo, s13
	v_lshrrev_b32_e32 v164, 20, v164
	s_delay_alu instid0(VALU_DEP_2) | instskip(SKIP_2) | instid1(VALU_DEP_2)
	v_cmp_gt_i32_e32 vcc_lo, 16, v163
	v_lshrrev_b32_e32 v165, 24, v165
	v_min_i32_e32 v166, 15, v163
	v_dual_cndmask_b32 v164, 7, v164 :: v_dual_and_b32 v165, 0x80, v165
	s_delay_alu instid0(VALU_DEP_1) | instskip(SKIP_1) | instid1(VALU_DEP_2)
	v_or_b32_e32 v163, v163, v164
	v_and_b32_e32 v167, 7, v164
	v_cmp_ne_u32_e32 vcc_lo, 0, v163
	v_lshlrev_b32_e32 v166, 3, v166
	s_delay_alu instid0(VALU_DEP_1) | instskip(NEXT) | instid1(VALU_DEP_1)
	v_or3_b32 v164, v166, v165, v167
	v_cndmask_b32_e32 v163, 0, v164, vcc_lo
.LBB4_6943:                             ;   in Loop: Header=BB4_6538 Depth=3
	s_or_b32 exec_lo, exec_lo, s31
.LBB4_6944:                             ;   in Loop: Header=BB4_6538 Depth=3
	s_delay_alu instid0(SALU_CYCLE_1)
	s_or_b32 exec_lo, exec_lo, s17
	v_lshrrev_b32_e32 v165, 16, v23
	v_lshrrev_b32_e32 v164, 16, v19
	s_and_b32 vcc_lo, exec_lo, s16
	s_cbranch_vccz .LBB4_6954
; %bb.6945:                             ;   in Loop: Header=BB4_6538 Depth=3
	s_delay_alu instid0(VALU_DEP_2) | instskip(SKIP_2) | instid1(VALU_DEP_1)
	v_and_b32_e32 v167, 0xff, v165
	s_mov_b32 s13, 0
	s_mov_b32 s31, exec_lo
                                        ; implicit-def: $sgpr17
	v_cmpx_lt_i16_e64 0x7f, v167
	s_xor_b32 s31, exec_lo, s31
	s_cbranch_execnz .LBB4_7688
; %bb.6946:                             ;   in Loop: Header=BB4_6538 Depth=3
	s_or_saveexec_b32 s31, s31
	v_mov_b32_e32 v166, s17
	s_xor_b32 exec_lo, exec_lo, s31
	s_cbranch_execnz .LBB4_7691
.LBB4_6947:                             ;   in Loop: Header=BB4_6538 Depth=3
	s_or_b32 exec_lo, exec_lo, s31
	s_and_saveexec_b32 s17, s13
	s_cbranch_execz .LBB4_6949
.LBB4_6948:                             ;   in Loop: Header=BB4_6538 Depth=3
	v_bfe_u32 v166, v23, 16, 3
	v_bfe_u32 v177, v23, 19, 4
	v_lshlrev_b32_e32 v178, 24, v165
	s_delay_alu instid0(VALU_DEP_3) | instskip(NEXT) | instid1(VALU_DEP_3)
	v_clz_i32_u32_e32 v167, v166
	v_cmp_eq_u32_e32 vcc_lo, 0, v177
	s_delay_alu instid0(VALU_DEP_2) | instskip(NEXT) | instid1(VALU_DEP_1)
	v_min_u32_e32 v167, 32, v167
	v_subrev_nc_u32_e32 v176, 28, v167
	v_sub_nc_u32_e32 v167, 29, v167
	s_delay_alu instid0(VALU_DEP_1) | instskip(NEXT) | instid1(VALU_DEP_1)
	v_dual_cndmask_b32 v167, v177, v167 :: v_dual_lshlrev_b32 v176, v176, v165
	v_and_b32_e32 v176, 7, v176
	s_delay_alu instid0(VALU_DEP_2) | instskip(NEXT) | instid1(VALU_DEP_2)
	v_lshl_add_u32 v167, v167, 23, 0x3b800000
	v_cndmask_b32_e32 v166, v166, v176, vcc_lo
	v_and_b32_e32 v176, 0x80000000, v178
	s_delay_alu instid0(VALU_DEP_2) | instskip(NEXT) | instid1(VALU_DEP_1)
	v_lshlrev_b32_e32 v166, 20, v166
	v_or3_b32 v166, v176, v167, v166
.LBB4_6949:                             ;   in Loop: Header=BB4_6538 Depth=3
	s_or_b32 exec_lo, exec_lo, s17
	v_and_b32_e32 v176, 0xff, v164
	s_mov_b32 s13, 0
	s_mov_b32 s31, exec_lo
                                        ; implicit-def: $sgpr17
	s_delay_alu instid0(VALU_DEP_1)
	v_cmpx_lt_i16_e64 0x7f, v176
	s_xor_b32 s31, exec_lo, s31
	s_cbranch_execnz .LBB4_7692
; %bb.6950:                             ;   in Loop: Header=BB4_6538 Depth=3
	s_or_saveexec_b32 s31, s31
	v_mov_b32_e32 v167, s17
	s_xor_b32 exec_lo, exec_lo, s31
	s_cbranch_execnz .LBB4_7695
.LBB4_6951:                             ;   in Loop: Header=BB4_6538 Depth=3
	s_or_b32 exec_lo, exec_lo, s31
	s_and_saveexec_b32 s17, s13
	s_cbranch_execz .LBB4_6953
.LBB4_6952:                             ;   in Loop: Header=BB4_6538 Depth=3
	v_bfe_u32 v167, v19, 16, 3
	v_bfe_u32 v178, v19, 19, 4
	v_lshlrev_b32_e32 v179, 24, v164
	s_delay_alu instid0(VALU_DEP_3) | instskip(NEXT) | instid1(VALU_DEP_3)
	v_clz_i32_u32_e32 v176, v167
	v_cmp_eq_u32_e32 vcc_lo, 0, v178
	s_delay_alu instid0(VALU_DEP_2) | instskip(NEXT) | instid1(VALU_DEP_1)
	v_min_u32_e32 v176, 32, v176
	v_subrev_nc_u32_e32 v177, 28, v176
	v_sub_nc_u32_e32 v176, 29, v176
	s_delay_alu instid0(VALU_DEP_2) | instskip(NEXT) | instid1(VALU_DEP_1)
	v_lshlrev_b32_e32 v177, v177, v164
	v_dual_cndmask_b32 v176, v178, v176 :: v_dual_and_b32 v177, 7, v177
	s_delay_alu instid0(VALU_DEP_1) | instskip(NEXT) | instid1(VALU_DEP_2)
	v_lshl_add_u32 v176, v176, 23, 0x3b800000
	v_cndmask_b32_e32 v167, v167, v177, vcc_lo
	v_and_b32_e32 v177, 0x80000000, v179
	s_delay_alu instid0(VALU_DEP_2) | instskip(NEXT) | instid1(VALU_DEP_1)
	v_lshlrev_b32_e32 v167, 20, v167
	v_or3_b32 v167, v177, v176, v167
.LBB4_6953:                             ;   in Loop: Header=BB4_6538 Depth=3
	s_or_b32 exec_lo, exec_lo, s17
	s_delay_alu instid0(VALU_DEP_1) | instskip(SKIP_1) | instid1(VALU_DEP_1)
	v_dual_max_f32 v167, v167, v167 :: v_dual_max_f32 v166, v166, v166
	s_mov_b32 s13, 0
	v_max_f32_e32 v166, v166, v167
	s_branch .LBB4_6955
.LBB4_6954:                             ;   in Loop: Header=BB4_6538 Depth=3
	s_mov_b32 s13, -1
                                        ; implicit-def: $vgpr166
.LBB4_6955:                             ;   in Loop: Header=BB4_6538 Depth=3
	s_delay_alu instid0(SALU_CYCLE_1)
	s_and_b32 vcc_lo, exec_lo, s13
	s_cbranch_vccz .LBB4_6965
; %bb.6956:                             ;   in Loop: Header=BB4_6538 Depth=3
	v_and_b32_e32 v167, 0xff, v165
	s_mov_b32 s13, 0
	s_mov_b32 s31, exec_lo
                                        ; implicit-def: $sgpr17
	s_delay_alu instid0(VALU_DEP_1)
	v_cmpx_lt_i16_e64 0x7f, v167
	s_xor_b32 s31, exec_lo, s31
	s_cbranch_execnz .LBB4_7696
; %bb.6957:                             ;   in Loop: Header=BB4_6538 Depth=3
	s_or_saveexec_b32 s31, s31
	v_mov_b32_e32 v166, s17
	s_xor_b32 exec_lo, exec_lo, s31
	s_cbranch_execnz .LBB4_7699
.LBB4_6958:                             ;   in Loop: Header=BB4_6538 Depth=3
	s_or_b32 exec_lo, exec_lo, s31
	s_and_saveexec_b32 s17, s13
	s_cbranch_execz .LBB4_6960
.LBB4_6959:                             ;   in Loop: Header=BB4_6538 Depth=3
	v_bfe_u32 v166, v23, 16, 3
	v_bfe_u32 v177, v23, 19, 4
	s_delay_alu instid0(VALU_DEP_2) | instskip(NEXT) | instid1(VALU_DEP_2)
	v_clz_i32_u32_e32 v167, v166
	v_cmp_eq_u32_e32 vcc_lo, 0, v177
	s_delay_alu instid0(VALU_DEP_2) | instskip(NEXT) | instid1(VALU_DEP_1)
	v_min_u32_e32 v167, 32, v167
	v_subrev_nc_u32_e32 v176, 28, v167
	v_sub_nc_u32_e32 v167, 29, v167
	s_delay_alu instid0(VALU_DEP_1) | instskip(NEXT) | instid1(VALU_DEP_1)
	v_dual_cndmask_b32 v167, v177, v167 :: v_dual_lshlrev_b32 v176, v176, v165
	v_and_b32_e32 v176, 7, v176
	v_lshlrev_b32_e32 v165, 24, v165
	s_delay_alu instid0(VALU_DEP_3) | instskip(NEXT) | instid1(VALU_DEP_2)
	v_lshl_add_u32 v167, v167, 23, 0x3b800000
	v_dual_cndmask_b32 v166, v166, v176 :: v_dual_and_b32 v165, 0x80000000, v165
	s_delay_alu instid0(VALU_DEP_1) | instskip(NEXT) | instid1(VALU_DEP_1)
	v_lshlrev_b32_e32 v166, 20, v166
	v_or3_b32 v166, v165, v167, v166
.LBB4_6960:                             ;   in Loop: Header=BB4_6538 Depth=3
	s_or_b32 exec_lo, exec_lo, s17
	v_and_b32_e32 v167, 0xff, v164
	s_mov_b32 s13, 0
	s_mov_b32 s31, exec_lo
                                        ; implicit-def: $sgpr17
	s_delay_alu instid0(VALU_DEP_1)
	v_cmpx_lt_i16_e64 0x7f, v167
	s_xor_b32 s31, exec_lo, s31
	s_cbranch_execnz .LBB4_7700
; %bb.6961:                             ;   in Loop: Header=BB4_6538 Depth=3
	s_or_saveexec_b32 s31, s31
	v_mov_b32_e32 v165, s17
	s_xor_b32 exec_lo, exec_lo, s31
	s_cbranch_execnz .LBB4_7703
.LBB4_6962:                             ;   in Loop: Header=BB4_6538 Depth=3
	s_or_b32 exec_lo, exec_lo, s31
	s_and_saveexec_b32 s17, s13
	s_cbranch_execz .LBB4_6964
.LBB4_6963:                             ;   in Loop: Header=BB4_6538 Depth=3
	v_bfe_u32 v165, v19, 16, 3
	v_bfe_u32 v177, v19, 19, 4
	s_delay_alu instid0(VALU_DEP_2) | instskip(NEXT) | instid1(VALU_DEP_2)
	v_clz_i32_u32_e32 v167, v165
	v_cmp_eq_u32_e32 vcc_lo, 0, v177
	s_delay_alu instid0(VALU_DEP_2) | instskip(NEXT) | instid1(VALU_DEP_1)
	v_min_u32_e32 v167, 32, v167
	v_subrev_nc_u32_e32 v176, 28, v167
	v_sub_nc_u32_e32 v167, 29, v167
	s_delay_alu instid0(VALU_DEP_1) | instskip(SKIP_1) | instid1(VALU_DEP_2)
	v_dual_cndmask_b32 v167, v177, v167 :: v_dual_lshlrev_b32 v176, v176, v164
	v_lshlrev_b32_e32 v164, 24, v164
	v_and_b32_e32 v176, 7, v176
	s_delay_alu instid0(VALU_DEP_3) | instskip(NEXT) | instid1(VALU_DEP_3)
	v_lshl_add_u32 v167, v167, 23, 0x3b800000
	v_and_b32_e32 v164, 0x80000000, v164
	s_delay_alu instid0(VALU_DEP_3) | instskip(NEXT) | instid1(VALU_DEP_1)
	v_cndmask_b32_e32 v165, v165, v176, vcc_lo
	v_lshlrev_b32_e32 v165, 20, v165
	s_delay_alu instid0(VALU_DEP_1)
	v_or3_b32 v165, v164, v167, v165
.LBB4_6964:                             ;   in Loop: Header=BB4_6538 Depth=3
	s_or_b32 exec_lo, exec_lo, s17
	s_delay_alu instid0(VALU_DEP_1) | instskip(NEXT) | instid1(VALU_DEP_1)
	v_dual_max_f32 v164, v165, v165 :: v_dual_max_f32 v165, v166, v166
	v_min_f32_e32 v166, v165, v164
.LBB4_6965:                             ;   in Loop: Header=BB4_6538 Depth=3
	s_delay_alu instid0(VALU_DEP_1) | instskip(NEXT) | instid1(VALU_DEP_1)
	v_and_b32_e32 v164, 0x7f800000, v166
	v_cmp_ne_u32_e32 vcc_lo, 0x7f800000, v164
	v_mov_b32_e32 v164, 0x80
	s_and_saveexec_b32 s17, vcc_lo
	s_cbranch_execz .LBB4_6973
; %bb.6966:                             ;   in Loop: Header=BB4_6538 Depth=3
	v_mov_b32_e32 v164, 0
	s_mov_b32 s31, exec_lo
	v_cmpx_ne_u32_e32 0, v166
	s_cbranch_execz .LBB4_6972
; %bb.6967:                             ;   in Loop: Header=BB4_6538 Depth=3
	v_bfe_u32 v164, v166, 23, 8
	v_and_b32_e32 v165, 0x7fffff, v166
	s_delay_alu instid0(VALU_DEP_2) | instskip(SKIP_1) | instid1(VALU_DEP_3)
	v_sub_nc_u32_e32 v167, 0x78, v164
	v_cmp_gt_u32_e32 vcc_lo, 0x79, v164
	v_or_b32_e32 v176, 0x800000, v165
	s_delay_alu instid0(VALU_DEP_3) | instskip(SKIP_2) | instid1(VALU_DEP_3)
	v_cndmask_b32_e32 v167, 0, v167, vcc_lo
	v_cmp_eq_u32_e32 vcc_lo, 0, v164
	v_add_nc_u32_e32 v164, 0xffffff89, v164
	v_cndmask_b32_e64 v167, v167, 0x77, vcc_lo
	v_cndmask_b32_e32 v165, v176, v165, vcc_lo
	s_delay_alu instid0(VALU_DEP_3) | instskip(NEXT) | instid1(VALU_DEP_3)
	v_cndmask_b32_e64 v164, v164, 0xffffff8a, vcc_lo
	v_lshl_add_u32 v176, 0x100000, v167, -1
	s_delay_alu instid0(VALU_DEP_3) | instskip(SKIP_1) | instid1(VALU_DEP_4)
	v_lshrrev_b32_e32 v177, v167, v165
	v_lshlrev_b32_e64 v179, v167, 0x80000
	v_add_nc_u32_e32 v167, v167, v164
	s_delay_alu instid0(VALU_DEP_4) | instskip(NEXT) | instid1(VALU_DEP_4)
	v_and_b32_e32 v165, v176, v165
	v_bfe_u32 v178, v177, 20, 1
	s_delay_alu instid0(VALU_DEP_2) | instskip(NEXT) | instid1(VALU_DEP_2)
	v_cmp_eq_u32_e64 s13, v165, v179
	v_add_nc_u32_e32 v176, -1, v178
	s_delay_alu instid0(VALU_DEP_1) | instskip(SKIP_2) | instid1(VALU_DEP_2)
	v_cndmask_b32_e64 v165, 0, v176, s13
	v_lshrrev_b32_e32 v176, 23, v177
	s_mov_b32 s13, exec_lo
	v_add_nc_u32_e32 v165, v165, v177
	s_delay_alu instid0(VALU_DEP_2) | instskip(NEXT) | instid1(VALU_DEP_2)
	v_xor_b32_e32 v176, 1, v176
	v_and_b32_e32 v164, 0xfffff, v165
	s_delay_alu instid0(VALU_DEP_1) | instskip(NEXT) | instid1(VALU_DEP_3)
	v_add_nc_u32_e32 v165, v164, v177
                                        ; implicit-def: $vgpr164
	v_cmpx_ne_u32_e64 v167, v176
	s_xor_b32 s13, exec_lo, s13
; %bb.6968:                             ;   in Loop: Header=BB4_6538 Depth=3
	s_delay_alu instid0(VALU_DEP_2) | instskip(SKIP_2) | instid1(VALU_DEP_2)
	v_cmp_lt_u32_e32 vcc_lo, 0xffffff, v165
	v_sub_nc_u32_e32 v164, v167, v176
	v_cndmask_b32_e64 v167, 0, 1, vcc_lo
	v_add_co_ci_u32_e32 v164, vcc_lo, 0, v164, vcc_lo
	s_delay_alu instid0(VALU_DEP_2)
	v_lshrrev_b32_e32 v165, v167, v165
; %bb.6969:                             ;   in Loop: Header=BB4_6538 Depth=3
	s_and_not1_saveexec_b32 s13, s13
; %bb.6970:                             ;   in Loop: Header=BB4_6538 Depth=3
	s_delay_alu instid0(VALU_DEP_1)
	v_bfe_u32 v164, v165, 23, 1
; %bb.6971:                             ;   in Loop: Header=BB4_6538 Depth=3
	s_or_b32 exec_lo, exec_lo, s13
	v_lshrrev_b32_e32 v165, 20, v165
	s_delay_alu instid0(VALU_DEP_2) | instskip(SKIP_2) | instid1(VALU_DEP_2)
	v_cmp_gt_i32_e32 vcc_lo, 16, v164
	v_lshrrev_b32_e32 v166, 24, v166
	v_min_i32_e32 v167, 15, v164
	v_dual_cndmask_b32 v165, 7, v165 :: v_dual_and_b32 v166, 0x80, v166
	s_delay_alu instid0(VALU_DEP_1) | instskip(SKIP_1) | instid1(VALU_DEP_2)
	v_or_b32_e32 v164, v164, v165
	v_and_b32_e32 v176, 7, v165
	v_cmp_ne_u32_e32 vcc_lo, 0, v164
	v_lshlrev_b32_e32 v167, 3, v167
	s_delay_alu instid0(VALU_DEP_1) | instskip(NEXT) | instid1(VALU_DEP_1)
	v_and_b32_e32 v167, 0xf8, v167
	v_or3_b32 v165, v167, v166, v176
	s_delay_alu instid0(VALU_DEP_1)
	v_cndmask_b32_e32 v164, 0, v165, vcc_lo
.LBB4_6972:                             ;   in Loop: Header=BB4_6538 Depth=3
	s_or_b32 exec_lo, exec_lo, s31
.LBB4_6973:                             ;   in Loop: Header=BB4_6538 Depth=3
	s_delay_alu instid0(SALU_CYCLE_1)
	s_or_b32 exec_lo, exec_lo, s17
	v_lshrrev_b32_e32 v166, 24, v23
	v_lshrrev_b32_e32 v165, 24, v19
	s_and_b32 vcc_lo, exec_lo, s16
	s_cbranch_vccz .LBB4_6983
; %bb.6974:                             ;   in Loop: Header=BB4_6538 Depth=3
	s_mov_b32 s13, 0
	s_mov_b32 s31, exec_lo
                                        ; implicit-def: $sgpr17
	v_cmpx_lt_i16_e64 0x7f, v166
	s_xor_b32 s31, exec_lo, s31
	s_cbranch_execnz .LBB4_7704
; %bb.6975:                             ;   in Loop: Header=BB4_6538 Depth=3
	s_or_saveexec_b32 s31, s31
	v_mov_b32_e32 v167, s17
	s_xor_b32 exec_lo, exec_lo, s31
	s_cbranch_execnz .LBB4_7707
.LBB4_6976:                             ;   in Loop: Header=BB4_6538 Depth=3
	s_or_b32 exec_lo, exec_lo, s31
	s_and_saveexec_b32 s17, s13
	s_cbranch_execz .LBB4_6978
.LBB4_6977:                             ;   in Loop: Header=BB4_6538 Depth=3
	v_bfe_u32 v167, v23, 24, 3
	v_bfe_u32 v178, v23, 27, 4
	s_delay_alu instid0(VALU_DEP_2) | instskip(NEXT) | instid1(VALU_DEP_2)
	v_clz_i32_u32_e32 v176, v167
	v_cmp_eq_u32_e32 vcc_lo, 0, v178
	s_delay_alu instid0(VALU_DEP_2) | instskip(NEXT) | instid1(VALU_DEP_1)
	v_min_u32_e32 v176, 32, v176
	v_subrev_nc_u32_e32 v177, 28, v176
	v_sub_nc_u32_e32 v176, 29, v176
	s_delay_alu instid0(VALU_DEP_1) | instskip(NEXT) | instid1(VALU_DEP_1)
	v_dual_cndmask_b32 v176, v178, v176 :: v_dual_lshlrev_b32 v177, v177, v166
	v_and_b32_e32 v177, 7, v177
	s_delay_alu instid0(VALU_DEP_2) | instskip(NEXT) | instid1(VALU_DEP_2)
	v_lshl_add_u32 v176, v176, 23, 0x3b800000
	v_cndmask_b32_e32 v167, v167, v177, vcc_lo
	v_and_b32_e32 v177, 0x80000000, v23
	s_delay_alu instid0(VALU_DEP_2) | instskip(NEXT) | instid1(VALU_DEP_1)
	v_lshlrev_b32_e32 v167, 20, v167
	v_or3_b32 v167, v177, v176, v167
.LBB4_6978:                             ;   in Loop: Header=BB4_6538 Depth=3
	s_or_b32 exec_lo, exec_lo, s17
	s_mov_b32 s13, 0
	s_mov_b32 s31, exec_lo
                                        ; implicit-def: $sgpr17
	v_cmpx_lt_i16_e64 0x7f, v165
	s_xor_b32 s31, exec_lo, s31
	s_cbranch_execnz .LBB4_7708
; %bb.6979:                             ;   in Loop: Header=BB4_6538 Depth=3
	s_or_saveexec_b32 s31, s31
	v_mov_b32_e32 v176, s17
	s_xor_b32 exec_lo, exec_lo, s31
	s_cbranch_execnz .LBB4_7711
.LBB4_6980:                             ;   in Loop: Header=BB4_6538 Depth=3
	s_or_b32 exec_lo, exec_lo, s31
	s_and_saveexec_b32 s17, s13
	s_cbranch_execz .LBB4_6982
.LBB4_6981:                             ;   in Loop: Header=BB4_6538 Depth=3
	v_bfe_u32 v176, v19, 24, 3
	v_bfe_u32 v179, v19, 27, 4
	s_delay_alu instid0(VALU_DEP_2) | instskip(NEXT) | instid1(VALU_DEP_2)
	v_clz_i32_u32_e32 v177, v176
	v_cmp_eq_u32_e32 vcc_lo, 0, v179
	s_delay_alu instid0(VALU_DEP_2) | instskip(NEXT) | instid1(VALU_DEP_1)
	v_min_u32_e32 v177, 32, v177
	v_subrev_nc_u32_e32 v178, 28, v177
	v_sub_nc_u32_e32 v177, 29, v177
	s_delay_alu instid0(VALU_DEP_2) | instskip(NEXT) | instid1(VALU_DEP_1)
	v_lshlrev_b32_e32 v178, v178, v165
	v_dual_cndmask_b32 v177, v179, v177 :: v_dual_and_b32 v178, 7, v178
	s_delay_alu instid0(VALU_DEP_1) | instskip(NEXT) | instid1(VALU_DEP_2)
	v_lshl_add_u32 v177, v177, 23, 0x3b800000
	v_cndmask_b32_e32 v176, v176, v178, vcc_lo
	v_and_b32_e32 v178, 0x80000000, v19
	s_delay_alu instid0(VALU_DEP_2) | instskip(NEXT) | instid1(VALU_DEP_1)
	v_lshlrev_b32_e32 v176, 20, v176
	v_or3_b32 v176, v178, v177, v176
.LBB4_6982:                             ;   in Loop: Header=BB4_6538 Depth=3
	s_or_b32 exec_lo, exec_lo, s17
	s_delay_alu instid0(VALU_DEP_1) | instskip(SKIP_1) | instid1(VALU_DEP_1)
	v_dual_max_f32 v176, v176, v176 :: v_dual_max_f32 v167, v167, v167
	s_mov_b32 s13, 0
	v_max_f32_e32 v167, v167, v176
	s_branch .LBB4_6984
.LBB4_6983:                             ;   in Loop: Header=BB4_6538 Depth=3
	s_mov_b32 s13, -1
                                        ; implicit-def: $vgpr167
.LBB4_6984:                             ;   in Loop: Header=BB4_6538 Depth=3
	s_delay_alu instid0(SALU_CYCLE_1)
	s_and_b32 vcc_lo, exec_lo, s13
	s_cbranch_vccz .LBB4_6994
; %bb.6985:                             ;   in Loop: Header=BB4_6538 Depth=3
	s_mov_b32 s13, 0
	s_mov_b32 s31, exec_lo
                                        ; implicit-def: $sgpr17
	v_cmpx_lt_i16_e64 0x7f, v166
	s_xor_b32 s31, exec_lo, s31
	s_cbranch_execnz .LBB4_7712
; %bb.6986:                             ;   in Loop: Header=BB4_6538 Depth=3
	s_or_saveexec_b32 s31, s31
	v_mov_b32_e32 v167, s17
	s_xor_b32 exec_lo, exec_lo, s31
	s_cbranch_execnz .LBB4_7715
.LBB4_6987:                             ;   in Loop: Header=BB4_6538 Depth=3
	s_or_b32 exec_lo, exec_lo, s31
	s_and_saveexec_b32 s17, s13
	s_cbranch_execz .LBB4_6989
.LBB4_6988:                             ;   in Loop: Header=BB4_6538 Depth=3
	v_bfe_u32 v167, v23, 24, 3
	s_delay_alu instid0(VALU_DEP_1) | instskip(NEXT) | instid1(VALU_DEP_1)
	v_clz_i32_u32_e32 v176, v167
	v_min_u32_e32 v176, 32, v176
	s_delay_alu instid0(VALU_DEP_1) | instskip(SKIP_1) | instid1(VALU_DEP_2)
	v_subrev_nc_u32_e32 v177, 28, v176
	v_sub_nc_u32_e32 v176, 29, v176
	v_lshlrev_b32_e32 v166, v177, v166
	v_bfe_u32 v177, v23, 27, 4
	v_and_b32_e32 v23, 0x80000000, v23
	s_delay_alu instid0(VALU_DEP_3) | instskip(NEXT) | instid1(VALU_DEP_3)
	v_and_b32_e32 v166, 7, v166
	v_cmp_eq_u32_e32 vcc_lo, 0, v177
	v_cndmask_b32_e32 v176, v177, v176, vcc_lo
	s_delay_alu instid0(VALU_DEP_3) | instskip(NEXT) | instid1(VALU_DEP_2)
	v_cndmask_b32_e32 v166, v167, v166, vcc_lo
	v_lshl_add_u32 v167, v176, 23, 0x3b800000
	s_delay_alu instid0(VALU_DEP_2) | instskip(NEXT) | instid1(VALU_DEP_1)
	v_lshlrev_b32_e32 v166, 20, v166
	v_or3_b32 v167, v23, v167, v166
.LBB4_6989:                             ;   in Loop: Header=BB4_6538 Depth=3
	s_or_b32 exec_lo, exec_lo, s17
	s_mov_b32 s13, 0
	s_mov_b32 s31, exec_lo
                                        ; implicit-def: $sgpr17
	v_cmpx_lt_i16_e64 0x7f, v165
	s_xor_b32 s31, exec_lo, s31
	s_cbranch_execnz .LBB4_7716
; %bb.6990:                             ;   in Loop: Header=BB4_6538 Depth=3
	s_or_saveexec_b32 s31, s31
	v_mov_b32_e32 v23, s17
	s_xor_b32 exec_lo, exec_lo, s31
	s_cbranch_execnz .LBB4_7719
.LBB4_6991:                             ;   in Loop: Header=BB4_6538 Depth=3
	s_or_b32 exec_lo, exec_lo, s31
	s_and_saveexec_b32 s17, s13
	s_cbranch_execz .LBB4_6993
.LBB4_6992:                             ;   in Loop: Header=BB4_6538 Depth=3
	v_bfe_u32 v23, v19, 24, 3
	s_delay_alu instid0(VALU_DEP_1) | instskip(NEXT) | instid1(VALU_DEP_1)
	v_clz_i32_u32_e32 v166, v23
	v_min_u32_e32 v166, 32, v166
	s_delay_alu instid0(VALU_DEP_1) | instskip(SKIP_1) | instid1(VALU_DEP_2)
	v_subrev_nc_u32_e32 v176, 28, v166
	v_sub_nc_u32_e32 v166, 29, v166
	v_lshlrev_b32_e32 v165, v176, v165
	v_bfe_u32 v176, v19, 27, 4
	v_and_b32_e32 v19, 0x80000000, v19
	s_delay_alu instid0(VALU_DEP_2) | instskip(NEXT) | instid1(VALU_DEP_4)
	v_cmp_eq_u32_e32 vcc_lo, 0, v176
	v_dual_cndmask_b32 v166, v176, v166 :: v_dual_and_b32 v165, 7, v165
	s_delay_alu instid0(VALU_DEP_1) | instskip(NEXT) | instid1(VALU_DEP_2)
	v_cndmask_b32_e32 v23, v23, v165, vcc_lo
	v_lshl_add_u32 v165, v166, 23, 0x3b800000
	s_delay_alu instid0(VALU_DEP_2) | instskip(NEXT) | instid1(VALU_DEP_1)
	v_lshlrev_b32_e32 v23, 20, v23
	v_or3_b32 v23, v19, v165, v23
.LBB4_6993:                             ;   in Loop: Header=BB4_6538 Depth=3
	s_or_b32 exec_lo, exec_lo, s17
	s_delay_alu instid0(VALU_DEP_1) | instskip(SKIP_1) | instid1(VALU_DEP_1)
	v_max_f32_e32 v19, v23, v23
	v_max_f32_e32 v23, v167, v167
	v_min_f32_e32 v167, v23, v19
.LBB4_6994:                             ;   in Loop: Header=BB4_6538 Depth=3
	s_delay_alu instid0(VALU_DEP_1) | instskip(NEXT) | instid1(VALU_DEP_1)
	v_and_b32_e32 v19, 0x7f800000, v167
	v_cmp_ne_u32_e32 vcc_lo, 0x7f800000, v19
	v_mov_b32_e32 v19, 0x8000
	s_and_saveexec_b32 s17, vcc_lo
	s_cbranch_execz .LBB4_7002
; %bb.6995:                             ;   in Loop: Header=BB4_6538 Depth=3
	v_mov_b32_e32 v19, 0
	s_mov_b32 s31, exec_lo
	v_cmpx_ne_u32_e32 0, v167
	s_cbranch_execz .LBB4_7001
; %bb.6996:                             ;   in Loop: Header=BB4_6538 Depth=3
	v_bfe_u32 v19, v167, 23, 8
	v_and_b32_e32 v23, 0x7fffff, v167
	s_delay_alu instid0(VALU_DEP_2) | instskip(SKIP_1) | instid1(VALU_DEP_3)
	v_sub_nc_u32_e32 v165, 0x78, v19
	v_cmp_gt_u32_e32 vcc_lo, 0x79, v19
	v_or_b32_e32 v166, 0x800000, v23
	s_delay_alu instid0(VALU_DEP_3) | instskip(SKIP_2) | instid1(VALU_DEP_3)
	v_cndmask_b32_e32 v165, 0, v165, vcc_lo
	v_cmp_eq_u32_e32 vcc_lo, 0, v19
	v_add_nc_u32_e32 v19, 0xffffff89, v19
	v_cndmask_b32_e64 v165, v165, 0x77, vcc_lo
	v_cndmask_b32_e32 v23, v166, v23, vcc_lo
	s_delay_alu instid0(VALU_DEP_3) | instskip(NEXT) | instid1(VALU_DEP_3)
	v_cndmask_b32_e64 v19, v19, 0xffffff8a, vcc_lo
	v_lshl_add_u32 v166, 0x100000, v165, -1
	s_delay_alu instid0(VALU_DEP_3) | instskip(SKIP_1) | instid1(VALU_DEP_4)
	v_lshrrev_b32_e32 v176, v165, v23
	v_lshlrev_b32_e64 v178, v165, 0x80000
	v_add_nc_u32_e32 v165, v165, v19
	s_delay_alu instid0(VALU_DEP_4) | instskip(NEXT) | instid1(VALU_DEP_4)
	v_and_b32_e32 v23, v166, v23
	v_bfe_u32 v177, v176, 20, 1
	s_delay_alu instid0(VALU_DEP_2) | instskip(NEXT) | instid1(VALU_DEP_2)
	v_cmp_eq_u32_e64 s13, v23, v178
	v_add_nc_u32_e32 v166, -1, v177
	s_delay_alu instid0(VALU_DEP_1) | instskip(SKIP_2) | instid1(VALU_DEP_2)
	v_cndmask_b32_e64 v23, 0, v166, s13
	v_lshrrev_b32_e32 v166, 23, v176
	s_mov_b32 s13, exec_lo
	v_add_nc_u32_e32 v23, v23, v176
	s_delay_alu instid0(VALU_DEP_2) | instskip(NEXT) | instid1(VALU_DEP_2)
	v_xor_b32_e32 v166, 1, v166
	v_and_b32_e32 v19, 0xfffff, v23
	s_delay_alu instid0(VALU_DEP_1) | instskip(NEXT) | instid1(VALU_DEP_3)
	v_add_nc_u32_e32 v23, v19, v176
                                        ; implicit-def: $vgpr19
	v_cmpx_ne_u32_e64 v165, v166
	s_xor_b32 s13, exec_lo, s13
; %bb.6997:                             ;   in Loop: Header=BB4_6538 Depth=3
	s_delay_alu instid0(VALU_DEP_2) | instskip(SKIP_2) | instid1(VALU_DEP_2)
	v_cmp_lt_u32_e32 vcc_lo, 0xffffff, v23
	v_sub_nc_u32_e32 v19, v165, v166
	v_cndmask_b32_e64 v165, 0, 1, vcc_lo
	v_add_co_ci_u32_e32 v19, vcc_lo, 0, v19, vcc_lo
	s_delay_alu instid0(VALU_DEP_2)
	v_lshrrev_b32_e32 v23, v165, v23
; %bb.6998:                             ;   in Loop: Header=BB4_6538 Depth=3
	s_and_not1_saveexec_b32 s13, s13
; %bb.6999:                             ;   in Loop: Header=BB4_6538 Depth=3
	s_delay_alu instid0(VALU_DEP_1)
	v_bfe_u32 v19, v23, 23, 1
; %bb.7000:                             ;   in Loop: Header=BB4_6538 Depth=3
	s_or_b32 exec_lo, exec_lo, s13
	v_lshrrev_b32_e32 v23, 20, v23
	s_delay_alu instid0(VALU_DEP_2) | instskip(SKIP_2) | instid1(VALU_DEP_3)
	v_min_i32_e32 v165, 15, v19
	v_cmp_gt_i32_e32 vcc_lo, 16, v19
	v_lshrrev_b32_e32 v166, 24, v167
	v_lshlrev_b32_e32 v165, 3, v165
	s_delay_alu instid0(VALU_DEP_2) | instskip(NEXT) | instid1(VALU_DEP_2)
	v_dual_cndmask_b32 v23, 7, v23 :: v_dual_and_b32 v166, 0x80, v166
	v_and_b32_e32 v165, 0xf8, v165
	s_delay_alu instid0(VALU_DEP_2) | instskip(SKIP_1) | instid1(VALU_DEP_2)
	v_and_b32_e32 v167, 7, v23
	v_or_b32_e32 v19, v19, v23
	v_or3_b32 v165, v166, v165, v167
	s_delay_alu instid0(VALU_DEP_2) | instskip(NEXT) | instid1(VALU_DEP_2)
	v_cmp_ne_u32_e32 vcc_lo, 0, v19
	v_lshlrev_b32_e32 v23, 8, v165
	s_delay_alu instid0(VALU_DEP_1)
	v_cndmask_b32_e32 v19, 0, v23, vcc_lo
.LBB4_7001:                             ;   in Loop: Header=BB4_6538 Depth=3
	s_or_b32 exec_lo, exec_lo, s31
.LBB4_7002:                             ;   in Loop: Header=BB4_6538 Depth=3
	s_delay_alu instid0(SALU_CYCLE_1) | instskip(NEXT) | instid1(SALU_CYCLE_1)
	s_or_b32 exec_lo, exec_lo, s17
	s_and_not1_b32 vcc_lo, exec_lo, s16
	s_cbranch_vccnz .LBB4_7012
; %bb.7003:                             ;   in Loop: Header=BB4_6538 Depth=3
	v_and_b32_e32 v165, 0xff, v12
	s_mov_b32 s13, 0
	s_mov_b32 s31, exec_lo
                                        ; implicit-def: $sgpr17
	s_delay_alu instid0(VALU_DEP_1)
	v_cmpx_lt_i16_e64 0x7f, v165
	s_xor_b32 s31, exec_lo, s31
	s_cbranch_execnz .LBB4_7720
; %bb.7004:                             ;   in Loop: Header=BB4_6538 Depth=3
	s_or_saveexec_b32 s31, s31
	v_mov_b32_e32 v23, s17
	s_xor_b32 exec_lo, exec_lo, s31
	s_cbranch_execnz .LBB4_7723
.LBB4_7005:                             ;   in Loop: Header=BB4_6538 Depth=3
	s_or_b32 exec_lo, exec_lo, s31
	s_and_saveexec_b32 s17, s13
	s_cbranch_execz .LBB4_7007
.LBB4_7006:                             ;   in Loop: Header=BB4_6538 Depth=3
	v_and_b32_e32 v23, 7, v12
	v_bfe_u32 v167, v12, 3, 4
	s_delay_alu instid0(VALU_DEP_2) | instskip(NEXT) | instid1(VALU_DEP_2)
	v_clz_i32_u32_e32 v165, v23
	v_cmp_eq_u32_e32 vcc_lo, 0, v167
	s_delay_alu instid0(VALU_DEP_2) | instskip(NEXT) | instid1(VALU_DEP_1)
	v_min_u32_e32 v165, 32, v165
	v_subrev_nc_u32_e32 v166, 28, v165
	v_sub_nc_u32_e32 v165, 29, v165
	s_delay_alu instid0(VALU_DEP_1) | instskip(NEXT) | instid1(VALU_DEP_1)
	v_dual_cndmask_b32 v165, v167, v165 :: v_dual_lshlrev_b32 v166, v166, v12
	v_and_b32_e32 v166, 7, v166
	v_lshlrev_b32_e32 v176, 24, v12
	s_delay_alu instid0(VALU_DEP_3) | instskip(NEXT) | instid1(VALU_DEP_2)
	v_lshl_add_u32 v165, v165, 23, 0x3b800000
	v_dual_cndmask_b32 v23, v23, v166 :: v_dual_and_b32 v166, 0x80000000, v176
	s_delay_alu instid0(VALU_DEP_1) | instskip(NEXT) | instid1(VALU_DEP_1)
	v_lshlrev_b32_e32 v23, 20, v23
	v_or3_b32 v23, v166, v165, v23
.LBB4_7007:                             ;   in Loop: Header=BB4_6538 Depth=3
	s_or_b32 exec_lo, exec_lo, s17
	s_waitcnt vmcnt(0)
	v_and_b32_e32 v166, 0xff, v8
	s_mov_b32 s13, 0
	s_mov_b32 s31, exec_lo
                                        ; implicit-def: $sgpr17
	s_delay_alu instid0(VALU_DEP_1)
	v_cmpx_lt_i16_e64 0x7f, v166
	s_xor_b32 s31, exec_lo, s31
	s_cbranch_execnz .LBB4_7724
; %bb.7008:                             ;   in Loop: Header=BB4_6538 Depth=3
	s_or_saveexec_b32 s31, s31
	v_mov_b32_e32 v165, s17
	s_xor_b32 exec_lo, exec_lo, s31
	s_cbranch_execnz .LBB4_7727
.LBB4_7009:                             ;   in Loop: Header=BB4_6538 Depth=3
	s_or_b32 exec_lo, exec_lo, s31
	s_and_saveexec_b32 s17, s13
	s_cbranch_execz .LBB4_7011
.LBB4_7010:                             ;   in Loop: Header=BB4_6538 Depth=3
	v_bfe_u32 v176, v8, 3, 4
	v_lshlrev_b32_e32 v177, 24, v8
	s_delay_alu instid0(VALU_DEP_2) | instskip(SKIP_1) | instid1(VALU_DEP_1)
	v_cmp_eq_u32_e32 vcc_lo, 0, v176
	v_and_b32_e32 v165, 7, v8
	v_clz_i32_u32_e32 v166, v165
	s_delay_alu instid0(VALU_DEP_1) | instskip(NEXT) | instid1(VALU_DEP_1)
	v_min_u32_e32 v166, 32, v166
	v_subrev_nc_u32_e32 v167, 28, v166
	v_sub_nc_u32_e32 v166, 29, v166
	s_delay_alu instid0(VALU_DEP_1) | instskip(NEXT) | instid1(VALU_DEP_1)
	v_dual_cndmask_b32 v166, v176, v166 :: v_dual_lshlrev_b32 v167, v167, v8
	v_and_b32_e32 v167, 7, v167
	s_delay_alu instid0(VALU_DEP_2) | instskip(NEXT) | instid1(VALU_DEP_2)
	v_lshl_add_u32 v166, v166, 23, 0x3b800000
	v_cndmask_b32_e32 v165, v165, v167, vcc_lo
	v_and_b32_e32 v167, 0x80000000, v177
	s_delay_alu instid0(VALU_DEP_2) | instskip(NEXT) | instid1(VALU_DEP_1)
	v_lshlrev_b32_e32 v165, 20, v165
	v_or3_b32 v165, v167, v166, v165
.LBB4_7011:                             ;   in Loop: Header=BB4_6538 Depth=3
	s_or_b32 exec_lo, exec_lo, s17
	s_delay_alu instid0(VALU_DEP_1) | instskip(SKIP_2) | instid1(VALU_DEP_1)
	v_max_f32_e32 v165, v165, v165
	v_max_f32_e32 v23, v23, v23
	s_mov_b32 s13, 0
	v_max_f32_e32 v165, v23, v165
	s_branch .LBB4_7013
.LBB4_7012:                             ;   in Loop: Header=BB4_6538 Depth=3
	s_mov_b32 s13, -1
                                        ; implicit-def: $vgpr165
.LBB4_7013:                             ;   in Loop: Header=BB4_6538 Depth=3
	s_delay_alu instid0(SALU_CYCLE_1)
	s_and_b32 vcc_lo, exec_lo, s13
	s_cbranch_vccz .LBB4_7023
; %bb.7014:                             ;   in Loop: Header=BB4_6538 Depth=3
	v_and_b32_e32 v165, 0xff, v12
	s_mov_b32 s13, 0
	s_mov_b32 s31, exec_lo
                                        ; implicit-def: $sgpr17
	s_delay_alu instid0(VALU_DEP_1)
	v_cmpx_lt_i16_e64 0x7f, v165
	s_xor_b32 s31, exec_lo, s31
	s_cbranch_execnz .LBB4_7728
; %bb.7015:                             ;   in Loop: Header=BB4_6538 Depth=3
	s_or_saveexec_b32 s31, s31
	v_mov_b32_e32 v23, s17
	s_xor_b32 exec_lo, exec_lo, s31
	s_cbranch_execnz .LBB4_7731
.LBB4_7016:                             ;   in Loop: Header=BB4_6538 Depth=3
	s_or_b32 exec_lo, exec_lo, s31
	s_and_saveexec_b32 s17, s13
	s_cbranch_execz .LBB4_7018
.LBB4_7017:                             ;   in Loop: Header=BB4_6538 Depth=3
	v_and_b32_e32 v23, 7, v12
	v_bfe_u32 v167, v12, 3, 4
	s_delay_alu instid0(VALU_DEP_2) | instskip(NEXT) | instid1(VALU_DEP_2)
	v_clz_i32_u32_e32 v165, v23
	v_cmp_eq_u32_e32 vcc_lo, 0, v167
	s_delay_alu instid0(VALU_DEP_2) | instskip(NEXT) | instid1(VALU_DEP_1)
	v_min_u32_e32 v165, 32, v165
	v_subrev_nc_u32_e32 v166, 28, v165
	v_sub_nc_u32_e32 v165, 29, v165
	s_delay_alu instid0(VALU_DEP_1) | instskip(NEXT) | instid1(VALU_DEP_1)
	v_dual_cndmask_b32 v165, v167, v165 :: v_dual_lshlrev_b32 v166, v166, v12
	v_and_b32_e32 v166, 7, v166
	v_lshlrev_b32_e32 v176, 24, v12
	s_delay_alu instid0(VALU_DEP_3) | instskip(NEXT) | instid1(VALU_DEP_2)
	v_lshl_add_u32 v165, v165, 23, 0x3b800000
	v_dual_cndmask_b32 v23, v23, v166 :: v_dual_and_b32 v166, 0x80000000, v176
	s_delay_alu instid0(VALU_DEP_1) | instskip(NEXT) | instid1(VALU_DEP_1)
	v_lshlrev_b32_e32 v23, 20, v23
	v_or3_b32 v23, v166, v165, v23
.LBB4_7018:                             ;   in Loop: Header=BB4_6538 Depth=3
	s_or_b32 exec_lo, exec_lo, s17
	s_waitcnt vmcnt(0)
	v_and_b32_e32 v166, 0xff, v8
	s_mov_b32 s13, 0
	s_mov_b32 s31, exec_lo
                                        ; implicit-def: $sgpr17
	s_delay_alu instid0(VALU_DEP_1)
	v_cmpx_lt_i16_e64 0x7f, v166
	s_xor_b32 s31, exec_lo, s31
	s_cbranch_execnz .LBB4_7732
; %bb.7019:                             ;   in Loop: Header=BB4_6538 Depth=3
	s_or_saveexec_b32 s31, s31
	v_mov_b32_e32 v165, s17
	s_xor_b32 exec_lo, exec_lo, s31
	s_cbranch_execnz .LBB4_7735
.LBB4_7020:                             ;   in Loop: Header=BB4_6538 Depth=3
	s_or_b32 exec_lo, exec_lo, s31
	s_and_saveexec_b32 s17, s13
	s_cbranch_execz .LBB4_7022
.LBB4_7021:                             ;   in Loop: Header=BB4_6538 Depth=3
	v_bfe_u32 v176, v8, 3, 4
	v_lshlrev_b32_e32 v177, 24, v8
	s_delay_alu instid0(VALU_DEP_2) | instskip(SKIP_1) | instid1(VALU_DEP_1)
	v_cmp_eq_u32_e32 vcc_lo, 0, v176
	v_and_b32_e32 v165, 7, v8
	v_clz_i32_u32_e32 v166, v165
	s_delay_alu instid0(VALU_DEP_1) | instskip(NEXT) | instid1(VALU_DEP_1)
	v_min_u32_e32 v166, 32, v166
	v_subrev_nc_u32_e32 v167, 28, v166
	v_sub_nc_u32_e32 v166, 29, v166
	s_delay_alu instid0(VALU_DEP_1) | instskip(NEXT) | instid1(VALU_DEP_1)
	v_dual_cndmask_b32 v166, v176, v166 :: v_dual_lshlrev_b32 v167, v167, v8
	v_and_b32_e32 v167, 7, v167
	s_delay_alu instid0(VALU_DEP_2) | instskip(NEXT) | instid1(VALU_DEP_2)
	v_lshl_add_u32 v166, v166, 23, 0x3b800000
	v_cndmask_b32_e32 v165, v165, v167, vcc_lo
	v_and_b32_e32 v167, 0x80000000, v177
	s_delay_alu instid0(VALU_DEP_2) | instskip(NEXT) | instid1(VALU_DEP_1)
	v_lshlrev_b32_e32 v165, 20, v165
	v_or3_b32 v165, v167, v166, v165
.LBB4_7022:                             ;   in Loop: Header=BB4_6538 Depth=3
	s_or_b32 exec_lo, exec_lo, s17
	s_delay_alu instid0(VALU_DEP_1) | instskip(SKIP_1) | instid1(VALU_DEP_1)
	v_max_f32_e32 v165, v165, v165
	v_max_f32_e32 v23, v23, v23
	v_min_f32_e32 v165, v23, v165
.LBB4_7023:                             ;   in Loop: Header=BB4_6538 Depth=3
	s_delay_alu instid0(VALU_DEP_1) | instskip(NEXT) | instid1(VALU_DEP_1)
	v_and_b32_e32 v23, 0x7f800000, v165
	v_cmp_ne_u32_e32 vcc_lo, 0x7f800000, v23
	v_mov_b32_e32 v23, 0x80
	s_and_saveexec_b32 s17, vcc_lo
	s_cbranch_execz .LBB4_7031
; %bb.7024:                             ;   in Loop: Header=BB4_6538 Depth=3
	v_mov_b32_e32 v23, 0
	s_mov_b32 s31, exec_lo
	v_cmpx_ne_u32_e32 0, v165
	s_cbranch_execz .LBB4_7030
; %bb.7025:                             ;   in Loop: Header=BB4_6538 Depth=3
	v_bfe_u32 v23, v165, 23, 8
	s_delay_alu instid0(VALU_DEP_1) | instskip(SKIP_1) | instid1(VALU_DEP_2)
	v_sub_nc_u32_e32 v167, 0x78, v23
	v_cmp_gt_u32_e32 vcc_lo, 0x79, v23
	v_dual_cndmask_b32 v167, 0, v167 :: v_dual_and_b32 v166, 0x7fffff, v165
	s_delay_alu instid0(VALU_DEP_1) | instskip(SKIP_2) | instid1(VALU_DEP_4)
	v_or_b32_e32 v176, 0x800000, v166
	v_cmp_eq_u32_e32 vcc_lo, 0, v23
	v_add_nc_u32_e32 v23, 0xffffff89, v23
	v_cndmask_b32_e64 v167, v167, 0x77, vcc_lo
	s_delay_alu instid0(VALU_DEP_4) | instskip(NEXT) | instid1(VALU_DEP_3)
	v_cndmask_b32_e32 v166, v176, v166, vcc_lo
	v_cndmask_b32_e64 v23, v23, 0xffffff8a, vcc_lo
	s_delay_alu instid0(VALU_DEP_3) | instskip(NEXT) | instid1(VALU_DEP_3)
	v_lshl_add_u32 v176, 0x100000, v167, -1
	v_lshrrev_b32_e32 v177, v167, v166
	v_lshlrev_b32_e64 v179, v167, 0x80000
	s_delay_alu instid0(VALU_DEP_4) | instskip(NEXT) | instid1(VALU_DEP_4)
	v_add_nc_u32_e32 v167, v167, v23
	v_and_b32_e32 v166, v176, v166
	s_delay_alu instid0(VALU_DEP_4) | instskip(NEXT) | instid1(VALU_DEP_2)
	v_bfe_u32 v178, v177, 20, 1
	v_cmp_eq_u32_e64 s13, v166, v179
	s_delay_alu instid0(VALU_DEP_2) | instskip(NEXT) | instid1(VALU_DEP_1)
	v_add_nc_u32_e32 v176, -1, v178
	v_cndmask_b32_e64 v166, 0, v176, s13
	v_lshrrev_b32_e32 v176, 23, v177
	s_mov_b32 s13, exec_lo
	s_delay_alu instid0(VALU_DEP_2) | instskip(NEXT) | instid1(VALU_DEP_2)
	v_add_nc_u32_e32 v166, v166, v177
	v_xor_b32_e32 v176, 1, v176
	s_delay_alu instid0(VALU_DEP_2) | instskip(NEXT) | instid1(VALU_DEP_1)
	v_and_b32_e32 v23, 0xfffff, v166
	v_add_nc_u32_e32 v166, v23, v177
                                        ; implicit-def: $vgpr23
	s_delay_alu instid0(VALU_DEP_3)
	v_cmpx_ne_u32_e64 v167, v176
	s_xor_b32 s13, exec_lo, s13
; %bb.7026:                             ;   in Loop: Header=BB4_6538 Depth=3
	s_delay_alu instid0(VALU_DEP_2) | instskip(SKIP_2) | instid1(VALU_DEP_2)
	v_cmp_lt_u32_e32 vcc_lo, 0xffffff, v166
	v_sub_nc_u32_e32 v23, v167, v176
	v_cndmask_b32_e64 v167, 0, 1, vcc_lo
	v_add_co_ci_u32_e32 v23, vcc_lo, 0, v23, vcc_lo
	s_delay_alu instid0(VALU_DEP_2)
	v_lshrrev_b32_e32 v166, v167, v166
; %bb.7027:                             ;   in Loop: Header=BB4_6538 Depth=3
	s_and_not1_saveexec_b32 s13, s13
; %bb.7028:                             ;   in Loop: Header=BB4_6538 Depth=3
	s_delay_alu instid0(VALU_DEP_1)
	v_bfe_u32 v23, v166, 23, 1
; %bb.7029:                             ;   in Loop: Header=BB4_6538 Depth=3
	s_or_b32 exec_lo, exec_lo, s13
	v_lshrrev_b32_e32 v166, 20, v166
	s_delay_alu instid0(VALU_DEP_2) | instskip(SKIP_2) | instid1(VALU_DEP_2)
	v_cmp_gt_i32_e32 vcc_lo, 16, v23
	v_lshrrev_b32_e32 v165, 24, v165
	v_min_i32_e32 v167, 15, v23
	v_dual_cndmask_b32 v166, 7, v166 :: v_dual_and_b32 v165, 0x80, v165
	s_delay_alu instid0(VALU_DEP_2) | instskip(NEXT) | instid1(VALU_DEP_2)
	v_lshlrev_b32_e32 v167, 3, v167
	v_or_b32_e32 v23, v23, v166
	s_delay_alu instid0(VALU_DEP_1) | instskip(SKIP_1) | instid1(VALU_DEP_1)
	v_cmp_ne_u32_e32 vcc_lo, 0, v23
	v_and_b32_e32 v176, 7, v166
	v_or3_b32 v165, v167, v165, v176
	s_delay_alu instid0(VALU_DEP_1)
	v_cndmask_b32_e32 v23, 0, v165, vcc_lo
.LBB4_7030:                             ;   in Loop: Header=BB4_6538 Depth=3
	s_or_b32 exec_lo, exec_lo, s31
.LBB4_7031:                             ;   in Loop: Header=BB4_6538 Depth=3
	s_delay_alu instid0(SALU_CYCLE_1)
	s_or_b32 exec_lo, exec_lo, s17
	v_lshrrev_b16 v166, 8, v12
	s_waitcnt vmcnt(0)
	v_lshrrev_b16 v165, 8, v8
	s_and_not1_b32 vcc_lo, exec_lo, s16
	s_cbranch_vccnz .LBB4_7041
; %bb.7032:                             ;   in Loop: Header=BB4_6538 Depth=3
	s_mov_b32 s13, 0
	s_mov_b32 s31, exec_lo
                                        ; implicit-def: $sgpr17
	v_cmpx_lt_i16_e64 0x7f, v166
	s_xor_b32 s31, exec_lo, s31
	s_cbranch_execnz .LBB4_7736
; %bb.7033:                             ;   in Loop: Header=BB4_6538 Depth=3
	s_or_saveexec_b32 s31, s31
	v_mov_b32_e32 v167, s17
	s_xor_b32 exec_lo, exec_lo, s31
	s_cbranch_execnz .LBB4_7739
.LBB4_7034:                             ;   in Loop: Header=BB4_6538 Depth=3
	s_or_b32 exec_lo, exec_lo, s31
	s_and_saveexec_b32 s17, s13
	s_cbranch_execz .LBB4_7036
.LBB4_7035:                             ;   in Loop: Header=BB4_6538 Depth=3
	v_and_b32_e32 v167, 0xffff, v166
	s_delay_alu instid0(VALU_DEP_1) | instskip(NEXT) | instid1(VALU_DEP_1)
	v_and_b32_e32 v176, 7, v167
	v_clz_i32_u32_e32 v177, v176
	s_delay_alu instid0(VALU_DEP_1) | instskip(NEXT) | instid1(VALU_DEP_1)
	v_min_u32_e32 v177, 32, v177
	v_subrev_nc_u32_e32 v178, 28, v177
	v_sub_nc_u32_e32 v177, 29, v177
	s_delay_alu instid0(VALU_DEP_2) | instskip(SKIP_1) | instid1(VALU_DEP_2)
	v_lshlrev_b32_e32 v178, v178, v167
	v_bfe_u32 v167, v167, 3, 4
	v_and_b32_e32 v178, 7, v178
	s_delay_alu instid0(VALU_DEP_2) | instskip(SKIP_1) | instid1(VALU_DEP_3)
	v_cmp_eq_u32_e32 vcc_lo, 0, v167
	v_cndmask_b32_e32 v167, v167, v177, vcc_lo
	v_dual_cndmask_b32 v176, v176, v178 :: v_dual_lshlrev_b32 v179, 16, v12
	s_delay_alu instid0(VALU_DEP_2) | instskip(NEXT) | instid1(VALU_DEP_2)
	v_lshl_add_u32 v167, v167, 23, 0x3b800000
	v_and_b32_e32 v177, 0x80000000, v179
	s_delay_alu instid0(VALU_DEP_3) | instskip(NEXT) | instid1(VALU_DEP_1)
	v_lshlrev_b32_e32 v176, 20, v176
	v_or3_b32 v167, v177, v167, v176
.LBB4_7036:                             ;   in Loop: Header=BB4_6538 Depth=3
	s_or_b32 exec_lo, exec_lo, s17
	s_mov_b32 s13, 0
	s_mov_b32 s31, exec_lo
                                        ; implicit-def: $sgpr17
	v_cmpx_lt_i16_e64 0x7f, v165
	s_xor_b32 s31, exec_lo, s31
	s_cbranch_execnz .LBB4_7740
; %bb.7037:                             ;   in Loop: Header=BB4_6538 Depth=3
	s_or_saveexec_b32 s31, s31
	v_mov_b32_e32 v176, s17
	s_xor_b32 exec_lo, exec_lo, s31
	s_cbranch_execnz .LBB4_7743
.LBB4_7038:                             ;   in Loop: Header=BB4_6538 Depth=3
	s_or_b32 exec_lo, exec_lo, s31
	s_and_saveexec_b32 s17, s13
	s_cbranch_execz .LBB4_7040
.LBB4_7039:                             ;   in Loop: Header=BB4_6538 Depth=3
	v_and_b32_e32 v176, 0xffff, v165
	v_lshlrev_b32_e32 v180, 16, v8
	s_delay_alu instid0(VALU_DEP_2) | instskip(NEXT) | instid1(VALU_DEP_1)
	v_and_b32_e32 v177, 7, v176
	v_clz_i32_u32_e32 v178, v177
	s_delay_alu instid0(VALU_DEP_1) | instskip(NEXT) | instid1(VALU_DEP_1)
	v_min_u32_e32 v178, 32, v178
	v_subrev_nc_u32_e32 v179, 28, v178
	v_sub_nc_u32_e32 v178, 29, v178
	s_delay_alu instid0(VALU_DEP_2) | instskip(SKIP_1) | instid1(VALU_DEP_2)
	v_lshlrev_b32_e32 v179, v179, v176
	v_bfe_u32 v176, v176, 3, 4
	v_and_b32_e32 v179, 7, v179
	s_delay_alu instid0(VALU_DEP_2) | instskip(NEXT) | instid1(VALU_DEP_2)
	v_cmp_eq_u32_e32 vcc_lo, 0, v176
	v_dual_cndmask_b32 v176, v176, v178 :: v_dual_cndmask_b32 v177, v177, v179
	v_and_b32_e32 v178, 0x80000000, v180
	s_delay_alu instid0(VALU_DEP_2) | instskip(NEXT) | instid1(VALU_DEP_3)
	v_lshl_add_u32 v176, v176, 23, 0x3b800000
	v_lshlrev_b32_e32 v177, 20, v177
	s_delay_alu instid0(VALU_DEP_1)
	v_or3_b32 v176, v178, v176, v177
.LBB4_7040:                             ;   in Loop: Header=BB4_6538 Depth=3
	s_or_b32 exec_lo, exec_lo, s17
	s_delay_alu instid0(VALU_DEP_1) | instskip(SKIP_1) | instid1(VALU_DEP_1)
	v_dual_max_f32 v176, v176, v176 :: v_dual_max_f32 v167, v167, v167
	s_mov_b32 s13, 0
	v_max_f32_e32 v167, v167, v176
	s_branch .LBB4_7042
.LBB4_7041:                             ;   in Loop: Header=BB4_6538 Depth=3
	s_mov_b32 s13, -1
                                        ; implicit-def: $vgpr167
.LBB4_7042:                             ;   in Loop: Header=BB4_6538 Depth=3
	s_delay_alu instid0(SALU_CYCLE_1)
	s_and_b32 vcc_lo, exec_lo, s13
	s_cbranch_vccz .LBB4_7052
; %bb.7043:                             ;   in Loop: Header=BB4_6538 Depth=3
	s_mov_b32 s13, 0
	s_mov_b32 s31, exec_lo
                                        ; implicit-def: $sgpr17
	v_cmpx_lt_i16_e64 0x7f, v166
	s_xor_b32 s31, exec_lo, s31
	s_cbranch_execnz .LBB4_7744
; %bb.7044:                             ;   in Loop: Header=BB4_6538 Depth=3
	s_or_saveexec_b32 s31, s31
	v_mov_b32_e32 v167, s17
	s_xor_b32 exec_lo, exec_lo, s31
	s_cbranch_execnz .LBB4_7747
.LBB4_7045:                             ;   in Loop: Header=BB4_6538 Depth=3
	s_or_b32 exec_lo, exec_lo, s31
	s_and_saveexec_b32 s17, s13
	s_cbranch_execz .LBB4_7047
.LBB4_7046:                             ;   in Loop: Header=BB4_6538 Depth=3
	v_and_b32_e32 v166, 0xffff, v166
	v_lshlrev_b32_e32 v178, 16, v12
	s_delay_alu instid0(VALU_DEP_2) | instskip(NEXT) | instid1(VALU_DEP_1)
	v_and_b32_e32 v167, 7, v166
	v_clz_i32_u32_e32 v176, v167
	s_delay_alu instid0(VALU_DEP_1) | instskip(NEXT) | instid1(VALU_DEP_1)
	v_min_u32_e32 v176, 32, v176
	v_subrev_nc_u32_e32 v177, 28, v176
	v_sub_nc_u32_e32 v176, 29, v176
	s_delay_alu instid0(VALU_DEP_2) | instskip(SKIP_1) | instid1(VALU_DEP_2)
	v_lshlrev_b32_e32 v177, v177, v166
	v_bfe_u32 v166, v166, 3, 4
	v_and_b32_e32 v177, 7, v177
	s_delay_alu instid0(VALU_DEP_2) | instskip(NEXT) | instid1(VALU_DEP_2)
	v_cmp_eq_u32_e32 vcc_lo, 0, v166
	v_dual_cndmask_b32 v166, v166, v176 :: v_dual_cndmask_b32 v167, v167, v177
	v_and_b32_e32 v176, 0x80000000, v178
	s_delay_alu instid0(VALU_DEP_2) | instskip(NEXT) | instid1(VALU_DEP_3)
	v_lshl_add_u32 v166, v166, 23, 0x3b800000
	v_lshlrev_b32_e32 v167, 20, v167
	s_delay_alu instid0(VALU_DEP_1)
	v_or3_b32 v167, v176, v166, v167
.LBB4_7047:                             ;   in Loop: Header=BB4_6538 Depth=3
	s_or_b32 exec_lo, exec_lo, s17
	s_mov_b32 s13, 0
	s_mov_b32 s31, exec_lo
                                        ; implicit-def: $sgpr17
	v_cmpx_lt_i16_e64 0x7f, v165
	s_xor_b32 s31, exec_lo, s31
	s_cbranch_execnz .LBB4_7748
; %bb.7048:                             ;   in Loop: Header=BB4_6538 Depth=3
	s_or_saveexec_b32 s31, s31
	v_mov_b32_e32 v166, s17
	s_xor_b32 exec_lo, exec_lo, s31
	s_cbranch_execnz .LBB4_7751
.LBB4_7049:                             ;   in Loop: Header=BB4_6538 Depth=3
	s_or_b32 exec_lo, exec_lo, s31
	s_and_saveexec_b32 s17, s13
	s_cbranch_execz .LBB4_7051
.LBB4_7050:                             ;   in Loop: Header=BB4_6538 Depth=3
	v_and_b32_e32 v165, 0xffff, v165
	v_lshlrev_b32_e32 v178, 16, v8
	s_delay_alu instid0(VALU_DEP_2) | instskip(NEXT) | instid1(VALU_DEP_1)
	v_and_b32_e32 v166, 7, v165
	v_clz_i32_u32_e32 v176, v166
	s_delay_alu instid0(VALU_DEP_1) | instskip(NEXT) | instid1(VALU_DEP_1)
	v_min_u32_e32 v176, 32, v176
	v_subrev_nc_u32_e32 v177, 28, v176
	v_sub_nc_u32_e32 v176, 29, v176
	s_delay_alu instid0(VALU_DEP_2) | instskip(SKIP_1) | instid1(VALU_DEP_2)
	v_lshlrev_b32_e32 v177, v177, v165
	v_bfe_u32 v165, v165, 3, 4
	v_and_b32_e32 v177, 7, v177
	s_delay_alu instid0(VALU_DEP_2) | instskip(NEXT) | instid1(VALU_DEP_2)
	v_cmp_eq_u32_e32 vcc_lo, 0, v165
	v_dual_cndmask_b32 v165, v165, v176 :: v_dual_cndmask_b32 v166, v166, v177
	v_and_b32_e32 v176, 0x80000000, v178
	s_delay_alu instid0(VALU_DEP_2) | instskip(NEXT) | instid1(VALU_DEP_3)
	v_lshl_add_u32 v165, v165, 23, 0x3b800000
	v_lshlrev_b32_e32 v166, 20, v166
	s_delay_alu instid0(VALU_DEP_1)
	v_or3_b32 v166, v176, v165, v166
.LBB4_7051:                             ;   in Loop: Header=BB4_6538 Depth=3
	s_or_b32 exec_lo, exec_lo, s17
	s_delay_alu instid0(VALU_DEP_1) | instskip(NEXT) | instid1(VALU_DEP_1)
	v_dual_max_f32 v165, v166, v166 :: v_dual_max_f32 v166, v167, v167
	v_min_f32_e32 v167, v166, v165
.LBB4_7052:                             ;   in Loop: Header=BB4_6538 Depth=3
	s_delay_alu instid0(VALU_DEP_1) | instskip(NEXT) | instid1(VALU_DEP_1)
	v_and_b32_e32 v165, 0x7f800000, v167
	v_cmp_ne_u32_e32 vcc_lo, 0x7f800000, v165
	v_mov_b32_e32 v165, 0x80
	s_and_saveexec_b32 s17, vcc_lo
	s_cbranch_execz .LBB4_7060
; %bb.7053:                             ;   in Loop: Header=BB4_6538 Depth=3
	v_mov_b32_e32 v165, 0
	s_mov_b32 s31, exec_lo
	v_cmpx_ne_u32_e32 0, v167
	s_cbranch_execz .LBB4_7059
; %bb.7054:                             ;   in Loop: Header=BB4_6538 Depth=3
	v_bfe_u32 v165, v167, 23, 8
	v_and_b32_e32 v166, 0x7fffff, v167
	s_delay_alu instid0(VALU_DEP_2) | instskip(SKIP_1) | instid1(VALU_DEP_3)
	v_sub_nc_u32_e32 v176, 0x78, v165
	v_cmp_gt_u32_e32 vcc_lo, 0x79, v165
	v_or_b32_e32 v177, 0x800000, v166
	s_delay_alu instid0(VALU_DEP_3) | instskip(SKIP_2) | instid1(VALU_DEP_3)
	v_cndmask_b32_e32 v176, 0, v176, vcc_lo
	v_cmp_eq_u32_e32 vcc_lo, 0, v165
	v_add_nc_u32_e32 v165, 0xffffff89, v165
	v_cndmask_b32_e64 v176, v176, 0x77, vcc_lo
	v_cndmask_b32_e32 v166, v177, v166, vcc_lo
	s_delay_alu instid0(VALU_DEP_3) | instskip(NEXT) | instid1(VALU_DEP_3)
	v_cndmask_b32_e64 v165, v165, 0xffffff8a, vcc_lo
	v_lshl_add_u32 v177, 0x100000, v176, -1
	s_delay_alu instid0(VALU_DEP_3) | instskip(SKIP_1) | instid1(VALU_DEP_4)
	v_lshrrev_b32_e32 v178, v176, v166
	v_lshlrev_b32_e64 v180, v176, 0x80000
	v_add_nc_u32_e32 v176, v176, v165
	s_delay_alu instid0(VALU_DEP_4) | instskip(NEXT) | instid1(VALU_DEP_4)
	v_and_b32_e32 v166, v177, v166
	v_bfe_u32 v179, v178, 20, 1
	s_delay_alu instid0(VALU_DEP_2) | instskip(NEXT) | instid1(VALU_DEP_2)
	v_cmp_eq_u32_e64 s13, v166, v180
	v_add_nc_u32_e32 v177, -1, v179
	s_delay_alu instid0(VALU_DEP_1) | instskip(SKIP_2) | instid1(VALU_DEP_2)
	v_cndmask_b32_e64 v166, 0, v177, s13
	v_lshrrev_b32_e32 v177, 23, v178
	s_mov_b32 s13, exec_lo
	v_add_nc_u32_e32 v166, v166, v178
	s_delay_alu instid0(VALU_DEP_2) | instskip(NEXT) | instid1(VALU_DEP_2)
	v_xor_b32_e32 v177, 1, v177
	v_and_b32_e32 v165, 0xfffff, v166
	s_delay_alu instid0(VALU_DEP_1) | instskip(NEXT) | instid1(VALU_DEP_3)
	v_add_nc_u32_e32 v166, v165, v178
                                        ; implicit-def: $vgpr165
	v_cmpx_ne_u32_e64 v176, v177
	s_xor_b32 s13, exec_lo, s13
; %bb.7055:                             ;   in Loop: Header=BB4_6538 Depth=3
	s_delay_alu instid0(VALU_DEP_2) | instskip(SKIP_2) | instid1(VALU_DEP_2)
	v_cmp_lt_u32_e32 vcc_lo, 0xffffff, v166
	v_sub_nc_u32_e32 v165, v176, v177
	v_cndmask_b32_e64 v176, 0, 1, vcc_lo
	v_add_co_ci_u32_e32 v165, vcc_lo, 0, v165, vcc_lo
	s_delay_alu instid0(VALU_DEP_2)
	v_lshrrev_b32_e32 v166, v176, v166
; %bb.7056:                             ;   in Loop: Header=BB4_6538 Depth=3
	s_and_not1_saveexec_b32 s13, s13
; %bb.7057:                             ;   in Loop: Header=BB4_6538 Depth=3
	s_delay_alu instid0(VALU_DEP_1)
	v_bfe_u32 v165, v166, 23, 1
; %bb.7058:                             ;   in Loop: Header=BB4_6538 Depth=3
	s_or_b32 exec_lo, exec_lo, s13
	v_lshrrev_b32_e32 v166, 20, v166
	s_delay_alu instid0(VALU_DEP_2) | instskip(SKIP_2) | instid1(VALU_DEP_2)
	v_cmp_gt_i32_e32 vcc_lo, 16, v165
	v_lshrrev_b32_e32 v167, 24, v167
	v_min_i32_e32 v176, 15, v165
	v_dual_cndmask_b32 v166, 7, v166 :: v_dual_and_b32 v167, 0x80, v167
	s_delay_alu instid0(VALU_DEP_1) | instskip(SKIP_1) | instid1(VALU_DEP_2)
	v_or_b32_e32 v165, v165, v166
	v_and_b32_e32 v177, 7, v166
	v_cmp_ne_u32_e32 vcc_lo, 0, v165
	v_lshlrev_b32_e32 v176, 3, v176
	s_delay_alu instid0(VALU_DEP_1) | instskip(NEXT) | instid1(VALU_DEP_1)
	v_or3_b32 v166, v176, v167, v177
	v_cndmask_b32_e32 v165, 0, v166, vcc_lo
.LBB4_7059:                             ;   in Loop: Header=BB4_6538 Depth=3
	s_or_b32 exec_lo, exec_lo, s31
.LBB4_7060:                             ;   in Loop: Header=BB4_6538 Depth=3
	s_delay_alu instid0(SALU_CYCLE_1)
	s_or_b32 exec_lo, exec_lo, s17
	v_lshrrev_b32_e32 v167, 16, v12
	v_lshrrev_b32_e32 v166, 16, v8
	s_and_not1_b32 vcc_lo, exec_lo, s16
	s_cbranch_vccnz .LBB4_7070
; %bb.7061:                             ;   in Loop: Header=BB4_6538 Depth=3
	s_delay_alu instid0(VALU_DEP_2) | instskip(SKIP_2) | instid1(VALU_DEP_1)
	v_and_b32_e32 v177, 0xff, v167
	s_mov_b32 s13, 0
	s_mov_b32 s31, exec_lo
                                        ; implicit-def: $sgpr17
	v_cmpx_lt_i16_e64 0x7f, v177
	s_xor_b32 s31, exec_lo, s31
	s_cbranch_execnz .LBB4_7752
; %bb.7062:                             ;   in Loop: Header=BB4_6538 Depth=3
	s_or_saveexec_b32 s31, s31
	v_mov_b32_e32 v176, s17
	s_xor_b32 exec_lo, exec_lo, s31
	s_cbranch_execnz .LBB4_7755
.LBB4_7063:                             ;   in Loop: Header=BB4_6538 Depth=3
	s_or_b32 exec_lo, exec_lo, s31
	s_and_saveexec_b32 s17, s13
	s_cbranch_execz .LBB4_7065
.LBB4_7064:                             ;   in Loop: Header=BB4_6538 Depth=3
	v_bfe_u32 v176, v12, 16, 3
	v_bfe_u32 v179, v12, 19, 4
	v_lshlrev_b32_e32 v180, 24, v167
	s_delay_alu instid0(VALU_DEP_3) | instskip(NEXT) | instid1(VALU_DEP_3)
	v_clz_i32_u32_e32 v177, v176
	v_cmp_eq_u32_e32 vcc_lo, 0, v179
	s_delay_alu instid0(VALU_DEP_2) | instskip(NEXT) | instid1(VALU_DEP_1)
	v_min_u32_e32 v177, 32, v177
	v_subrev_nc_u32_e32 v178, 28, v177
	v_sub_nc_u32_e32 v177, 29, v177
	s_delay_alu instid0(VALU_DEP_1) | instskip(NEXT) | instid1(VALU_DEP_1)
	v_dual_cndmask_b32 v177, v179, v177 :: v_dual_lshlrev_b32 v178, v178, v167
	v_and_b32_e32 v178, 7, v178
	s_delay_alu instid0(VALU_DEP_2) | instskip(NEXT) | instid1(VALU_DEP_2)
	v_lshl_add_u32 v177, v177, 23, 0x3b800000
	v_cndmask_b32_e32 v176, v176, v178, vcc_lo
	v_and_b32_e32 v178, 0x80000000, v180
	s_delay_alu instid0(VALU_DEP_2) | instskip(NEXT) | instid1(VALU_DEP_1)
	v_lshlrev_b32_e32 v176, 20, v176
	v_or3_b32 v176, v178, v177, v176
.LBB4_7065:                             ;   in Loop: Header=BB4_6538 Depth=3
	s_or_b32 exec_lo, exec_lo, s17
	v_and_b32_e32 v178, 0xff, v166
	s_mov_b32 s13, 0
	s_mov_b32 s31, exec_lo
                                        ; implicit-def: $sgpr17
	s_delay_alu instid0(VALU_DEP_1)
	v_cmpx_lt_i16_e64 0x7f, v178
	s_xor_b32 s31, exec_lo, s31
	s_cbranch_execnz .LBB4_7756
; %bb.7066:                             ;   in Loop: Header=BB4_6538 Depth=3
	s_or_saveexec_b32 s31, s31
	v_mov_b32_e32 v177, s17
	s_xor_b32 exec_lo, exec_lo, s31
	s_cbranch_execnz .LBB4_7759
.LBB4_7067:                             ;   in Loop: Header=BB4_6538 Depth=3
	s_or_b32 exec_lo, exec_lo, s31
	s_and_saveexec_b32 s17, s13
	s_cbranch_execz .LBB4_7069
.LBB4_7068:                             ;   in Loop: Header=BB4_6538 Depth=3
	v_bfe_u32 v177, v8, 16, 3
	v_bfe_u32 v180, v8, 19, 4
	v_lshlrev_b32_e32 v181, 24, v166
	s_delay_alu instid0(VALU_DEP_3) | instskip(NEXT) | instid1(VALU_DEP_3)
	v_clz_i32_u32_e32 v178, v177
	v_cmp_eq_u32_e32 vcc_lo, 0, v180
	s_delay_alu instid0(VALU_DEP_2) | instskip(NEXT) | instid1(VALU_DEP_1)
	v_min_u32_e32 v178, 32, v178
	v_subrev_nc_u32_e32 v179, 28, v178
	v_sub_nc_u32_e32 v178, 29, v178
	s_delay_alu instid0(VALU_DEP_2) | instskip(NEXT) | instid1(VALU_DEP_1)
	v_lshlrev_b32_e32 v179, v179, v166
	v_dual_cndmask_b32 v178, v180, v178 :: v_dual_and_b32 v179, 7, v179
	s_delay_alu instid0(VALU_DEP_1) | instskip(NEXT) | instid1(VALU_DEP_2)
	v_lshl_add_u32 v178, v178, 23, 0x3b800000
	v_cndmask_b32_e32 v177, v177, v179, vcc_lo
	v_and_b32_e32 v179, 0x80000000, v181
	s_delay_alu instid0(VALU_DEP_2) | instskip(NEXT) | instid1(VALU_DEP_1)
	v_lshlrev_b32_e32 v177, 20, v177
	v_or3_b32 v177, v179, v178, v177
.LBB4_7069:                             ;   in Loop: Header=BB4_6538 Depth=3
	s_or_b32 exec_lo, exec_lo, s17
	s_delay_alu instid0(VALU_DEP_1) | instskip(SKIP_1) | instid1(VALU_DEP_1)
	v_dual_max_f32 v177, v177, v177 :: v_dual_max_f32 v176, v176, v176
	s_mov_b32 s13, 0
	v_max_f32_e32 v176, v176, v177
	s_branch .LBB4_7071
.LBB4_7070:                             ;   in Loop: Header=BB4_6538 Depth=3
	s_mov_b32 s13, -1
                                        ; implicit-def: $vgpr176
.LBB4_7071:                             ;   in Loop: Header=BB4_6538 Depth=3
	s_delay_alu instid0(SALU_CYCLE_1)
	s_and_b32 vcc_lo, exec_lo, s13
	s_cbranch_vccz .LBB4_7081
; %bb.7072:                             ;   in Loop: Header=BB4_6538 Depth=3
	v_and_b32_e32 v177, 0xff, v167
	s_mov_b32 s13, 0
	s_mov_b32 s31, exec_lo
                                        ; implicit-def: $sgpr17
	s_delay_alu instid0(VALU_DEP_1)
	v_cmpx_lt_i16_e64 0x7f, v177
	s_xor_b32 s31, exec_lo, s31
	s_cbranch_execnz .LBB4_7760
; %bb.7073:                             ;   in Loop: Header=BB4_6538 Depth=3
	s_or_saveexec_b32 s31, s31
	v_mov_b32_e32 v176, s17
	s_xor_b32 exec_lo, exec_lo, s31
	s_cbranch_execnz .LBB4_7763
.LBB4_7074:                             ;   in Loop: Header=BB4_6538 Depth=3
	s_or_b32 exec_lo, exec_lo, s31
	s_and_saveexec_b32 s17, s13
	s_cbranch_execz .LBB4_7076
.LBB4_7075:                             ;   in Loop: Header=BB4_6538 Depth=3
	v_bfe_u32 v176, v12, 16, 3
	v_bfe_u32 v179, v12, 19, 4
	s_delay_alu instid0(VALU_DEP_2) | instskip(NEXT) | instid1(VALU_DEP_2)
	v_clz_i32_u32_e32 v177, v176
	v_cmp_eq_u32_e32 vcc_lo, 0, v179
	s_delay_alu instid0(VALU_DEP_2) | instskip(NEXT) | instid1(VALU_DEP_1)
	v_min_u32_e32 v177, 32, v177
	v_subrev_nc_u32_e32 v178, 28, v177
	v_sub_nc_u32_e32 v177, 29, v177
	s_delay_alu instid0(VALU_DEP_1) | instskip(NEXT) | instid1(VALU_DEP_1)
	v_dual_cndmask_b32 v177, v179, v177 :: v_dual_lshlrev_b32 v178, v178, v167
	v_and_b32_e32 v178, 7, v178
	v_lshlrev_b32_e32 v167, 24, v167
	s_delay_alu instid0(VALU_DEP_3) | instskip(NEXT) | instid1(VALU_DEP_2)
	v_lshl_add_u32 v177, v177, 23, 0x3b800000
	v_dual_cndmask_b32 v176, v176, v178 :: v_dual_and_b32 v167, 0x80000000, v167
	s_delay_alu instid0(VALU_DEP_1) | instskip(NEXT) | instid1(VALU_DEP_1)
	v_lshlrev_b32_e32 v176, 20, v176
	v_or3_b32 v176, v167, v177, v176
.LBB4_7076:                             ;   in Loop: Header=BB4_6538 Depth=3
	s_or_b32 exec_lo, exec_lo, s17
	v_and_b32_e32 v177, 0xff, v166
	s_mov_b32 s13, 0
	s_mov_b32 s31, exec_lo
                                        ; implicit-def: $sgpr17
	s_delay_alu instid0(VALU_DEP_1)
	v_cmpx_lt_i16_e64 0x7f, v177
	s_xor_b32 s31, exec_lo, s31
	s_cbranch_execnz .LBB4_7764
; %bb.7077:                             ;   in Loop: Header=BB4_6538 Depth=3
	s_or_saveexec_b32 s31, s31
	v_mov_b32_e32 v167, s17
	s_xor_b32 exec_lo, exec_lo, s31
	s_cbranch_execnz .LBB4_7767
.LBB4_7078:                             ;   in Loop: Header=BB4_6538 Depth=3
	s_or_b32 exec_lo, exec_lo, s31
	s_and_saveexec_b32 s17, s13
	s_cbranch_execz .LBB4_7080
.LBB4_7079:                             ;   in Loop: Header=BB4_6538 Depth=3
	v_bfe_u32 v167, v8, 16, 3
	v_bfe_u32 v179, v8, 19, 4
	s_delay_alu instid0(VALU_DEP_2) | instskip(NEXT) | instid1(VALU_DEP_2)
	v_clz_i32_u32_e32 v177, v167
	v_cmp_eq_u32_e32 vcc_lo, 0, v179
	s_delay_alu instid0(VALU_DEP_2) | instskip(NEXT) | instid1(VALU_DEP_1)
	v_min_u32_e32 v177, 32, v177
	v_subrev_nc_u32_e32 v178, 28, v177
	v_sub_nc_u32_e32 v177, 29, v177
	s_delay_alu instid0(VALU_DEP_1) | instskip(SKIP_1) | instid1(VALU_DEP_2)
	v_dual_cndmask_b32 v177, v179, v177 :: v_dual_lshlrev_b32 v178, v178, v166
	v_lshlrev_b32_e32 v166, 24, v166
	v_and_b32_e32 v178, 7, v178
	s_delay_alu instid0(VALU_DEP_3) | instskip(NEXT) | instid1(VALU_DEP_3)
	v_lshl_add_u32 v177, v177, 23, 0x3b800000
	v_and_b32_e32 v166, 0x80000000, v166
	s_delay_alu instid0(VALU_DEP_3) | instskip(NEXT) | instid1(VALU_DEP_1)
	v_cndmask_b32_e32 v167, v167, v178, vcc_lo
	v_lshlrev_b32_e32 v167, 20, v167
	s_delay_alu instid0(VALU_DEP_1)
	v_or3_b32 v167, v166, v177, v167
.LBB4_7080:                             ;   in Loop: Header=BB4_6538 Depth=3
	s_or_b32 exec_lo, exec_lo, s17
	s_delay_alu instid0(VALU_DEP_1) | instskip(NEXT) | instid1(VALU_DEP_1)
	v_dual_max_f32 v166, v167, v167 :: v_dual_max_f32 v167, v176, v176
	v_min_f32_e32 v176, v167, v166
.LBB4_7081:                             ;   in Loop: Header=BB4_6538 Depth=3
	s_delay_alu instid0(VALU_DEP_1) | instskip(NEXT) | instid1(VALU_DEP_1)
	v_and_b32_e32 v166, 0x7f800000, v176
	v_cmp_ne_u32_e32 vcc_lo, 0x7f800000, v166
	v_mov_b32_e32 v166, 0x80
	s_and_saveexec_b32 s17, vcc_lo
	s_cbranch_execz .LBB4_7089
; %bb.7082:                             ;   in Loop: Header=BB4_6538 Depth=3
	v_mov_b32_e32 v166, 0
	s_mov_b32 s31, exec_lo
	v_cmpx_ne_u32_e32 0, v176
	s_cbranch_execz .LBB4_7088
; %bb.7083:                             ;   in Loop: Header=BB4_6538 Depth=3
	v_bfe_u32 v166, v176, 23, 8
	v_and_b32_e32 v167, 0x7fffff, v176
	s_delay_alu instid0(VALU_DEP_2) | instskip(SKIP_1) | instid1(VALU_DEP_3)
	v_sub_nc_u32_e32 v177, 0x78, v166
	v_cmp_gt_u32_e32 vcc_lo, 0x79, v166
	v_or_b32_e32 v178, 0x800000, v167
	s_delay_alu instid0(VALU_DEP_3) | instskip(SKIP_2) | instid1(VALU_DEP_3)
	v_cndmask_b32_e32 v177, 0, v177, vcc_lo
	v_cmp_eq_u32_e32 vcc_lo, 0, v166
	v_add_nc_u32_e32 v166, 0xffffff89, v166
	v_cndmask_b32_e64 v177, v177, 0x77, vcc_lo
	v_cndmask_b32_e32 v167, v178, v167, vcc_lo
	s_delay_alu instid0(VALU_DEP_3) | instskip(NEXT) | instid1(VALU_DEP_3)
	v_cndmask_b32_e64 v166, v166, 0xffffff8a, vcc_lo
	v_lshl_add_u32 v178, 0x100000, v177, -1
	s_delay_alu instid0(VALU_DEP_3) | instskip(SKIP_1) | instid1(VALU_DEP_4)
	v_lshrrev_b32_e32 v179, v177, v167
	v_lshlrev_b32_e64 v181, v177, 0x80000
	v_add_nc_u32_e32 v177, v177, v166
	s_delay_alu instid0(VALU_DEP_4) | instskip(NEXT) | instid1(VALU_DEP_4)
	v_and_b32_e32 v167, v178, v167
	v_bfe_u32 v180, v179, 20, 1
	s_delay_alu instid0(VALU_DEP_2) | instskip(NEXT) | instid1(VALU_DEP_2)
	v_cmp_eq_u32_e64 s13, v167, v181
	v_add_nc_u32_e32 v178, -1, v180
	s_delay_alu instid0(VALU_DEP_1) | instskip(SKIP_2) | instid1(VALU_DEP_2)
	v_cndmask_b32_e64 v167, 0, v178, s13
	v_lshrrev_b32_e32 v178, 23, v179
	s_mov_b32 s13, exec_lo
	v_add_nc_u32_e32 v167, v167, v179
	s_delay_alu instid0(VALU_DEP_2) | instskip(NEXT) | instid1(VALU_DEP_2)
	v_xor_b32_e32 v178, 1, v178
	v_and_b32_e32 v166, 0xfffff, v167
	s_delay_alu instid0(VALU_DEP_1) | instskip(NEXT) | instid1(VALU_DEP_3)
	v_add_nc_u32_e32 v167, v166, v179
                                        ; implicit-def: $vgpr166
	v_cmpx_ne_u32_e64 v177, v178
	s_xor_b32 s13, exec_lo, s13
; %bb.7084:                             ;   in Loop: Header=BB4_6538 Depth=3
	s_delay_alu instid0(VALU_DEP_2) | instskip(SKIP_2) | instid1(VALU_DEP_2)
	v_cmp_lt_u32_e32 vcc_lo, 0xffffff, v167
	v_sub_nc_u32_e32 v166, v177, v178
	v_cndmask_b32_e64 v177, 0, 1, vcc_lo
	v_add_co_ci_u32_e32 v166, vcc_lo, 0, v166, vcc_lo
	s_delay_alu instid0(VALU_DEP_2)
	v_lshrrev_b32_e32 v167, v177, v167
; %bb.7085:                             ;   in Loop: Header=BB4_6538 Depth=3
	s_and_not1_saveexec_b32 s13, s13
; %bb.7086:                             ;   in Loop: Header=BB4_6538 Depth=3
	s_delay_alu instid0(VALU_DEP_1)
	v_bfe_u32 v166, v167, 23, 1
; %bb.7087:                             ;   in Loop: Header=BB4_6538 Depth=3
	s_or_b32 exec_lo, exec_lo, s13
	v_lshrrev_b32_e32 v167, 20, v167
	s_delay_alu instid0(VALU_DEP_2) | instskip(SKIP_2) | instid1(VALU_DEP_2)
	v_cmp_gt_i32_e32 vcc_lo, 16, v166
	v_lshrrev_b32_e32 v176, 24, v176
	v_min_i32_e32 v177, 15, v166
	v_dual_cndmask_b32 v167, 7, v167 :: v_dual_and_b32 v176, 0x80, v176
	s_delay_alu instid0(VALU_DEP_1) | instskip(SKIP_1) | instid1(VALU_DEP_2)
	v_or_b32_e32 v166, v166, v167
	v_and_b32_e32 v178, 7, v167
	v_cmp_ne_u32_e32 vcc_lo, 0, v166
	v_lshlrev_b32_e32 v177, 3, v177
	s_delay_alu instid0(VALU_DEP_1) | instskip(NEXT) | instid1(VALU_DEP_1)
	v_or3_b32 v167, v177, v176, v178
	v_cndmask_b32_e32 v166, 0, v167, vcc_lo
.LBB4_7088:                             ;   in Loop: Header=BB4_6538 Depth=3
	s_or_b32 exec_lo, exec_lo, s31
.LBB4_7089:                             ;   in Loop: Header=BB4_6538 Depth=3
	s_delay_alu instid0(SALU_CYCLE_1)
	s_or_b32 exec_lo, exec_lo, s17
	v_lshrrev_b32_e32 v176, 24, v12
	v_lshrrev_b32_e32 v167, 24, v8
	s_and_not1_b32 vcc_lo, exec_lo, s16
	s_cbranch_vccnz .LBB4_7099
; %bb.7090:                             ;   in Loop: Header=BB4_6538 Depth=3
	s_mov_b32 s13, 0
	s_mov_b32 s31, exec_lo
                                        ; implicit-def: $sgpr17
	v_cmpx_lt_i16_e64 0x7f, v176
	s_xor_b32 s31, exec_lo, s31
	s_cbranch_execnz .LBB4_7768
; %bb.7091:                             ;   in Loop: Header=BB4_6538 Depth=3
	s_or_saveexec_b32 s31, s31
	v_mov_b32_e32 v177, s17
	s_xor_b32 exec_lo, exec_lo, s31
	s_cbranch_execnz .LBB4_7771
.LBB4_7092:                             ;   in Loop: Header=BB4_6538 Depth=3
	s_or_b32 exec_lo, exec_lo, s31
	s_and_saveexec_b32 s17, s13
	s_cbranch_execz .LBB4_7094
.LBB4_7093:                             ;   in Loop: Header=BB4_6538 Depth=3
	v_bfe_u32 v177, v12, 24, 3
	v_bfe_u32 v180, v12, 27, 4
	s_delay_alu instid0(VALU_DEP_2) | instskip(NEXT) | instid1(VALU_DEP_2)
	v_clz_i32_u32_e32 v178, v177
	v_cmp_eq_u32_e32 vcc_lo, 0, v180
	s_delay_alu instid0(VALU_DEP_2) | instskip(NEXT) | instid1(VALU_DEP_1)
	v_min_u32_e32 v178, 32, v178
	v_subrev_nc_u32_e32 v179, 28, v178
	v_sub_nc_u32_e32 v178, 29, v178
	s_delay_alu instid0(VALU_DEP_1) | instskip(NEXT) | instid1(VALU_DEP_1)
	v_dual_cndmask_b32 v178, v180, v178 :: v_dual_lshlrev_b32 v179, v179, v176
	v_and_b32_e32 v179, 7, v179
	s_delay_alu instid0(VALU_DEP_2) | instskip(NEXT) | instid1(VALU_DEP_2)
	v_lshl_add_u32 v178, v178, 23, 0x3b800000
	v_cndmask_b32_e32 v177, v177, v179, vcc_lo
	v_and_b32_e32 v179, 0x80000000, v12
	s_delay_alu instid0(VALU_DEP_2) | instskip(NEXT) | instid1(VALU_DEP_1)
	v_lshlrev_b32_e32 v177, 20, v177
	v_or3_b32 v177, v179, v178, v177
.LBB4_7094:                             ;   in Loop: Header=BB4_6538 Depth=3
	s_or_b32 exec_lo, exec_lo, s17
	s_mov_b32 s13, 0
	s_mov_b32 s31, exec_lo
                                        ; implicit-def: $sgpr17
	v_cmpx_lt_i16_e64 0x7f, v167
	s_xor_b32 s31, exec_lo, s31
	s_cbranch_execnz .LBB4_7772
; %bb.7095:                             ;   in Loop: Header=BB4_6538 Depth=3
	s_or_saveexec_b32 s31, s31
	v_mov_b32_e32 v178, s17
	s_xor_b32 exec_lo, exec_lo, s31
	s_cbranch_execnz .LBB4_7775
.LBB4_7096:                             ;   in Loop: Header=BB4_6538 Depth=3
	s_or_b32 exec_lo, exec_lo, s31
	s_and_saveexec_b32 s17, s13
	s_cbranch_execz .LBB4_7098
.LBB4_7097:                             ;   in Loop: Header=BB4_6538 Depth=3
	v_bfe_u32 v178, v8, 24, 3
	v_bfe_u32 v181, v8, 27, 4
	s_delay_alu instid0(VALU_DEP_2) | instskip(NEXT) | instid1(VALU_DEP_2)
	v_clz_i32_u32_e32 v179, v178
	v_cmp_eq_u32_e32 vcc_lo, 0, v181
	s_delay_alu instid0(VALU_DEP_2) | instskip(NEXT) | instid1(VALU_DEP_1)
	v_min_u32_e32 v179, 32, v179
	v_subrev_nc_u32_e32 v180, 28, v179
	v_sub_nc_u32_e32 v179, 29, v179
	s_delay_alu instid0(VALU_DEP_2) | instskip(NEXT) | instid1(VALU_DEP_1)
	v_lshlrev_b32_e32 v180, v180, v167
	v_dual_cndmask_b32 v179, v181, v179 :: v_dual_and_b32 v180, 7, v180
	s_delay_alu instid0(VALU_DEP_1) | instskip(NEXT) | instid1(VALU_DEP_2)
	v_lshl_add_u32 v179, v179, 23, 0x3b800000
	v_cndmask_b32_e32 v178, v178, v180, vcc_lo
	v_and_b32_e32 v180, 0x80000000, v8
	s_delay_alu instid0(VALU_DEP_2) | instskip(NEXT) | instid1(VALU_DEP_1)
	v_lshlrev_b32_e32 v178, 20, v178
	v_or3_b32 v178, v180, v179, v178
.LBB4_7098:                             ;   in Loop: Header=BB4_6538 Depth=3
	s_or_b32 exec_lo, exec_lo, s17
	s_delay_alu instid0(VALU_DEP_1) | instskip(SKIP_1) | instid1(VALU_DEP_1)
	v_dual_max_f32 v178, v178, v178 :: v_dual_max_f32 v177, v177, v177
	s_mov_b32 s13, 0
	v_max_f32_e32 v177, v177, v178
	s_branch .LBB4_7100
.LBB4_7099:                             ;   in Loop: Header=BB4_6538 Depth=3
	s_mov_b32 s13, -1
                                        ; implicit-def: $vgpr177
.LBB4_7100:                             ;   in Loop: Header=BB4_6538 Depth=3
	s_delay_alu instid0(SALU_CYCLE_1)
	s_and_b32 vcc_lo, exec_lo, s13
	s_cbranch_vccz .LBB4_7110
; %bb.7101:                             ;   in Loop: Header=BB4_6538 Depth=3
	s_mov_b32 s13, 0
	s_mov_b32 s31, exec_lo
                                        ; implicit-def: $sgpr17
	v_cmpx_lt_i16_e64 0x7f, v176
	s_xor_b32 s31, exec_lo, s31
	s_cbranch_execnz .LBB4_7776
; %bb.7102:                             ;   in Loop: Header=BB4_6538 Depth=3
	s_or_saveexec_b32 s31, s31
	v_mov_b32_e32 v177, s17
	s_xor_b32 exec_lo, exec_lo, s31
	s_cbranch_execnz .LBB4_7779
.LBB4_7103:                             ;   in Loop: Header=BB4_6538 Depth=3
	s_or_b32 exec_lo, exec_lo, s31
	s_and_saveexec_b32 s17, s13
	s_cbranch_execz .LBB4_7105
.LBB4_7104:                             ;   in Loop: Header=BB4_6538 Depth=3
	v_bfe_u32 v177, v12, 24, 3
	s_delay_alu instid0(VALU_DEP_1) | instskip(NEXT) | instid1(VALU_DEP_1)
	v_clz_i32_u32_e32 v178, v177
	v_min_u32_e32 v178, 32, v178
	s_delay_alu instid0(VALU_DEP_1) | instskip(SKIP_1) | instid1(VALU_DEP_2)
	v_subrev_nc_u32_e32 v179, 28, v178
	v_sub_nc_u32_e32 v178, 29, v178
	v_lshlrev_b32_e32 v176, v179, v176
	v_bfe_u32 v179, v12, 27, 4
	v_and_b32_e32 v12, 0x80000000, v12
	s_delay_alu instid0(VALU_DEP_3) | instskip(NEXT) | instid1(VALU_DEP_3)
	v_and_b32_e32 v176, 7, v176
	v_cmp_eq_u32_e32 vcc_lo, 0, v179
	v_cndmask_b32_e32 v178, v179, v178, vcc_lo
	s_delay_alu instid0(VALU_DEP_3) | instskip(NEXT) | instid1(VALU_DEP_2)
	v_cndmask_b32_e32 v176, v177, v176, vcc_lo
	v_lshl_add_u32 v177, v178, 23, 0x3b800000
	s_delay_alu instid0(VALU_DEP_2) | instskip(NEXT) | instid1(VALU_DEP_1)
	v_lshlrev_b32_e32 v176, 20, v176
	v_or3_b32 v177, v12, v177, v176
.LBB4_7105:                             ;   in Loop: Header=BB4_6538 Depth=3
	s_or_b32 exec_lo, exec_lo, s17
	s_mov_b32 s13, 0
	s_mov_b32 s31, exec_lo
                                        ; implicit-def: $sgpr17
	v_cmpx_lt_i16_e64 0x7f, v167
	s_xor_b32 s31, exec_lo, s31
	s_cbranch_execnz .LBB4_7780
; %bb.7106:                             ;   in Loop: Header=BB4_6538 Depth=3
	s_or_saveexec_b32 s31, s31
	v_mov_b32_e32 v12, s17
	s_xor_b32 exec_lo, exec_lo, s31
	s_cbranch_execnz .LBB4_7783
.LBB4_7107:                             ;   in Loop: Header=BB4_6538 Depth=3
	s_or_b32 exec_lo, exec_lo, s31
	s_and_saveexec_b32 s17, s13
	s_cbranch_execz .LBB4_7109
.LBB4_7108:                             ;   in Loop: Header=BB4_6538 Depth=3
	v_bfe_u32 v12, v8, 24, 3
	s_delay_alu instid0(VALU_DEP_1) | instskip(NEXT) | instid1(VALU_DEP_1)
	v_clz_i32_u32_e32 v176, v12
	v_min_u32_e32 v176, 32, v176
	s_delay_alu instid0(VALU_DEP_1) | instskip(SKIP_1) | instid1(VALU_DEP_2)
	v_subrev_nc_u32_e32 v178, 28, v176
	v_sub_nc_u32_e32 v176, 29, v176
	v_lshlrev_b32_e32 v167, v178, v167
	v_bfe_u32 v178, v8, 27, 4
	v_and_b32_e32 v8, 0x80000000, v8
	s_delay_alu instid0(VALU_DEP_2) | instskip(NEXT) | instid1(VALU_DEP_4)
	v_cmp_eq_u32_e32 vcc_lo, 0, v178
	v_dual_cndmask_b32 v176, v178, v176 :: v_dual_and_b32 v167, 7, v167
	s_delay_alu instid0(VALU_DEP_1) | instskip(NEXT) | instid1(VALU_DEP_2)
	v_cndmask_b32_e32 v12, v12, v167, vcc_lo
	v_lshl_add_u32 v167, v176, 23, 0x3b800000
	s_delay_alu instid0(VALU_DEP_2) | instskip(NEXT) | instid1(VALU_DEP_1)
	v_lshlrev_b32_e32 v12, 20, v12
	v_or3_b32 v12, v8, v167, v12
.LBB4_7109:                             ;   in Loop: Header=BB4_6538 Depth=3
	s_or_b32 exec_lo, exec_lo, s17
	s_delay_alu instid0(VALU_DEP_1) | instskip(SKIP_1) | instid1(VALU_DEP_1)
	v_max_f32_e32 v8, v12, v12
	v_max_f32_e32 v12, v177, v177
	v_min_f32_e32 v177, v12, v8
.LBB4_7110:                             ;   in Loop: Header=BB4_6538 Depth=3
	s_delay_alu instid0(VALU_DEP_1) | instskip(NEXT) | instid1(VALU_DEP_1)
	v_and_b32_e32 v8, 0x7f800000, v177
	v_cmp_ne_u32_e32 vcc_lo, 0x7f800000, v8
	v_mov_b32_e32 v8, 0x80
	s_and_saveexec_b32 s17, vcc_lo
	s_cbranch_execz .LBB4_7118
; %bb.7111:                             ;   in Loop: Header=BB4_6538 Depth=3
	v_mov_b32_e32 v8, 0
	s_mov_b32 s31, exec_lo
	v_cmpx_ne_u32_e32 0, v177
	s_cbranch_execz .LBB4_7117
; %bb.7112:                             ;   in Loop: Header=BB4_6538 Depth=3
	v_bfe_u32 v8, v177, 23, 8
	s_delay_alu instid0(VALU_DEP_1) | instskip(SKIP_1) | instid1(VALU_DEP_2)
	v_sub_nc_u32_e32 v167, 0x78, v8
	v_cmp_gt_u32_e32 vcc_lo, 0x79, v8
	v_dual_cndmask_b32 v167, 0, v167 :: v_dual_and_b32 v12, 0x7fffff, v177
	s_delay_alu instid0(VALU_DEP_1) | instskip(SKIP_2) | instid1(VALU_DEP_4)
	v_or_b32_e32 v176, 0x800000, v12
	v_cmp_eq_u32_e32 vcc_lo, 0, v8
	v_add_nc_u32_e32 v8, 0xffffff89, v8
	v_cndmask_b32_e64 v167, v167, 0x77, vcc_lo
	s_delay_alu instid0(VALU_DEP_4) | instskip(NEXT) | instid1(VALU_DEP_3)
	v_cndmask_b32_e32 v12, v176, v12, vcc_lo
	v_cndmask_b32_e64 v8, v8, 0xffffff8a, vcc_lo
	s_delay_alu instid0(VALU_DEP_3) | instskip(NEXT) | instid1(VALU_DEP_3)
	v_lshl_add_u32 v176, 0x100000, v167, -1
	v_lshrrev_b32_e32 v178, v167, v12
	v_lshlrev_b32_e64 v180, v167, 0x80000
	s_delay_alu instid0(VALU_DEP_4) | instskip(NEXT) | instid1(VALU_DEP_4)
	v_add_nc_u32_e32 v167, v167, v8
	v_and_b32_e32 v12, v176, v12
	s_delay_alu instid0(VALU_DEP_4) | instskip(NEXT) | instid1(VALU_DEP_2)
	v_bfe_u32 v179, v178, 20, 1
	v_cmp_eq_u32_e64 s13, v12, v180
	s_delay_alu instid0(VALU_DEP_2) | instskip(NEXT) | instid1(VALU_DEP_1)
	v_add_nc_u32_e32 v176, -1, v179
	v_cndmask_b32_e64 v12, 0, v176, s13
	v_lshrrev_b32_e32 v176, 23, v178
	s_mov_b32 s13, exec_lo
	s_delay_alu instid0(VALU_DEP_2) | instskip(NEXT) | instid1(VALU_DEP_2)
	v_add_nc_u32_e32 v12, v12, v178
	v_xor_b32_e32 v176, 1, v176
	s_delay_alu instid0(VALU_DEP_2) | instskip(NEXT) | instid1(VALU_DEP_1)
	v_and_b32_e32 v8, 0xfffff, v12
	v_add_nc_u32_e32 v12, v8, v178
                                        ; implicit-def: $vgpr8
	s_delay_alu instid0(VALU_DEP_3)
	v_cmpx_ne_u32_e64 v167, v176
	s_xor_b32 s13, exec_lo, s13
; %bb.7113:                             ;   in Loop: Header=BB4_6538 Depth=3
	s_delay_alu instid0(VALU_DEP_2) | instskip(SKIP_2) | instid1(VALU_DEP_2)
	v_cmp_lt_u32_e32 vcc_lo, 0xffffff, v12
	v_sub_nc_u32_e32 v8, v167, v176
	v_cndmask_b32_e64 v167, 0, 1, vcc_lo
	v_add_co_ci_u32_e32 v8, vcc_lo, 0, v8, vcc_lo
	s_delay_alu instid0(VALU_DEP_2)
	v_lshrrev_b32_e32 v12, v167, v12
; %bb.7114:                             ;   in Loop: Header=BB4_6538 Depth=3
	s_and_not1_saveexec_b32 s13, s13
; %bb.7115:                             ;   in Loop: Header=BB4_6538 Depth=3
	s_delay_alu instid0(VALU_DEP_1)
	v_bfe_u32 v8, v12, 23, 1
; %bb.7116:                             ;   in Loop: Header=BB4_6538 Depth=3
	s_or_b32 exec_lo, exec_lo, s13
	v_lshrrev_b32_e32 v12, 20, v12
	s_delay_alu instid0(VALU_DEP_2) | instskip(SKIP_2) | instid1(VALU_DEP_2)
	v_cmp_gt_i32_e32 vcc_lo, 16, v8
	v_lshrrev_b32_e32 v167, 24, v177
	v_min_i32_e32 v176, 15, v8
	v_dual_cndmask_b32 v12, 7, v12 :: v_dual_and_b32 v167, 0x80, v167
	s_delay_alu instid0(VALU_DEP_2) | instskip(NEXT) | instid1(VALU_DEP_2)
	v_lshlrev_b32_e32 v176, 3, v176
	v_and_b32_e32 v177, 7, v12
	v_or_b32_e32 v8, v8, v12
	s_delay_alu instid0(VALU_DEP_2) | instskip(NEXT) | instid1(VALU_DEP_2)
	v_or3_b32 v12, v176, v167, v177
	v_cmp_ne_u32_e32 vcc_lo, 0, v8
	s_delay_alu instid0(VALU_DEP_2)
	v_cndmask_b32_e32 v8, 0, v12, vcc_lo
.LBB4_7117:                             ;   in Loop: Header=BB4_6538 Depth=3
	s_or_b32 exec_lo, exec_lo, s31
.LBB4_7118:                             ;   in Loop: Header=BB4_6538 Depth=3
	s_delay_alu instid0(SALU_CYCLE_1) | instskip(NEXT) | instid1(SALU_CYCLE_1)
	s_or_b32 exec_lo, exec_lo, s17
	s_and_not1_b32 vcc_lo, exec_lo, s16
	s_cbranch_vccnz .LBB4_7128
; %bb.7119:                             ;   in Loop: Header=BB4_6538 Depth=3
	v_and_b32_e32 v167, 0xff, v13
	s_mov_b32 s13, 0
	s_mov_b32 s31, exec_lo
                                        ; implicit-def: $sgpr17
	s_delay_alu instid0(VALU_DEP_1)
	v_cmpx_lt_i16_e64 0x7f, v167
	s_xor_b32 s31, exec_lo, s31
	s_cbranch_execnz .LBB4_7784
; %bb.7120:                             ;   in Loop: Header=BB4_6538 Depth=3
	s_or_saveexec_b32 s31, s31
	v_mov_b32_e32 v12, s17
	s_xor_b32 exec_lo, exec_lo, s31
	s_cbranch_execnz .LBB4_7787
.LBB4_7121:                             ;   in Loop: Header=BB4_6538 Depth=3
	s_or_b32 exec_lo, exec_lo, s31
	s_and_saveexec_b32 s17, s13
	s_cbranch_execz .LBB4_7123
.LBB4_7122:                             ;   in Loop: Header=BB4_6538 Depth=3
	v_bfe_u32 v177, v13, 3, 4
	v_lshlrev_b32_e32 v178, 24, v13
	s_delay_alu instid0(VALU_DEP_2) | instskip(SKIP_1) | instid1(VALU_DEP_1)
	v_cmp_eq_u32_e32 vcc_lo, 0, v177
	v_and_b32_e32 v12, 7, v13
	v_clz_i32_u32_e32 v167, v12
	s_delay_alu instid0(VALU_DEP_1) | instskip(NEXT) | instid1(VALU_DEP_1)
	v_min_u32_e32 v167, 32, v167
	v_subrev_nc_u32_e32 v176, 28, v167
	v_sub_nc_u32_e32 v167, 29, v167
	s_delay_alu instid0(VALU_DEP_1) | instskip(NEXT) | instid1(VALU_DEP_1)
	v_dual_cndmask_b32 v167, v177, v167 :: v_dual_lshlrev_b32 v176, v176, v13
	v_and_b32_e32 v176, 7, v176
	s_delay_alu instid0(VALU_DEP_2) | instskip(NEXT) | instid1(VALU_DEP_2)
	v_lshl_add_u32 v167, v167, 23, 0x3b800000
	v_cndmask_b32_e32 v12, v12, v176, vcc_lo
	v_and_b32_e32 v176, 0x80000000, v178
	s_delay_alu instid0(VALU_DEP_2) | instskip(NEXT) | instid1(VALU_DEP_1)
	v_lshlrev_b32_e32 v12, 20, v12
	v_or3_b32 v12, v176, v167, v12
.LBB4_7123:                             ;   in Loop: Header=BB4_6538 Depth=3
	s_or_b32 exec_lo, exec_lo, s17
	v_and_b32_e32 v176, 0xff, v9
	s_mov_b32 s13, 0
	s_mov_b32 s31, exec_lo
                                        ; implicit-def: $sgpr17
	s_delay_alu instid0(VALU_DEP_1)
	v_cmpx_lt_i16_e64 0x7f, v176
	s_xor_b32 s31, exec_lo, s31
	s_cbranch_execnz .LBB4_7788
; %bb.7124:                             ;   in Loop: Header=BB4_6538 Depth=3
	s_or_saveexec_b32 s31, s31
	v_mov_b32_e32 v167, s17
	s_xor_b32 exec_lo, exec_lo, s31
	s_cbranch_execnz .LBB4_7791
.LBB4_7125:                             ;   in Loop: Header=BB4_6538 Depth=3
	s_or_b32 exec_lo, exec_lo, s31
	s_and_saveexec_b32 s17, s13
	s_cbranch_execz .LBB4_7127
.LBB4_7126:                             ;   in Loop: Header=BB4_6538 Depth=3
	v_bfe_u32 v178, v9, 3, 4
	v_lshlrev_b32_e32 v179, 24, v9
	s_delay_alu instid0(VALU_DEP_2) | instskip(SKIP_1) | instid1(VALU_DEP_1)
	v_cmp_eq_u32_e32 vcc_lo, 0, v178
	v_and_b32_e32 v167, 7, v9
	v_clz_i32_u32_e32 v176, v167
	s_delay_alu instid0(VALU_DEP_1) | instskip(NEXT) | instid1(VALU_DEP_1)
	v_min_u32_e32 v176, 32, v176
	v_subrev_nc_u32_e32 v177, 28, v176
	v_sub_nc_u32_e32 v176, 29, v176
	s_delay_alu instid0(VALU_DEP_1) | instskip(NEXT) | instid1(VALU_DEP_1)
	v_dual_cndmask_b32 v176, v178, v176 :: v_dual_lshlrev_b32 v177, v177, v9
	v_and_b32_e32 v177, 7, v177
	s_delay_alu instid0(VALU_DEP_2) | instskip(NEXT) | instid1(VALU_DEP_2)
	v_lshl_add_u32 v176, v176, 23, 0x3b800000
	v_cndmask_b32_e32 v167, v167, v177, vcc_lo
	v_and_b32_e32 v177, 0x80000000, v179
	s_delay_alu instid0(VALU_DEP_2) | instskip(NEXT) | instid1(VALU_DEP_1)
	v_lshlrev_b32_e32 v167, 20, v167
	v_or3_b32 v167, v177, v176, v167
.LBB4_7127:                             ;   in Loop: Header=BB4_6538 Depth=3
	s_or_b32 exec_lo, exec_lo, s17
	s_delay_alu instid0(VALU_DEP_1) | instskip(SKIP_1) | instid1(VALU_DEP_1)
	v_dual_max_f32 v167, v167, v167 :: v_dual_max_f32 v12, v12, v12
	s_mov_b32 s13, 0
	v_max_f32_e32 v167, v12, v167
	s_branch .LBB4_7129
.LBB4_7128:                             ;   in Loop: Header=BB4_6538 Depth=3
	s_mov_b32 s13, -1
                                        ; implicit-def: $vgpr167
.LBB4_7129:                             ;   in Loop: Header=BB4_6538 Depth=3
	s_delay_alu instid0(SALU_CYCLE_1)
	s_and_b32 vcc_lo, exec_lo, s13
	s_cbranch_vccz .LBB4_7139
; %bb.7130:                             ;   in Loop: Header=BB4_6538 Depth=3
	v_and_b32_e32 v167, 0xff, v13
	s_mov_b32 s13, 0
	s_mov_b32 s31, exec_lo
                                        ; implicit-def: $sgpr17
	s_delay_alu instid0(VALU_DEP_1)
	v_cmpx_lt_i16_e64 0x7f, v167
	s_xor_b32 s31, exec_lo, s31
	s_cbranch_execnz .LBB4_7792
; %bb.7131:                             ;   in Loop: Header=BB4_6538 Depth=3
	s_or_saveexec_b32 s31, s31
	v_mov_b32_e32 v12, s17
	s_xor_b32 exec_lo, exec_lo, s31
	s_cbranch_execnz .LBB4_7795
.LBB4_7132:                             ;   in Loop: Header=BB4_6538 Depth=3
	s_or_b32 exec_lo, exec_lo, s31
	s_and_saveexec_b32 s17, s13
	s_cbranch_execz .LBB4_7134
.LBB4_7133:                             ;   in Loop: Header=BB4_6538 Depth=3
	v_bfe_u32 v177, v13, 3, 4
	v_lshlrev_b32_e32 v178, 24, v13
	s_delay_alu instid0(VALU_DEP_2) | instskip(SKIP_1) | instid1(VALU_DEP_1)
	v_cmp_eq_u32_e32 vcc_lo, 0, v177
	v_and_b32_e32 v12, 7, v13
	v_clz_i32_u32_e32 v167, v12
	s_delay_alu instid0(VALU_DEP_1) | instskip(NEXT) | instid1(VALU_DEP_1)
	v_min_u32_e32 v167, 32, v167
	v_subrev_nc_u32_e32 v176, 28, v167
	v_sub_nc_u32_e32 v167, 29, v167
	s_delay_alu instid0(VALU_DEP_1) | instskip(NEXT) | instid1(VALU_DEP_1)
	v_dual_cndmask_b32 v167, v177, v167 :: v_dual_lshlrev_b32 v176, v176, v13
	v_and_b32_e32 v176, 7, v176
	s_delay_alu instid0(VALU_DEP_2) | instskip(NEXT) | instid1(VALU_DEP_2)
	v_lshl_add_u32 v167, v167, 23, 0x3b800000
	v_cndmask_b32_e32 v12, v12, v176, vcc_lo
	v_and_b32_e32 v176, 0x80000000, v178
	s_delay_alu instid0(VALU_DEP_2) | instskip(NEXT) | instid1(VALU_DEP_1)
	v_lshlrev_b32_e32 v12, 20, v12
	v_or3_b32 v12, v176, v167, v12
.LBB4_7134:                             ;   in Loop: Header=BB4_6538 Depth=3
	s_or_b32 exec_lo, exec_lo, s17
	v_and_b32_e32 v176, 0xff, v9
	s_mov_b32 s13, 0
	s_mov_b32 s31, exec_lo
                                        ; implicit-def: $sgpr17
	s_delay_alu instid0(VALU_DEP_1)
	v_cmpx_lt_i16_e64 0x7f, v176
	s_xor_b32 s31, exec_lo, s31
	s_cbranch_execnz .LBB4_7796
; %bb.7135:                             ;   in Loop: Header=BB4_6538 Depth=3
	s_or_saveexec_b32 s31, s31
	v_mov_b32_e32 v167, s17
	s_xor_b32 exec_lo, exec_lo, s31
	s_cbranch_execnz .LBB4_7799
.LBB4_7136:                             ;   in Loop: Header=BB4_6538 Depth=3
	s_or_b32 exec_lo, exec_lo, s31
	s_and_saveexec_b32 s17, s13
	s_cbranch_execz .LBB4_7138
.LBB4_7137:                             ;   in Loop: Header=BB4_6538 Depth=3
	v_bfe_u32 v178, v9, 3, 4
	v_lshlrev_b32_e32 v179, 24, v9
	s_delay_alu instid0(VALU_DEP_2) | instskip(SKIP_1) | instid1(VALU_DEP_1)
	v_cmp_eq_u32_e32 vcc_lo, 0, v178
	v_and_b32_e32 v167, 7, v9
	v_clz_i32_u32_e32 v176, v167
	s_delay_alu instid0(VALU_DEP_1) | instskip(NEXT) | instid1(VALU_DEP_1)
	v_min_u32_e32 v176, 32, v176
	v_subrev_nc_u32_e32 v177, 28, v176
	v_sub_nc_u32_e32 v176, 29, v176
	s_delay_alu instid0(VALU_DEP_1) | instskip(NEXT) | instid1(VALU_DEP_1)
	v_dual_cndmask_b32 v176, v178, v176 :: v_dual_lshlrev_b32 v177, v177, v9
	v_and_b32_e32 v177, 7, v177
	s_delay_alu instid0(VALU_DEP_2) | instskip(NEXT) | instid1(VALU_DEP_2)
	v_lshl_add_u32 v176, v176, 23, 0x3b800000
	v_cndmask_b32_e32 v167, v167, v177, vcc_lo
	v_and_b32_e32 v177, 0x80000000, v179
	s_delay_alu instid0(VALU_DEP_2) | instskip(NEXT) | instid1(VALU_DEP_1)
	v_lshlrev_b32_e32 v167, 20, v167
	v_or3_b32 v167, v177, v176, v167
.LBB4_7138:                             ;   in Loop: Header=BB4_6538 Depth=3
	s_or_b32 exec_lo, exec_lo, s17
	s_delay_alu instid0(VALU_DEP_1) | instskip(NEXT) | instid1(VALU_DEP_1)
	v_dual_max_f32 v167, v167, v167 :: v_dual_max_f32 v12, v12, v12
	v_min_f32_e32 v167, v12, v167
.LBB4_7139:                             ;   in Loop: Header=BB4_6538 Depth=3
	s_delay_alu instid0(VALU_DEP_1) | instskip(NEXT) | instid1(VALU_DEP_1)
	v_and_b32_e32 v12, 0x7f800000, v167
	v_cmp_ne_u32_e32 vcc_lo, 0x7f800000, v12
	v_mov_b32_e32 v12, 0x80
	s_and_saveexec_b32 s17, vcc_lo
	s_cbranch_execz .LBB4_7147
; %bb.7140:                             ;   in Loop: Header=BB4_6538 Depth=3
	v_mov_b32_e32 v12, 0
	s_mov_b32 s31, exec_lo
	v_cmpx_ne_u32_e32 0, v167
	s_cbranch_execz .LBB4_7146
; %bb.7141:                             ;   in Loop: Header=BB4_6538 Depth=3
	v_bfe_u32 v12, v167, 23, 8
	s_delay_alu instid0(VALU_DEP_1) | instskip(SKIP_1) | instid1(VALU_DEP_2)
	v_sub_nc_u32_e32 v177, 0x78, v12
	v_cmp_gt_u32_e32 vcc_lo, 0x79, v12
	v_dual_cndmask_b32 v177, 0, v177 :: v_dual_and_b32 v176, 0x7fffff, v167
	s_delay_alu instid0(VALU_DEP_1) | instskip(SKIP_2) | instid1(VALU_DEP_4)
	v_or_b32_e32 v178, 0x800000, v176
	v_cmp_eq_u32_e32 vcc_lo, 0, v12
	v_add_nc_u32_e32 v12, 0xffffff89, v12
	v_cndmask_b32_e64 v177, v177, 0x77, vcc_lo
	s_delay_alu instid0(VALU_DEP_4) | instskip(NEXT) | instid1(VALU_DEP_3)
	v_cndmask_b32_e32 v176, v178, v176, vcc_lo
	v_cndmask_b32_e64 v12, v12, 0xffffff8a, vcc_lo
	s_delay_alu instid0(VALU_DEP_3) | instskip(NEXT) | instid1(VALU_DEP_3)
	v_lshl_add_u32 v178, 0x100000, v177, -1
	v_lshrrev_b32_e32 v179, v177, v176
	v_lshlrev_b32_e64 v181, v177, 0x80000
	s_delay_alu instid0(VALU_DEP_4) | instskip(NEXT) | instid1(VALU_DEP_4)
	v_add_nc_u32_e32 v177, v177, v12
	v_and_b32_e32 v176, v178, v176
	s_delay_alu instid0(VALU_DEP_4) | instskip(NEXT) | instid1(VALU_DEP_2)
	v_bfe_u32 v180, v179, 20, 1
	v_cmp_eq_u32_e64 s13, v176, v181
	s_delay_alu instid0(VALU_DEP_2) | instskip(NEXT) | instid1(VALU_DEP_1)
	v_add_nc_u32_e32 v178, -1, v180
	v_cndmask_b32_e64 v176, 0, v178, s13
	v_lshrrev_b32_e32 v178, 23, v179
	s_mov_b32 s13, exec_lo
	s_delay_alu instid0(VALU_DEP_2) | instskip(NEXT) | instid1(VALU_DEP_2)
	v_add_nc_u32_e32 v176, v176, v179
	v_xor_b32_e32 v178, 1, v178
	s_delay_alu instid0(VALU_DEP_2) | instskip(NEXT) | instid1(VALU_DEP_1)
	v_and_b32_e32 v12, 0xfffff, v176
	v_add_nc_u32_e32 v176, v12, v179
                                        ; implicit-def: $vgpr12
	s_delay_alu instid0(VALU_DEP_3)
	v_cmpx_ne_u32_e64 v177, v178
	s_xor_b32 s13, exec_lo, s13
; %bb.7142:                             ;   in Loop: Header=BB4_6538 Depth=3
	s_delay_alu instid0(VALU_DEP_2) | instskip(SKIP_2) | instid1(VALU_DEP_2)
	v_cmp_lt_u32_e32 vcc_lo, 0xffffff, v176
	v_sub_nc_u32_e32 v12, v177, v178
	v_cndmask_b32_e64 v177, 0, 1, vcc_lo
	v_add_co_ci_u32_e32 v12, vcc_lo, 0, v12, vcc_lo
	s_delay_alu instid0(VALU_DEP_2)
	v_lshrrev_b32_e32 v176, v177, v176
; %bb.7143:                             ;   in Loop: Header=BB4_6538 Depth=3
	s_and_not1_saveexec_b32 s13, s13
; %bb.7144:                             ;   in Loop: Header=BB4_6538 Depth=3
	s_delay_alu instid0(VALU_DEP_1)
	v_bfe_u32 v12, v176, 23, 1
; %bb.7145:                             ;   in Loop: Header=BB4_6538 Depth=3
	s_or_b32 exec_lo, exec_lo, s13
	v_lshrrev_b32_e32 v176, 20, v176
	s_delay_alu instid0(VALU_DEP_2) | instskip(SKIP_2) | instid1(VALU_DEP_2)
	v_cmp_gt_i32_e32 vcc_lo, 16, v12
	v_lshrrev_b32_e32 v167, 24, v167
	v_min_i32_e32 v177, 15, v12
	v_dual_cndmask_b32 v176, 7, v176 :: v_dual_and_b32 v167, 0x80, v167
	s_delay_alu instid0(VALU_DEP_1) | instskip(SKIP_1) | instid1(VALU_DEP_2)
	v_or_b32_e32 v12, v12, v176
	v_and_b32_e32 v178, 7, v176
	v_cmp_ne_u32_e32 vcc_lo, 0, v12
	v_lshlrev_b32_e32 v177, 3, v177
	s_delay_alu instid0(VALU_DEP_1) | instskip(NEXT) | instid1(VALU_DEP_1)
	v_or3_b32 v167, v177, v167, v178
	v_cndmask_b32_e32 v12, 0, v167, vcc_lo
.LBB4_7146:                             ;   in Loop: Header=BB4_6538 Depth=3
	s_or_b32 exec_lo, exec_lo, s31
.LBB4_7147:                             ;   in Loop: Header=BB4_6538 Depth=3
	s_delay_alu instid0(SALU_CYCLE_1)
	s_or_b32 exec_lo, exec_lo, s17
	v_lshrrev_b16 v176, 8, v13
	v_lshrrev_b16 v167, 8, v9
	s_and_not1_b32 vcc_lo, exec_lo, s16
	s_cbranch_vccnz .LBB4_7157
; %bb.7148:                             ;   in Loop: Header=BB4_6538 Depth=3
	s_mov_b32 s13, 0
	s_mov_b32 s31, exec_lo
                                        ; implicit-def: $sgpr17
	v_cmpx_lt_i16_e64 0x7f, v176
	s_xor_b32 s31, exec_lo, s31
	s_cbranch_execnz .LBB4_7800
; %bb.7149:                             ;   in Loop: Header=BB4_6538 Depth=3
	s_or_saveexec_b32 s31, s31
	v_mov_b32_e32 v177, s17
	s_xor_b32 exec_lo, exec_lo, s31
	s_cbranch_execnz .LBB4_7803
.LBB4_7150:                             ;   in Loop: Header=BB4_6538 Depth=3
	s_or_b32 exec_lo, exec_lo, s31
	s_and_saveexec_b32 s17, s13
	s_cbranch_execz .LBB4_7152
.LBB4_7151:                             ;   in Loop: Header=BB4_6538 Depth=3
	v_and_b32_e32 v177, 0xffff, v176
	s_delay_alu instid0(VALU_DEP_1) | instskip(NEXT) | instid1(VALU_DEP_1)
	v_and_b32_e32 v178, 7, v177
	v_clz_i32_u32_e32 v179, v178
	s_delay_alu instid0(VALU_DEP_1) | instskip(NEXT) | instid1(VALU_DEP_1)
	v_min_u32_e32 v179, 32, v179
	v_subrev_nc_u32_e32 v180, 28, v179
	v_sub_nc_u32_e32 v179, 29, v179
	s_delay_alu instid0(VALU_DEP_2) | instskip(SKIP_1) | instid1(VALU_DEP_2)
	v_lshlrev_b32_e32 v180, v180, v177
	v_bfe_u32 v177, v177, 3, 4
	v_and_b32_e32 v180, 7, v180
	s_delay_alu instid0(VALU_DEP_2) | instskip(SKIP_1) | instid1(VALU_DEP_3)
	v_cmp_eq_u32_e32 vcc_lo, 0, v177
	v_cndmask_b32_e32 v177, v177, v179, vcc_lo
	v_dual_cndmask_b32 v178, v178, v180 :: v_dual_lshlrev_b32 v181, 16, v13
	s_delay_alu instid0(VALU_DEP_2) | instskip(NEXT) | instid1(VALU_DEP_2)
	v_lshl_add_u32 v177, v177, 23, 0x3b800000
	v_and_b32_e32 v179, 0x80000000, v181
	s_delay_alu instid0(VALU_DEP_3) | instskip(NEXT) | instid1(VALU_DEP_1)
	v_lshlrev_b32_e32 v178, 20, v178
	v_or3_b32 v177, v179, v177, v178
.LBB4_7152:                             ;   in Loop: Header=BB4_6538 Depth=3
	s_or_b32 exec_lo, exec_lo, s17
	s_mov_b32 s13, 0
	s_mov_b32 s31, exec_lo
                                        ; implicit-def: $sgpr17
	v_cmpx_lt_i16_e64 0x7f, v167
	s_xor_b32 s31, exec_lo, s31
	s_cbranch_execnz .LBB4_7804
; %bb.7153:                             ;   in Loop: Header=BB4_6538 Depth=3
	s_or_saveexec_b32 s31, s31
	v_mov_b32_e32 v178, s17
	s_xor_b32 exec_lo, exec_lo, s31
	s_cbranch_execnz .LBB4_7807
.LBB4_7154:                             ;   in Loop: Header=BB4_6538 Depth=3
	s_or_b32 exec_lo, exec_lo, s31
	s_and_saveexec_b32 s17, s13
	s_cbranch_execz .LBB4_7156
.LBB4_7155:                             ;   in Loop: Header=BB4_6538 Depth=3
	v_and_b32_e32 v178, 0xffff, v167
	v_lshlrev_b32_e32 v182, 16, v9
	s_delay_alu instid0(VALU_DEP_2) | instskip(NEXT) | instid1(VALU_DEP_1)
	v_and_b32_e32 v179, 7, v178
	v_clz_i32_u32_e32 v180, v179
	s_delay_alu instid0(VALU_DEP_1) | instskip(NEXT) | instid1(VALU_DEP_1)
	v_min_u32_e32 v180, 32, v180
	v_subrev_nc_u32_e32 v181, 28, v180
	v_sub_nc_u32_e32 v180, 29, v180
	s_delay_alu instid0(VALU_DEP_2) | instskip(SKIP_1) | instid1(VALU_DEP_2)
	v_lshlrev_b32_e32 v181, v181, v178
	v_bfe_u32 v178, v178, 3, 4
	v_and_b32_e32 v181, 7, v181
	s_delay_alu instid0(VALU_DEP_2) | instskip(NEXT) | instid1(VALU_DEP_2)
	v_cmp_eq_u32_e32 vcc_lo, 0, v178
	v_dual_cndmask_b32 v178, v178, v180 :: v_dual_cndmask_b32 v179, v179, v181
	v_and_b32_e32 v180, 0x80000000, v182
	s_delay_alu instid0(VALU_DEP_2) | instskip(NEXT) | instid1(VALU_DEP_3)
	v_lshl_add_u32 v178, v178, 23, 0x3b800000
	v_lshlrev_b32_e32 v179, 20, v179
	s_delay_alu instid0(VALU_DEP_1)
	v_or3_b32 v178, v180, v178, v179
.LBB4_7156:                             ;   in Loop: Header=BB4_6538 Depth=3
	s_or_b32 exec_lo, exec_lo, s17
	s_delay_alu instid0(VALU_DEP_1) | instskip(SKIP_1) | instid1(VALU_DEP_1)
	v_dual_max_f32 v178, v178, v178 :: v_dual_max_f32 v177, v177, v177
	s_mov_b32 s13, 0
	v_max_f32_e32 v177, v177, v178
	s_branch .LBB4_7158
.LBB4_7157:                             ;   in Loop: Header=BB4_6538 Depth=3
	s_mov_b32 s13, -1
                                        ; implicit-def: $vgpr177
.LBB4_7158:                             ;   in Loop: Header=BB4_6538 Depth=3
	s_delay_alu instid0(SALU_CYCLE_1)
	s_and_b32 vcc_lo, exec_lo, s13
	s_cbranch_vccz .LBB4_7168
; %bb.7159:                             ;   in Loop: Header=BB4_6538 Depth=3
	s_mov_b32 s13, 0
	s_mov_b32 s31, exec_lo
                                        ; implicit-def: $sgpr17
	v_cmpx_lt_i16_e64 0x7f, v176
	s_xor_b32 s31, exec_lo, s31
	s_cbranch_execnz .LBB4_7808
; %bb.7160:                             ;   in Loop: Header=BB4_6538 Depth=3
	s_or_saveexec_b32 s31, s31
	v_mov_b32_e32 v177, s17
	s_xor_b32 exec_lo, exec_lo, s31
	s_cbranch_execnz .LBB4_7811
.LBB4_7161:                             ;   in Loop: Header=BB4_6538 Depth=3
	s_or_b32 exec_lo, exec_lo, s31
	s_and_saveexec_b32 s17, s13
	s_cbranch_execz .LBB4_7163
.LBB4_7162:                             ;   in Loop: Header=BB4_6538 Depth=3
	v_and_b32_e32 v176, 0xffff, v176
	v_lshlrev_b32_e32 v180, 16, v13
	s_delay_alu instid0(VALU_DEP_2) | instskip(NEXT) | instid1(VALU_DEP_1)
	v_and_b32_e32 v177, 7, v176
	v_clz_i32_u32_e32 v178, v177
	s_delay_alu instid0(VALU_DEP_1) | instskip(NEXT) | instid1(VALU_DEP_1)
	v_min_u32_e32 v178, 32, v178
	v_subrev_nc_u32_e32 v179, 28, v178
	v_sub_nc_u32_e32 v178, 29, v178
	s_delay_alu instid0(VALU_DEP_2) | instskip(SKIP_1) | instid1(VALU_DEP_2)
	v_lshlrev_b32_e32 v179, v179, v176
	v_bfe_u32 v176, v176, 3, 4
	v_and_b32_e32 v179, 7, v179
	s_delay_alu instid0(VALU_DEP_2) | instskip(NEXT) | instid1(VALU_DEP_2)
	v_cmp_eq_u32_e32 vcc_lo, 0, v176
	v_dual_cndmask_b32 v176, v176, v178 :: v_dual_cndmask_b32 v177, v177, v179
	v_and_b32_e32 v178, 0x80000000, v180
	s_delay_alu instid0(VALU_DEP_2) | instskip(NEXT) | instid1(VALU_DEP_3)
	v_lshl_add_u32 v176, v176, 23, 0x3b800000
	v_lshlrev_b32_e32 v177, 20, v177
	s_delay_alu instid0(VALU_DEP_1)
	v_or3_b32 v177, v178, v176, v177
.LBB4_7163:                             ;   in Loop: Header=BB4_6538 Depth=3
	s_or_b32 exec_lo, exec_lo, s17
	s_mov_b32 s13, 0
	s_mov_b32 s31, exec_lo
                                        ; implicit-def: $sgpr17
	v_cmpx_lt_i16_e64 0x7f, v167
	s_xor_b32 s31, exec_lo, s31
	s_cbranch_execnz .LBB4_7812
; %bb.7164:                             ;   in Loop: Header=BB4_6538 Depth=3
	s_or_saveexec_b32 s31, s31
	v_mov_b32_e32 v176, s17
	s_xor_b32 exec_lo, exec_lo, s31
	s_cbranch_execnz .LBB4_7815
.LBB4_7165:                             ;   in Loop: Header=BB4_6538 Depth=3
	s_or_b32 exec_lo, exec_lo, s31
	s_and_saveexec_b32 s17, s13
	s_cbranch_execz .LBB4_7167
.LBB4_7166:                             ;   in Loop: Header=BB4_6538 Depth=3
	v_and_b32_e32 v167, 0xffff, v167
	v_lshlrev_b32_e32 v180, 16, v9
	s_delay_alu instid0(VALU_DEP_2) | instskip(NEXT) | instid1(VALU_DEP_1)
	v_and_b32_e32 v176, 7, v167
	v_clz_i32_u32_e32 v178, v176
	s_delay_alu instid0(VALU_DEP_1) | instskip(NEXT) | instid1(VALU_DEP_1)
	v_min_u32_e32 v178, 32, v178
	v_subrev_nc_u32_e32 v179, 28, v178
	v_sub_nc_u32_e32 v178, 29, v178
	s_delay_alu instid0(VALU_DEP_2) | instskip(SKIP_1) | instid1(VALU_DEP_2)
	v_lshlrev_b32_e32 v179, v179, v167
	v_bfe_u32 v167, v167, 3, 4
	v_and_b32_e32 v179, 7, v179
	s_delay_alu instid0(VALU_DEP_2) | instskip(NEXT) | instid1(VALU_DEP_2)
	v_cmp_eq_u32_e32 vcc_lo, 0, v167
	v_dual_cndmask_b32 v167, v167, v178 :: v_dual_cndmask_b32 v176, v176, v179
	v_and_b32_e32 v178, 0x80000000, v180
	s_delay_alu instid0(VALU_DEP_2) | instskip(NEXT) | instid1(VALU_DEP_3)
	v_lshl_add_u32 v167, v167, 23, 0x3b800000
	v_lshlrev_b32_e32 v176, 20, v176
	s_delay_alu instid0(VALU_DEP_1)
	v_or3_b32 v176, v178, v167, v176
.LBB4_7167:                             ;   in Loop: Header=BB4_6538 Depth=3
	s_or_b32 exec_lo, exec_lo, s17
	s_delay_alu instid0(VALU_DEP_1) | instskip(NEXT) | instid1(VALU_DEP_1)
	v_dual_max_f32 v167, v176, v176 :: v_dual_max_f32 v176, v177, v177
	v_min_f32_e32 v177, v176, v167
.LBB4_7168:                             ;   in Loop: Header=BB4_6538 Depth=3
	s_delay_alu instid0(VALU_DEP_1) | instskip(NEXT) | instid1(VALU_DEP_1)
	v_and_b32_e32 v167, 0x7f800000, v177
	v_cmp_ne_u32_e32 vcc_lo, 0x7f800000, v167
	v_mov_b32_e32 v167, 0x80
	s_and_saveexec_b32 s17, vcc_lo
	s_cbranch_execz .LBB4_7176
; %bb.7169:                             ;   in Loop: Header=BB4_6538 Depth=3
	v_mov_b32_e32 v167, 0
	s_mov_b32 s31, exec_lo
	v_cmpx_ne_u32_e32 0, v177
	s_cbranch_execz .LBB4_7175
; %bb.7170:                             ;   in Loop: Header=BB4_6538 Depth=3
	v_bfe_u32 v167, v177, 23, 8
	v_and_b32_e32 v176, 0x7fffff, v177
	s_delay_alu instid0(VALU_DEP_2) | instskip(SKIP_1) | instid1(VALU_DEP_3)
	v_sub_nc_u32_e32 v178, 0x78, v167
	v_cmp_gt_u32_e32 vcc_lo, 0x79, v167
	v_or_b32_e32 v179, 0x800000, v176
	s_delay_alu instid0(VALU_DEP_3) | instskip(SKIP_2) | instid1(VALU_DEP_3)
	v_cndmask_b32_e32 v178, 0, v178, vcc_lo
	v_cmp_eq_u32_e32 vcc_lo, 0, v167
	v_add_nc_u32_e32 v167, 0xffffff89, v167
	v_cndmask_b32_e64 v178, v178, 0x77, vcc_lo
	v_cndmask_b32_e32 v176, v179, v176, vcc_lo
	s_delay_alu instid0(VALU_DEP_3) | instskip(NEXT) | instid1(VALU_DEP_3)
	v_cndmask_b32_e64 v167, v167, 0xffffff8a, vcc_lo
	v_lshl_add_u32 v179, 0x100000, v178, -1
	s_delay_alu instid0(VALU_DEP_3) | instskip(SKIP_1) | instid1(VALU_DEP_4)
	v_lshrrev_b32_e32 v180, v178, v176
	v_lshlrev_b32_e64 v182, v178, 0x80000
	v_add_nc_u32_e32 v178, v178, v167
	s_delay_alu instid0(VALU_DEP_4) | instskip(NEXT) | instid1(VALU_DEP_4)
	v_and_b32_e32 v176, v179, v176
	v_bfe_u32 v181, v180, 20, 1
	s_delay_alu instid0(VALU_DEP_2) | instskip(NEXT) | instid1(VALU_DEP_2)
	v_cmp_eq_u32_e64 s13, v176, v182
	v_add_nc_u32_e32 v179, -1, v181
	s_delay_alu instid0(VALU_DEP_1) | instskip(SKIP_2) | instid1(VALU_DEP_2)
	v_cndmask_b32_e64 v176, 0, v179, s13
	v_lshrrev_b32_e32 v179, 23, v180
	s_mov_b32 s13, exec_lo
	v_add_nc_u32_e32 v176, v176, v180
	s_delay_alu instid0(VALU_DEP_2) | instskip(NEXT) | instid1(VALU_DEP_2)
	v_xor_b32_e32 v179, 1, v179
	v_and_b32_e32 v167, 0xfffff, v176
	s_delay_alu instid0(VALU_DEP_1) | instskip(NEXT) | instid1(VALU_DEP_3)
	v_add_nc_u32_e32 v176, v167, v180
                                        ; implicit-def: $vgpr167
	v_cmpx_ne_u32_e64 v178, v179
	s_xor_b32 s13, exec_lo, s13
; %bb.7171:                             ;   in Loop: Header=BB4_6538 Depth=3
	s_delay_alu instid0(VALU_DEP_2) | instskip(SKIP_2) | instid1(VALU_DEP_2)
	v_cmp_lt_u32_e32 vcc_lo, 0xffffff, v176
	v_sub_nc_u32_e32 v167, v178, v179
	v_cndmask_b32_e64 v178, 0, 1, vcc_lo
	v_add_co_ci_u32_e32 v167, vcc_lo, 0, v167, vcc_lo
	s_delay_alu instid0(VALU_DEP_2)
	v_lshrrev_b32_e32 v176, v178, v176
; %bb.7172:                             ;   in Loop: Header=BB4_6538 Depth=3
	s_and_not1_saveexec_b32 s13, s13
; %bb.7173:                             ;   in Loop: Header=BB4_6538 Depth=3
	s_delay_alu instid0(VALU_DEP_1)
	v_bfe_u32 v167, v176, 23, 1
; %bb.7174:                             ;   in Loop: Header=BB4_6538 Depth=3
	s_or_b32 exec_lo, exec_lo, s13
	v_lshrrev_b32_e32 v176, 20, v176
	s_delay_alu instid0(VALU_DEP_2) | instskip(SKIP_2) | instid1(VALU_DEP_2)
	v_cmp_gt_i32_e32 vcc_lo, 16, v167
	v_lshrrev_b32_e32 v177, 24, v177
	v_min_i32_e32 v178, 15, v167
	v_dual_cndmask_b32 v176, 7, v176 :: v_dual_and_b32 v177, 0x80, v177
	s_delay_alu instid0(VALU_DEP_1) | instskip(SKIP_1) | instid1(VALU_DEP_2)
	v_or_b32_e32 v167, v167, v176
	v_and_b32_e32 v179, 7, v176
	v_cmp_ne_u32_e32 vcc_lo, 0, v167
	v_lshlrev_b32_e32 v178, 3, v178
	s_delay_alu instid0(VALU_DEP_1) | instskip(NEXT) | instid1(VALU_DEP_1)
	v_or3_b32 v176, v178, v177, v179
	v_cndmask_b32_e32 v167, 0, v176, vcc_lo
.LBB4_7175:                             ;   in Loop: Header=BB4_6538 Depth=3
	s_or_b32 exec_lo, exec_lo, s31
.LBB4_7176:                             ;   in Loop: Header=BB4_6538 Depth=3
	s_delay_alu instid0(SALU_CYCLE_1)
	s_or_b32 exec_lo, exec_lo, s17
	v_lshrrev_b32_e32 v177, 16, v13
	v_lshrrev_b32_e32 v176, 16, v9
	s_and_not1_b32 vcc_lo, exec_lo, s16
	s_cbranch_vccnz .LBB4_7186
; %bb.7177:                             ;   in Loop: Header=BB4_6538 Depth=3
	s_delay_alu instid0(VALU_DEP_2) | instskip(SKIP_2) | instid1(VALU_DEP_1)
	v_and_b32_e32 v179, 0xff, v177
	s_mov_b32 s13, 0
	s_mov_b32 s31, exec_lo
                                        ; implicit-def: $sgpr17
	v_cmpx_lt_i16_e64 0x7f, v179
	s_xor_b32 s31, exec_lo, s31
	s_cbranch_execnz .LBB4_7816
; %bb.7178:                             ;   in Loop: Header=BB4_6538 Depth=3
	s_or_saveexec_b32 s31, s31
	v_mov_b32_e32 v178, s17
	s_xor_b32 exec_lo, exec_lo, s31
	s_cbranch_execnz .LBB4_7819
.LBB4_7179:                             ;   in Loop: Header=BB4_6538 Depth=3
	s_or_b32 exec_lo, exec_lo, s31
	s_and_saveexec_b32 s17, s13
	s_cbranch_execz .LBB4_7181
.LBB4_7180:                             ;   in Loop: Header=BB4_6538 Depth=3
	v_bfe_u32 v178, v13, 16, 3
	v_bfe_u32 v181, v13, 19, 4
	v_lshlrev_b32_e32 v182, 24, v177
	s_delay_alu instid0(VALU_DEP_3) | instskip(NEXT) | instid1(VALU_DEP_3)
	v_clz_i32_u32_e32 v179, v178
	v_cmp_eq_u32_e32 vcc_lo, 0, v181
	s_delay_alu instid0(VALU_DEP_2) | instskip(NEXT) | instid1(VALU_DEP_1)
	v_min_u32_e32 v179, 32, v179
	v_subrev_nc_u32_e32 v180, 28, v179
	v_sub_nc_u32_e32 v179, 29, v179
	s_delay_alu instid0(VALU_DEP_1) | instskip(NEXT) | instid1(VALU_DEP_1)
	v_dual_cndmask_b32 v179, v181, v179 :: v_dual_lshlrev_b32 v180, v180, v177
	v_and_b32_e32 v180, 7, v180
	s_delay_alu instid0(VALU_DEP_2) | instskip(NEXT) | instid1(VALU_DEP_2)
	v_lshl_add_u32 v179, v179, 23, 0x3b800000
	v_cndmask_b32_e32 v178, v178, v180, vcc_lo
	v_and_b32_e32 v180, 0x80000000, v182
	s_delay_alu instid0(VALU_DEP_2) | instskip(NEXT) | instid1(VALU_DEP_1)
	v_lshlrev_b32_e32 v178, 20, v178
	v_or3_b32 v178, v180, v179, v178
.LBB4_7181:                             ;   in Loop: Header=BB4_6538 Depth=3
	s_or_b32 exec_lo, exec_lo, s17
	v_and_b32_e32 v180, 0xff, v176
	s_mov_b32 s13, 0
	s_mov_b32 s31, exec_lo
                                        ; implicit-def: $sgpr17
	s_delay_alu instid0(VALU_DEP_1)
	v_cmpx_lt_i16_e64 0x7f, v180
	s_xor_b32 s31, exec_lo, s31
	s_cbranch_execnz .LBB4_7820
; %bb.7182:                             ;   in Loop: Header=BB4_6538 Depth=3
	s_or_saveexec_b32 s31, s31
	v_mov_b32_e32 v179, s17
	s_xor_b32 exec_lo, exec_lo, s31
	s_cbranch_execnz .LBB4_7823
.LBB4_7183:                             ;   in Loop: Header=BB4_6538 Depth=3
	s_or_b32 exec_lo, exec_lo, s31
	s_and_saveexec_b32 s17, s13
	s_cbranch_execz .LBB4_7185
.LBB4_7184:                             ;   in Loop: Header=BB4_6538 Depth=3
	v_bfe_u32 v179, v9, 16, 3
	v_bfe_u32 v182, v9, 19, 4
	v_lshlrev_b32_e32 v183, 24, v176
	s_delay_alu instid0(VALU_DEP_3) | instskip(NEXT) | instid1(VALU_DEP_3)
	v_clz_i32_u32_e32 v180, v179
	v_cmp_eq_u32_e32 vcc_lo, 0, v182
	s_delay_alu instid0(VALU_DEP_2) | instskip(NEXT) | instid1(VALU_DEP_1)
	v_min_u32_e32 v180, 32, v180
	v_subrev_nc_u32_e32 v181, 28, v180
	v_sub_nc_u32_e32 v180, 29, v180
	s_delay_alu instid0(VALU_DEP_2) | instskip(NEXT) | instid1(VALU_DEP_1)
	v_lshlrev_b32_e32 v181, v181, v176
	v_dual_cndmask_b32 v180, v182, v180 :: v_dual_and_b32 v181, 7, v181
	s_delay_alu instid0(VALU_DEP_1) | instskip(NEXT) | instid1(VALU_DEP_2)
	v_lshl_add_u32 v180, v180, 23, 0x3b800000
	v_cndmask_b32_e32 v179, v179, v181, vcc_lo
	v_and_b32_e32 v181, 0x80000000, v183
	s_delay_alu instid0(VALU_DEP_2) | instskip(NEXT) | instid1(VALU_DEP_1)
	v_lshlrev_b32_e32 v179, 20, v179
	v_or3_b32 v179, v181, v180, v179
.LBB4_7185:                             ;   in Loop: Header=BB4_6538 Depth=3
	s_or_b32 exec_lo, exec_lo, s17
	s_delay_alu instid0(VALU_DEP_1) | instskip(SKIP_1) | instid1(VALU_DEP_1)
	v_dual_max_f32 v179, v179, v179 :: v_dual_max_f32 v178, v178, v178
	s_mov_b32 s13, 0
	v_max_f32_e32 v178, v178, v179
	s_branch .LBB4_7187
.LBB4_7186:                             ;   in Loop: Header=BB4_6538 Depth=3
	s_mov_b32 s13, -1
                                        ; implicit-def: $vgpr178
.LBB4_7187:                             ;   in Loop: Header=BB4_6538 Depth=3
	s_delay_alu instid0(SALU_CYCLE_1)
	s_and_b32 vcc_lo, exec_lo, s13
	s_cbranch_vccz .LBB4_7197
; %bb.7188:                             ;   in Loop: Header=BB4_6538 Depth=3
	v_and_b32_e32 v179, 0xff, v177
	s_mov_b32 s13, 0
	s_mov_b32 s31, exec_lo
                                        ; implicit-def: $sgpr17
	s_delay_alu instid0(VALU_DEP_1)
	v_cmpx_lt_i16_e64 0x7f, v179
	s_xor_b32 s31, exec_lo, s31
	s_cbranch_execnz .LBB4_7824
; %bb.7189:                             ;   in Loop: Header=BB4_6538 Depth=3
	s_or_saveexec_b32 s31, s31
	v_mov_b32_e32 v178, s17
	s_xor_b32 exec_lo, exec_lo, s31
	s_cbranch_execnz .LBB4_7827
.LBB4_7190:                             ;   in Loop: Header=BB4_6538 Depth=3
	s_or_b32 exec_lo, exec_lo, s31
	s_and_saveexec_b32 s17, s13
	s_cbranch_execz .LBB4_7192
.LBB4_7191:                             ;   in Loop: Header=BB4_6538 Depth=3
	v_bfe_u32 v178, v13, 16, 3
	v_bfe_u32 v181, v13, 19, 4
	s_delay_alu instid0(VALU_DEP_2) | instskip(NEXT) | instid1(VALU_DEP_2)
	v_clz_i32_u32_e32 v179, v178
	v_cmp_eq_u32_e32 vcc_lo, 0, v181
	s_delay_alu instid0(VALU_DEP_2) | instskip(NEXT) | instid1(VALU_DEP_1)
	v_min_u32_e32 v179, 32, v179
	v_subrev_nc_u32_e32 v180, 28, v179
	v_sub_nc_u32_e32 v179, 29, v179
	s_delay_alu instid0(VALU_DEP_1) | instskip(NEXT) | instid1(VALU_DEP_1)
	v_dual_cndmask_b32 v179, v181, v179 :: v_dual_lshlrev_b32 v180, v180, v177
	v_and_b32_e32 v180, 7, v180
	v_lshlrev_b32_e32 v177, 24, v177
	s_delay_alu instid0(VALU_DEP_3) | instskip(NEXT) | instid1(VALU_DEP_2)
	v_lshl_add_u32 v179, v179, 23, 0x3b800000
	v_dual_cndmask_b32 v178, v178, v180 :: v_dual_and_b32 v177, 0x80000000, v177
	s_delay_alu instid0(VALU_DEP_1) | instskip(NEXT) | instid1(VALU_DEP_1)
	v_lshlrev_b32_e32 v178, 20, v178
	v_or3_b32 v178, v177, v179, v178
.LBB4_7192:                             ;   in Loop: Header=BB4_6538 Depth=3
	s_or_b32 exec_lo, exec_lo, s17
	v_and_b32_e32 v179, 0xff, v176
	s_mov_b32 s13, 0
	s_mov_b32 s31, exec_lo
                                        ; implicit-def: $sgpr17
	s_delay_alu instid0(VALU_DEP_1)
	v_cmpx_lt_i16_e64 0x7f, v179
	s_xor_b32 s31, exec_lo, s31
	s_cbranch_execnz .LBB4_7828
; %bb.7193:                             ;   in Loop: Header=BB4_6538 Depth=3
	s_or_saveexec_b32 s31, s31
	v_mov_b32_e32 v177, s17
	s_xor_b32 exec_lo, exec_lo, s31
	s_cbranch_execnz .LBB4_7831
.LBB4_7194:                             ;   in Loop: Header=BB4_6538 Depth=3
	s_or_b32 exec_lo, exec_lo, s31
	s_and_saveexec_b32 s17, s13
	s_cbranch_execz .LBB4_7196
.LBB4_7195:                             ;   in Loop: Header=BB4_6538 Depth=3
	v_bfe_u32 v177, v9, 16, 3
	v_bfe_u32 v181, v9, 19, 4
	s_delay_alu instid0(VALU_DEP_2) | instskip(NEXT) | instid1(VALU_DEP_2)
	v_clz_i32_u32_e32 v179, v177
	v_cmp_eq_u32_e32 vcc_lo, 0, v181
	s_delay_alu instid0(VALU_DEP_2) | instskip(NEXT) | instid1(VALU_DEP_1)
	v_min_u32_e32 v179, 32, v179
	v_subrev_nc_u32_e32 v180, 28, v179
	v_sub_nc_u32_e32 v179, 29, v179
	s_delay_alu instid0(VALU_DEP_1) | instskip(SKIP_1) | instid1(VALU_DEP_2)
	v_dual_cndmask_b32 v179, v181, v179 :: v_dual_lshlrev_b32 v180, v180, v176
	v_lshlrev_b32_e32 v176, 24, v176
	v_and_b32_e32 v180, 7, v180
	s_delay_alu instid0(VALU_DEP_3) | instskip(NEXT) | instid1(VALU_DEP_3)
	v_lshl_add_u32 v179, v179, 23, 0x3b800000
	v_and_b32_e32 v176, 0x80000000, v176
	s_delay_alu instid0(VALU_DEP_3) | instskip(NEXT) | instid1(VALU_DEP_1)
	v_cndmask_b32_e32 v177, v177, v180, vcc_lo
	v_lshlrev_b32_e32 v177, 20, v177
	s_delay_alu instid0(VALU_DEP_1)
	v_or3_b32 v177, v176, v179, v177
.LBB4_7196:                             ;   in Loop: Header=BB4_6538 Depth=3
	s_or_b32 exec_lo, exec_lo, s17
	s_delay_alu instid0(VALU_DEP_1) | instskip(NEXT) | instid1(VALU_DEP_1)
	v_dual_max_f32 v176, v177, v177 :: v_dual_max_f32 v177, v178, v178
	v_min_f32_e32 v178, v177, v176
.LBB4_7197:                             ;   in Loop: Header=BB4_6538 Depth=3
	s_delay_alu instid0(VALU_DEP_1) | instskip(NEXT) | instid1(VALU_DEP_1)
	v_and_b32_e32 v176, 0x7f800000, v178
	v_cmp_ne_u32_e32 vcc_lo, 0x7f800000, v176
	v_mov_b32_e32 v176, 0x80
	s_and_saveexec_b32 s17, vcc_lo
	s_cbranch_execz .LBB4_7205
; %bb.7198:                             ;   in Loop: Header=BB4_6538 Depth=3
	v_mov_b32_e32 v176, 0
	s_mov_b32 s31, exec_lo
	v_cmpx_ne_u32_e32 0, v178
	s_cbranch_execz .LBB4_7204
; %bb.7199:                             ;   in Loop: Header=BB4_6538 Depth=3
	v_bfe_u32 v176, v178, 23, 8
	v_and_b32_e32 v177, 0x7fffff, v178
	s_delay_alu instid0(VALU_DEP_2) | instskip(SKIP_1) | instid1(VALU_DEP_3)
	v_sub_nc_u32_e32 v179, 0x78, v176
	v_cmp_gt_u32_e32 vcc_lo, 0x79, v176
	v_or_b32_e32 v180, 0x800000, v177
	s_delay_alu instid0(VALU_DEP_3) | instskip(SKIP_2) | instid1(VALU_DEP_3)
	v_cndmask_b32_e32 v179, 0, v179, vcc_lo
	v_cmp_eq_u32_e32 vcc_lo, 0, v176
	v_add_nc_u32_e32 v176, 0xffffff89, v176
	v_cndmask_b32_e64 v179, v179, 0x77, vcc_lo
	v_cndmask_b32_e32 v177, v180, v177, vcc_lo
	s_delay_alu instid0(VALU_DEP_3) | instskip(NEXT) | instid1(VALU_DEP_3)
	v_cndmask_b32_e64 v176, v176, 0xffffff8a, vcc_lo
	v_lshl_add_u32 v180, 0x100000, v179, -1
	s_delay_alu instid0(VALU_DEP_3) | instskip(SKIP_1) | instid1(VALU_DEP_4)
	v_lshrrev_b32_e32 v181, v179, v177
	v_lshlrev_b32_e64 v183, v179, 0x80000
	v_add_nc_u32_e32 v179, v179, v176
	s_delay_alu instid0(VALU_DEP_4) | instskip(NEXT) | instid1(VALU_DEP_4)
	v_and_b32_e32 v177, v180, v177
	v_bfe_u32 v182, v181, 20, 1
	s_delay_alu instid0(VALU_DEP_2) | instskip(NEXT) | instid1(VALU_DEP_2)
	v_cmp_eq_u32_e64 s13, v177, v183
	v_add_nc_u32_e32 v180, -1, v182
	s_delay_alu instid0(VALU_DEP_1) | instskip(SKIP_2) | instid1(VALU_DEP_2)
	v_cndmask_b32_e64 v177, 0, v180, s13
	v_lshrrev_b32_e32 v180, 23, v181
	s_mov_b32 s13, exec_lo
	v_add_nc_u32_e32 v177, v177, v181
	s_delay_alu instid0(VALU_DEP_2) | instskip(NEXT) | instid1(VALU_DEP_2)
	v_xor_b32_e32 v180, 1, v180
	v_and_b32_e32 v176, 0xfffff, v177
	s_delay_alu instid0(VALU_DEP_1) | instskip(NEXT) | instid1(VALU_DEP_3)
	v_add_nc_u32_e32 v177, v176, v181
                                        ; implicit-def: $vgpr176
	v_cmpx_ne_u32_e64 v179, v180
	s_xor_b32 s13, exec_lo, s13
; %bb.7200:                             ;   in Loop: Header=BB4_6538 Depth=3
	s_delay_alu instid0(VALU_DEP_2) | instskip(SKIP_2) | instid1(VALU_DEP_2)
	v_cmp_lt_u32_e32 vcc_lo, 0xffffff, v177
	v_sub_nc_u32_e32 v176, v179, v180
	v_cndmask_b32_e64 v179, 0, 1, vcc_lo
	v_add_co_ci_u32_e32 v176, vcc_lo, 0, v176, vcc_lo
	s_delay_alu instid0(VALU_DEP_2)
	v_lshrrev_b32_e32 v177, v179, v177
; %bb.7201:                             ;   in Loop: Header=BB4_6538 Depth=3
	s_and_not1_saveexec_b32 s13, s13
; %bb.7202:                             ;   in Loop: Header=BB4_6538 Depth=3
	s_delay_alu instid0(VALU_DEP_1)
	v_bfe_u32 v176, v177, 23, 1
; %bb.7203:                             ;   in Loop: Header=BB4_6538 Depth=3
	s_or_b32 exec_lo, exec_lo, s13
	v_lshrrev_b32_e32 v177, 20, v177
	s_delay_alu instid0(VALU_DEP_2) | instskip(SKIP_2) | instid1(VALU_DEP_2)
	v_cmp_gt_i32_e32 vcc_lo, 16, v176
	v_lshrrev_b32_e32 v178, 24, v178
	v_min_i32_e32 v179, 15, v176
	v_dual_cndmask_b32 v177, 7, v177 :: v_dual_and_b32 v178, 0x80, v178
	s_delay_alu instid0(VALU_DEP_1) | instskip(SKIP_1) | instid1(VALU_DEP_2)
	v_or_b32_e32 v176, v176, v177
	v_and_b32_e32 v180, 7, v177
	v_cmp_ne_u32_e32 vcc_lo, 0, v176
	v_lshlrev_b32_e32 v179, 3, v179
	s_delay_alu instid0(VALU_DEP_1) | instskip(NEXT) | instid1(VALU_DEP_1)
	v_and_b32_e32 v179, 0xf8, v179
	v_or3_b32 v177, v179, v178, v180
	s_delay_alu instid0(VALU_DEP_1)
	v_cndmask_b32_e32 v176, 0, v177, vcc_lo
.LBB4_7204:                             ;   in Loop: Header=BB4_6538 Depth=3
	s_or_b32 exec_lo, exec_lo, s31
.LBB4_7205:                             ;   in Loop: Header=BB4_6538 Depth=3
	s_delay_alu instid0(SALU_CYCLE_1)
	s_or_b32 exec_lo, exec_lo, s17
	v_lshrrev_b32_e32 v178, 24, v13
	v_lshrrev_b32_e32 v177, 24, v9
	s_and_not1_b32 vcc_lo, exec_lo, s16
	s_cbranch_vccnz .LBB4_7215
; %bb.7206:                             ;   in Loop: Header=BB4_6538 Depth=3
	s_mov_b32 s13, 0
	s_mov_b32 s31, exec_lo
                                        ; implicit-def: $sgpr17
	v_cmpx_lt_i16_e64 0x7f, v178
	s_xor_b32 s31, exec_lo, s31
	s_cbranch_execnz .LBB4_7832
; %bb.7207:                             ;   in Loop: Header=BB4_6538 Depth=3
	s_or_saveexec_b32 s31, s31
	v_mov_b32_e32 v179, s17
	s_xor_b32 exec_lo, exec_lo, s31
	s_cbranch_execnz .LBB4_7835
.LBB4_7208:                             ;   in Loop: Header=BB4_6538 Depth=3
	s_or_b32 exec_lo, exec_lo, s31
	s_and_saveexec_b32 s17, s13
	s_cbranch_execz .LBB4_7210
.LBB4_7209:                             ;   in Loop: Header=BB4_6538 Depth=3
	v_bfe_u32 v179, v13, 24, 3
	v_bfe_u32 v182, v13, 27, 4
	s_delay_alu instid0(VALU_DEP_2) | instskip(NEXT) | instid1(VALU_DEP_2)
	v_clz_i32_u32_e32 v180, v179
	v_cmp_eq_u32_e32 vcc_lo, 0, v182
	s_delay_alu instid0(VALU_DEP_2) | instskip(NEXT) | instid1(VALU_DEP_1)
	v_min_u32_e32 v180, 32, v180
	v_subrev_nc_u32_e32 v181, 28, v180
	v_sub_nc_u32_e32 v180, 29, v180
	s_delay_alu instid0(VALU_DEP_1) | instskip(NEXT) | instid1(VALU_DEP_1)
	v_dual_cndmask_b32 v180, v182, v180 :: v_dual_lshlrev_b32 v181, v181, v178
	v_and_b32_e32 v181, 7, v181
	s_delay_alu instid0(VALU_DEP_2) | instskip(NEXT) | instid1(VALU_DEP_2)
	v_lshl_add_u32 v180, v180, 23, 0x3b800000
	v_cndmask_b32_e32 v179, v179, v181, vcc_lo
	v_and_b32_e32 v181, 0x80000000, v13
	s_delay_alu instid0(VALU_DEP_2) | instskip(NEXT) | instid1(VALU_DEP_1)
	v_lshlrev_b32_e32 v179, 20, v179
	v_or3_b32 v179, v181, v180, v179
.LBB4_7210:                             ;   in Loop: Header=BB4_6538 Depth=3
	s_or_b32 exec_lo, exec_lo, s17
	s_mov_b32 s13, 0
	s_mov_b32 s31, exec_lo
                                        ; implicit-def: $sgpr17
	v_cmpx_lt_i16_e64 0x7f, v177
	s_xor_b32 s31, exec_lo, s31
	s_cbranch_execnz .LBB4_7836
; %bb.7211:                             ;   in Loop: Header=BB4_6538 Depth=3
	s_or_saveexec_b32 s31, s31
	v_mov_b32_e32 v180, s17
	s_xor_b32 exec_lo, exec_lo, s31
	s_cbranch_execnz .LBB4_7839
.LBB4_7212:                             ;   in Loop: Header=BB4_6538 Depth=3
	s_or_b32 exec_lo, exec_lo, s31
	s_and_saveexec_b32 s17, s13
	s_cbranch_execz .LBB4_7214
.LBB4_7213:                             ;   in Loop: Header=BB4_6538 Depth=3
	v_bfe_u32 v180, v9, 24, 3
	v_bfe_u32 v183, v9, 27, 4
	s_delay_alu instid0(VALU_DEP_2) | instskip(NEXT) | instid1(VALU_DEP_2)
	v_clz_i32_u32_e32 v181, v180
	v_cmp_eq_u32_e32 vcc_lo, 0, v183
	s_delay_alu instid0(VALU_DEP_2) | instskip(NEXT) | instid1(VALU_DEP_1)
	v_min_u32_e32 v181, 32, v181
	v_subrev_nc_u32_e32 v182, 28, v181
	v_sub_nc_u32_e32 v181, 29, v181
	s_delay_alu instid0(VALU_DEP_2) | instskip(NEXT) | instid1(VALU_DEP_1)
	v_lshlrev_b32_e32 v182, v182, v177
	v_dual_cndmask_b32 v181, v183, v181 :: v_dual_and_b32 v182, 7, v182
	s_delay_alu instid0(VALU_DEP_1) | instskip(NEXT) | instid1(VALU_DEP_2)
	v_lshl_add_u32 v181, v181, 23, 0x3b800000
	v_cndmask_b32_e32 v180, v180, v182, vcc_lo
	v_and_b32_e32 v182, 0x80000000, v9
	s_delay_alu instid0(VALU_DEP_2) | instskip(NEXT) | instid1(VALU_DEP_1)
	v_lshlrev_b32_e32 v180, 20, v180
	v_or3_b32 v180, v182, v181, v180
.LBB4_7214:                             ;   in Loop: Header=BB4_6538 Depth=3
	s_or_b32 exec_lo, exec_lo, s17
	s_delay_alu instid0(VALU_DEP_1) | instskip(SKIP_1) | instid1(VALU_DEP_1)
	v_dual_max_f32 v180, v180, v180 :: v_dual_max_f32 v179, v179, v179
	s_mov_b32 s13, 0
	v_max_f32_e32 v179, v179, v180
	s_branch .LBB4_7216
.LBB4_7215:                             ;   in Loop: Header=BB4_6538 Depth=3
	s_mov_b32 s13, -1
                                        ; implicit-def: $vgpr179
.LBB4_7216:                             ;   in Loop: Header=BB4_6538 Depth=3
	s_delay_alu instid0(SALU_CYCLE_1)
	s_and_b32 vcc_lo, exec_lo, s13
	s_cbranch_vccz .LBB4_7226
; %bb.7217:                             ;   in Loop: Header=BB4_6538 Depth=3
	s_mov_b32 s13, 0
	s_mov_b32 s31, exec_lo
                                        ; implicit-def: $sgpr17
	v_cmpx_lt_i16_e64 0x7f, v178
	s_xor_b32 s31, exec_lo, s31
	s_cbranch_execnz .LBB4_7840
; %bb.7218:                             ;   in Loop: Header=BB4_6538 Depth=3
	s_or_saveexec_b32 s31, s31
	v_mov_b32_e32 v179, s17
	s_xor_b32 exec_lo, exec_lo, s31
	s_cbranch_execnz .LBB4_7843
.LBB4_7219:                             ;   in Loop: Header=BB4_6538 Depth=3
	s_or_b32 exec_lo, exec_lo, s31
	s_and_saveexec_b32 s17, s13
	s_cbranch_execz .LBB4_7221
.LBB4_7220:                             ;   in Loop: Header=BB4_6538 Depth=3
	v_bfe_u32 v179, v13, 24, 3
	s_delay_alu instid0(VALU_DEP_1) | instskip(NEXT) | instid1(VALU_DEP_1)
	v_clz_i32_u32_e32 v180, v179
	v_min_u32_e32 v180, 32, v180
	s_delay_alu instid0(VALU_DEP_1) | instskip(SKIP_1) | instid1(VALU_DEP_2)
	v_subrev_nc_u32_e32 v181, 28, v180
	v_sub_nc_u32_e32 v180, 29, v180
	v_lshlrev_b32_e32 v178, v181, v178
	v_bfe_u32 v181, v13, 27, 4
	v_and_b32_e32 v13, 0x80000000, v13
	s_delay_alu instid0(VALU_DEP_3) | instskip(NEXT) | instid1(VALU_DEP_3)
	v_and_b32_e32 v178, 7, v178
	v_cmp_eq_u32_e32 vcc_lo, 0, v181
	v_cndmask_b32_e32 v180, v181, v180, vcc_lo
	s_delay_alu instid0(VALU_DEP_3) | instskip(NEXT) | instid1(VALU_DEP_2)
	v_cndmask_b32_e32 v178, v179, v178, vcc_lo
	v_lshl_add_u32 v179, v180, 23, 0x3b800000
	s_delay_alu instid0(VALU_DEP_2) | instskip(NEXT) | instid1(VALU_DEP_1)
	v_lshlrev_b32_e32 v178, 20, v178
	v_or3_b32 v179, v13, v179, v178
.LBB4_7221:                             ;   in Loop: Header=BB4_6538 Depth=3
	s_or_b32 exec_lo, exec_lo, s17
	s_mov_b32 s13, 0
	s_mov_b32 s31, exec_lo
                                        ; implicit-def: $sgpr17
	v_cmpx_lt_i16_e64 0x7f, v177
	s_xor_b32 s31, exec_lo, s31
	s_cbranch_execnz .LBB4_7844
; %bb.7222:                             ;   in Loop: Header=BB4_6538 Depth=3
	s_or_saveexec_b32 s31, s31
	v_mov_b32_e32 v13, s17
	s_xor_b32 exec_lo, exec_lo, s31
	s_cbranch_execnz .LBB4_7847
.LBB4_7223:                             ;   in Loop: Header=BB4_6538 Depth=3
	s_or_b32 exec_lo, exec_lo, s31
	s_and_saveexec_b32 s17, s13
	s_cbranch_execz .LBB4_7225
.LBB4_7224:                             ;   in Loop: Header=BB4_6538 Depth=3
	v_bfe_u32 v13, v9, 24, 3
	s_delay_alu instid0(VALU_DEP_1) | instskip(NEXT) | instid1(VALU_DEP_1)
	v_clz_i32_u32_e32 v178, v13
	v_min_u32_e32 v178, 32, v178
	s_delay_alu instid0(VALU_DEP_1) | instskip(SKIP_1) | instid1(VALU_DEP_2)
	v_subrev_nc_u32_e32 v180, 28, v178
	v_sub_nc_u32_e32 v178, 29, v178
	v_lshlrev_b32_e32 v177, v180, v177
	v_bfe_u32 v180, v9, 27, 4
	v_and_b32_e32 v9, 0x80000000, v9
	s_delay_alu instid0(VALU_DEP_2) | instskip(NEXT) | instid1(VALU_DEP_4)
	v_cmp_eq_u32_e32 vcc_lo, 0, v180
	v_dual_cndmask_b32 v178, v180, v178 :: v_dual_and_b32 v177, 7, v177
	s_delay_alu instid0(VALU_DEP_1) | instskip(NEXT) | instid1(VALU_DEP_2)
	v_cndmask_b32_e32 v13, v13, v177, vcc_lo
	v_lshl_add_u32 v177, v178, 23, 0x3b800000
	s_delay_alu instid0(VALU_DEP_2) | instskip(NEXT) | instid1(VALU_DEP_1)
	v_lshlrev_b32_e32 v13, 20, v13
	v_or3_b32 v13, v9, v177, v13
.LBB4_7225:                             ;   in Loop: Header=BB4_6538 Depth=3
	s_or_b32 exec_lo, exec_lo, s17
	s_delay_alu instid0(VALU_DEP_1) | instskip(SKIP_1) | instid1(VALU_DEP_1)
	v_max_f32_e32 v9, v13, v13
	v_max_f32_e32 v13, v179, v179
	v_min_f32_e32 v179, v13, v9
.LBB4_7226:                             ;   in Loop: Header=BB4_6538 Depth=3
	s_delay_alu instid0(VALU_DEP_1) | instskip(NEXT) | instid1(VALU_DEP_1)
	v_and_b32_e32 v9, 0x7f800000, v179
	v_cmp_ne_u32_e32 vcc_lo, 0x7f800000, v9
	v_mov_b32_e32 v9, 0x8000
	s_and_saveexec_b32 s17, vcc_lo
	s_cbranch_execz .LBB4_7234
; %bb.7227:                             ;   in Loop: Header=BB4_6538 Depth=3
	v_mov_b32_e32 v9, 0
	s_mov_b32 s31, exec_lo
	v_cmpx_ne_u32_e32 0, v179
	s_cbranch_execz .LBB4_7233
; %bb.7228:                             ;   in Loop: Header=BB4_6538 Depth=3
	v_bfe_u32 v9, v179, 23, 8
	v_and_b32_e32 v13, 0x7fffff, v179
	s_delay_alu instid0(VALU_DEP_2) | instskip(SKIP_1) | instid1(VALU_DEP_3)
	v_sub_nc_u32_e32 v177, 0x78, v9
	v_cmp_gt_u32_e32 vcc_lo, 0x79, v9
	v_or_b32_e32 v178, 0x800000, v13
	s_delay_alu instid0(VALU_DEP_3) | instskip(SKIP_2) | instid1(VALU_DEP_3)
	v_cndmask_b32_e32 v177, 0, v177, vcc_lo
	v_cmp_eq_u32_e32 vcc_lo, 0, v9
	v_add_nc_u32_e32 v9, 0xffffff89, v9
	v_cndmask_b32_e64 v177, v177, 0x77, vcc_lo
	v_cndmask_b32_e32 v13, v178, v13, vcc_lo
	s_delay_alu instid0(VALU_DEP_3) | instskip(NEXT) | instid1(VALU_DEP_3)
	v_cndmask_b32_e64 v9, v9, 0xffffff8a, vcc_lo
	v_lshl_add_u32 v178, 0x100000, v177, -1
	s_delay_alu instid0(VALU_DEP_3) | instskip(SKIP_1) | instid1(VALU_DEP_4)
	v_lshrrev_b32_e32 v180, v177, v13
	v_lshlrev_b32_e64 v182, v177, 0x80000
	v_add_nc_u32_e32 v177, v177, v9
	s_delay_alu instid0(VALU_DEP_4) | instskip(NEXT) | instid1(VALU_DEP_4)
	v_and_b32_e32 v13, v178, v13
	v_bfe_u32 v181, v180, 20, 1
	s_delay_alu instid0(VALU_DEP_2) | instskip(NEXT) | instid1(VALU_DEP_2)
	v_cmp_eq_u32_e64 s13, v13, v182
	v_add_nc_u32_e32 v178, -1, v181
	s_delay_alu instid0(VALU_DEP_1) | instskip(SKIP_2) | instid1(VALU_DEP_2)
	v_cndmask_b32_e64 v13, 0, v178, s13
	v_lshrrev_b32_e32 v178, 23, v180
	s_mov_b32 s13, exec_lo
	v_add_nc_u32_e32 v13, v13, v180
	s_delay_alu instid0(VALU_DEP_2) | instskip(NEXT) | instid1(VALU_DEP_2)
	v_xor_b32_e32 v178, 1, v178
	v_and_b32_e32 v9, 0xfffff, v13
	s_delay_alu instid0(VALU_DEP_1) | instskip(NEXT) | instid1(VALU_DEP_3)
	v_add_nc_u32_e32 v13, v9, v180
                                        ; implicit-def: $vgpr9
	v_cmpx_ne_u32_e64 v177, v178
	s_xor_b32 s13, exec_lo, s13
; %bb.7229:                             ;   in Loop: Header=BB4_6538 Depth=3
	s_delay_alu instid0(VALU_DEP_2) | instskip(SKIP_2) | instid1(VALU_DEP_2)
	v_cmp_lt_u32_e32 vcc_lo, 0xffffff, v13
	v_sub_nc_u32_e32 v9, v177, v178
	v_cndmask_b32_e64 v177, 0, 1, vcc_lo
	v_add_co_ci_u32_e32 v9, vcc_lo, 0, v9, vcc_lo
	s_delay_alu instid0(VALU_DEP_2)
	v_lshrrev_b32_e32 v13, v177, v13
; %bb.7230:                             ;   in Loop: Header=BB4_6538 Depth=3
	s_and_not1_saveexec_b32 s13, s13
; %bb.7231:                             ;   in Loop: Header=BB4_6538 Depth=3
	s_delay_alu instid0(VALU_DEP_1)
	v_bfe_u32 v9, v13, 23, 1
; %bb.7232:                             ;   in Loop: Header=BB4_6538 Depth=3
	s_or_b32 exec_lo, exec_lo, s13
	v_lshrrev_b32_e32 v13, 20, v13
	s_delay_alu instid0(VALU_DEP_2) | instskip(SKIP_2) | instid1(VALU_DEP_3)
	v_min_i32_e32 v177, 15, v9
	v_cmp_gt_i32_e32 vcc_lo, 16, v9
	v_lshrrev_b32_e32 v178, 24, v179
	v_lshlrev_b32_e32 v177, 3, v177
	s_delay_alu instid0(VALU_DEP_2) | instskip(NEXT) | instid1(VALU_DEP_2)
	v_dual_cndmask_b32 v13, 7, v13 :: v_dual_and_b32 v178, 0x80, v178
	v_and_b32_e32 v177, 0xf8, v177
	s_delay_alu instid0(VALU_DEP_2) | instskip(SKIP_1) | instid1(VALU_DEP_2)
	v_and_b32_e32 v179, 7, v13
	v_or_b32_e32 v9, v9, v13
	v_or3_b32 v177, v178, v177, v179
	s_delay_alu instid0(VALU_DEP_2) | instskip(NEXT) | instid1(VALU_DEP_2)
	v_cmp_ne_u32_e32 vcc_lo, 0, v9
	v_lshlrev_b32_e32 v13, 8, v177
	s_delay_alu instid0(VALU_DEP_1)
	v_cndmask_b32_e32 v9, 0, v13, vcc_lo
.LBB4_7233:                             ;   in Loop: Header=BB4_6538 Depth=3
	s_or_b32 exec_lo, exec_lo, s31
.LBB4_7234:                             ;   in Loop: Header=BB4_6538 Depth=3
	s_delay_alu instid0(SALU_CYCLE_1) | instskip(NEXT) | instid1(SALU_CYCLE_1)
	s_or_b32 exec_lo, exec_lo, s17
	s_and_not1_b32 vcc_lo, exec_lo, s16
	s_cbranch_vccnz .LBB4_7244
; %bb.7235:                             ;   in Loop: Header=BB4_6538 Depth=3
	v_and_b32_e32 v177, 0xff, v14
	s_mov_b32 s13, 0
	s_mov_b32 s31, exec_lo
                                        ; implicit-def: $sgpr17
	s_delay_alu instid0(VALU_DEP_1)
	v_cmpx_lt_i16_e64 0x7f, v177
	s_xor_b32 s31, exec_lo, s31
	s_cbranch_execnz .LBB4_7848
; %bb.7236:                             ;   in Loop: Header=BB4_6538 Depth=3
	s_or_saveexec_b32 s31, s31
	v_mov_b32_e32 v13, s17
	s_xor_b32 exec_lo, exec_lo, s31
	s_cbranch_execnz .LBB4_7851
.LBB4_7237:                             ;   in Loop: Header=BB4_6538 Depth=3
	s_or_b32 exec_lo, exec_lo, s31
	s_and_saveexec_b32 s17, s13
	s_cbranch_execz .LBB4_7239
.LBB4_7238:                             ;   in Loop: Header=BB4_6538 Depth=3
	v_and_b32_e32 v13, 7, v14
	v_bfe_u32 v179, v14, 3, 4
	v_lshlrev_b32_e32 v180, 24, v14
	s_delay_alu instid0(VALU_DEP_3) | instskip(NEXT) | instid1(VALU_DEP_3)
	v_clz_i32_u32_e32 v177, v13
	v_cmp_eq_u32_e32 vcc_lo, 0, v179
	s_delay_alu instid0(VALU_DEP_2) | instskip(NEXT) | instid1(VALU_DEP_1)
	v_min_u32_e32 v177, 32, v177
	v_subrev_nc_u32_e32 v178, 28, v177
	v_sub_nc_u32_e32 v177, 29, v177
	s_delay_alu instid0(VALU_DEP_1) | instskip(NEXT) | instid1(VALU_DEP_1)
	v_dual_cndmask_b32 v177, v179, v177 :: v_dual_lshlrev_b32 v178, v178, v14
	v_and_b32_e32 v178, 7, v178
	s_delay_alu instid0(VALU_DEP_2) | instskip(NEXT) | instid1(VALU_DEP_2)
	v_lshl_add_u32 v177, v177, 23, 0x3b800000
	v_dual_cndmask_b32 v13, v13, v178 :: v_dual_and_b32 v178, 0x80000000, v180
	s_delay_alu instid0(VALU_DEP_1) | instskip(NEXT) | instid1(VALU_DEP_1)
	v_lshlrev_b32_e32 v13, 20, v13
	v_or3_b32 v13, v178, v177, v13
.LBB4_7239:                             ;   in Loop: Header=BB4_6538 Depth=3
	s_or_b32 exec_lo, exec_lo, s17
	v_and_b32_e32 v178, 0xff, v10
	s_mov_b32 s13, 0
	s_mov_b32 s31, exec_lo
                                        ; implicit-def: $sgpr17
	s_delay_alu instid0(VALU_DEP_1)
	v_cmpx_lt_i16_e64 0x7f, v178
	s_xor_b32 s31, exec_lo, s31
	s_cbranch_execnz .LBB4_7852
; %bb.7240:                             ;   in Loop: Header=BB4_6538 Depth=3
	s_or_saveexec_b32 s31, s31
	v_mov_b32_e32 v177, s17
	s_xor_b32 exec_lo, exec_lo, s31
	s_cbranch_execnz .LBB4_7855
.LBB4_7241:                             ;   in Loop: Header=BB4_6538 Depth=3
	s_or_b32 exec_lo, exec_lo, s31
	s_and_saveexec_b32 s17, s13
	s_cbranch_execz .LBB4_7243
.LBB4_7242:                             ;   in Loop: Header=BB4_6538 Depth=3
	v_and_b32_e32 v177, 7, v10
	v_bfe_u32 v180, v10, 3, 4
	v_lshlrev_b32_e32 v181, 24, v10
	s_delay_alu instid0(VALU_DEP_3) | instskip(NEXT) | instid1(VALU_DEP_3)
	v_clz_i32_u32_e32 v178, v177
	v_cmp_eq_u32_e32 vcc_lo, 0, v180
	s_delay_alu instid0(VALU_DEP_2) | instskip(NEXT) | instid1(VALU_DEP_1)
	v_min_u32_e32 v178, 32, v178
	v_subrev_nc_u32_e32 v179, 28, v178
	v_sub_nc_u32_e32 v178, 29, v178
	s_delay_alu instid0(VALU_DEP_2) | instskip(NEXT) | instid1(VALU_DEP_1)
	v_lshlrev_b32_e32 v179, v179, v10
	v_dual_cndmask_b32 v178, v180, v178 :: v_dual_and_b32 v179, 7, v179
	s_delay_alu instid0(VALU_DEP_1) | instskip(NEXT) | instid1(VALU_DEP_2)
	v_lshl_add_u32 v178, v178, 23, 0x3b800000
	v_cndmask_b32_e32 v177, v177, v179, vcc_lo
	v_and_b32_e32 v179, 0x80000000, v181
	s_delay_alu instid0(VALU_DEP_2) | instskip(NEXT) | instid1(VALU_DEP_1)
	v_lshlrev_b32_e32 v177, 20, v177
	v_or3_b32 v177, v179, v178, v177
.LBB4_7243:                             ;   in Loop: Header=BB4_6538 Depth=3
	s_or_b32 exec_lo, exec_lo, s17
	s_delay_alu instid0(VALU_DEP_1) | instskip(SKIP_2) | instid1(VALU_DEP_1)
	v_max_f32_e32 v177, v177, v177
	v_max_f32_e32 v13, v13, v13
	s_mov_b32 s13, 0
	v_max_f32_e32 v177, v13, v177
	s_branch .LBB4_7245
.LBB4_7244:                             ;   in Loop: Header=BB4_6538 Depth=3
	s_mov_b32 s13, -1
                                        ; implicit-def: $vgpr177
.LBB4_7245:                             ;   in Loop: Header=BB4_6538 Depth=3
	s_delay_alu instid0(SALU_CYCLE_1)
	s_and_b32 vcc_lo, exec_lo, s13
	s_cbranch_vccz .LBB4_7255
; %bb.7246:                             ;   in Loop: Header=BB4_6538 Depth=3
	v_and_b32_e32 v177, 0xff, v14
	s_mov_b32 s13, 0
	s_mov_b32 s31, exec_lo
                                        ; implicit-def: $sgpr17
	s_delay_alu instid0(VALU_DEP_1)
	v_cmpx_lt_i16_e64 0x7f, v177
	s_xor_b32 s31, exec_lo, s31
	s_cbranch_execnz .LBB4_7856
; %bb.7247:                             ;   in Loop: Header=BB4_6538 Depth=3
	s_or_saveexec_b32 s31, s31
	v_mov_b32_e32 v13, s17
	s_xor_b32 exec_lo, exec_lo, s31
	s_cbranch_execnz .LBB4_7859
.LBB4_7248:                             ;   in Loop: Header=BB4_6538 Depth=3
	s_or_b32 exec_lo, exec_lo, s31
	s_and_saveexec_b32 s17, s13
	s_cbranch_execz .LBB4_7250
.LBB4_7249:                             ;   in Loop: Header=BB4_6538 Depth=3
	v_and_b32_e32 v13, 7, v14
	v_bfe_u32 v179, v14, 3, 4
	v_lshlrev_b32_e32 v180, 24, v14
	s_delay_alu instid0(VALU_DEP_3) | instskip(NEXT) | instid1(VALU_DEP_3)
	v_clz_i32_u32_e32 v177, v13
	v_cmp_eq_u32_e32 vcc_lo, 0, v179
	s_delay_alu instid0(VALU_DEP_2) | instskip(NEXT) | instid1(VALU_DEP_1)
	v_min_u32_e32 v177, 32, v177
	v_subrev_nc_u32_e32 v178, 28, v177
	v_sub_nc_u32_e32 v177, 29, v177
	s_delay_alu instid0(VALU_DEP_1) | instskip(NEXT) | instid1(VALU_DEP_1)
	v_dual_cndmask_b32 v177, v179, v177 :: v_dual_lshlrev_b32 v178, v178, v14
	v_and_b32_e32 v178, 7, v178
	s_delay_alu instid0(VALU_DEP_2) | instskip(NEXT) | instid1(VALU_DEP_2)
	v_lshl_add_u32 v177, v177, 23, 0x3b800000
	v_dual_cndmask_b32 v13, v13, v178 :: v_dual_and_b32 v178, 0x80000000, v180
	s_delay_alu instid0(VALU_DEP_1) | instskip(NEXT) | instid1(VALU_DEP_1)
	v_lshlrev_b32_e32 v13, 20, v13
	v_or3_b32 v13, v178, v177, v13
.LBB4_7250:                             ;   in Loop: Header=BB4_6538 Depth=3
	s_or_b32 exec_lo, exec_lo, s17
	v_and_b32_e32 v178, 0xff, v10
	s_mov_b32 s13, 0
	s_mov_b32 s31, exec_lo
                                        ; implicit-def: $sgpr17
	s_delay_alu instid0(VALU_DEP_1)
	v_cmpx_lt_i16_e64 0x7f, v178
	s_xor_b32 s31, exec_lo, s31
	s_cbranch_execnz .LBB4_7860
; %bb.7251:                             ;   in Loop: Header=BB4_6538 Depth=3
	s_or_saveexec_b32 s31, s31
	v_mov_b32_e32 v177, s17
	s_xor_b32 exec_lo, exec_lo, s31
	s_cbranch_execnz .LBB4_7863
.LBB4_7252:                             ;   in Loop: Header=BB4_6538 Depth=3
	s_or_b32 exec_lo, exec_lo, s31
	s_and_saveexec_b32 s17, s13
	s_cbranch_execz .LBB4_7254
.LBB4_7253:                             ;   in Loop: Header=BB4_6538 Depth=3
	v_and_b32_e32 v177, 7, v10
	v_bfe_u32 v180, v10, 3, 4
	v_lshlrev_b32_e32 v181, 24, v10
	s_delay_alu instid0(VALU_DEP_3) | instskip(NEXT) | instid1(VALU_DEP_3)
	v_clz_i32_u32_e32 v178, v177
	v_cmp_eq_u32_e32 vcc_lo, 0, v180
	s_delay_alu instid0(VALU_DEP_2) | instskip(NEXT) | instid1(VALU_DEP_1)
	v_min_u32_e32 v178, 32, v178
	v_subrev_nc_u32_e32 v179, 28, v178
	v_sub_nc_u32_e32 v178, 29, v178
	s_delay_alu instid0(VALU_DEP_2) | instskip(NEXT) | instid1(VALU_DEP_1)
	v_lshlrev_b32_e32 v179, v179, v10
	v_dual_cndmask_b32 v178, v180, v178 :: v_dual_and_b32 v179, 7, v179
	s_delay_alu instid0(VALU_DEP_1) | instskip(NEXT) | instid1(VALU_DEP_2)
	v_lshl_add_u32 v178, v178, 23, 0x3b800000
	v_cndmask_b32_e32 v177, v177, v179, vcc_lo
	v_and_b32_e32 v179, 0x80000000, v181
	s_delay_alu instid0(VALU_DEP_2) | instskip(NEXT) | instid1(VALU_DEP_1)
	v_lshlrev_b32_e32 v177, 20, v177
	v_or3_b32 v177, v179, v178, v177
.LBB4_7254:                             ;   in Loop: Header=BB4_6538 Depth=3
	s_or_b32 exec_lo, exec_lo, s17
	s_delay_alu instid0(VALU_DEP_1) | instskip(SKIP_1) | instid1(VALU_DEP_1)
	v_max_f32_e32 v177, v177, v177
	v_max_f32_e32 v13, v13, v13
	v_min_f32_e32 v177, v13, v177
.LBB4_7255:                             ;   in Loop: Header=BB4_6538 Depth=3
	s_delay_alu instid0(VALU_DEP_1) | instskip(NEXT) | instid1(VALU_DEP_1)
	v_and_b32_e32 v13, 0x7f800000, v177
	v_cmp_ne_u32_e32 vcc_lo, 0x7f800000, v13
	v_mov_b32_e32 v13, 0x80
	s_and_saveexec_b32 s17, vcc_lo
	s_cbranch_execz .LBB4_7263
; %bb.7256:                             ;   in Loop: Header=BB4_6538 Depth=3
	v_mov_b32_e32 v13, 0
	s_mov_b32 s31, exec_lo
	v_cmpx_ne_u32_e32 0, v177
	s_cbranch_execz .LBB4_7262
; %bb.7257:                             ;   in Loop: Header=BB4_6538 Depth=3
	v_bfe_u32 v13, v177, 23, 8
	s_delay_alu instid0(VALU_DEP_1) | instskip(SKIP_1) | instid1(VALU_DEP_2)
	v_sub_nc_u32_e32 v179, 0x78, v13
	v_cmp_gt_u32_e32 vcc_lo, 0x79, v13
	v_dual_cndmask_b32 v179, 0, v179 :: v_dual_and_b32 v178, 0x7fffff, v177
	s_delay_alu instid0(VALU_DEP_1) | instskip(SKIP_2) | instid1(VALU_DEP_4)
	v_or_b32_e32 v180, 0x800000, v178
	v_cmp_eq_u32_e32 vcc_lo, 0, v13
	v_add_nc_u32_e32 v13, 0xffffff89, v13
	v_cndmask_b32_e64 v179, v179, 0x77, vcc_lo
	s_delay_alu instid0(VALU_DEP_4) | instskip(NEXT) | instid1(VALU_DEP_3)
	v_cndmask_b32_e32 v178, v180, v178, vcc_lo
	v_cndmask_b32_e64 v13, v13, 0xffffff8a, vcc_lo
	s_delay_alu instid0(VALU_DEP_3) | instskip(NEXT) | instid1(VALU_DEP_3)
	v_lshl_add_u32 v180, 0x100000, v179, -1
	v_lshrrev_b32_e32 v181, v179, v178
	v_lshlrev_b32_e64 v183, v179, 0x80000
	s_delay_alu instid0(VALU_DEP_4) | instskip(NEXT) | instid1(VALU_DEP_4)
	v_add_nc_u32_e32 v179, v179, v13
	v_and_b32_e32 v178, v180, v178
	s_delay_alu instid0(VALU_DEP_4) | instskip(NEXT) | instid1(VALU_DEP_2)
	v_bfe_u32 v182, v181, 20, 1
	v_cmp_eq_u32_e64 s13, v178, v183
	s_delay_alu instid0(VALU_DEP_2) | instskip(NEXT) | instid1(VALU_DEP_1)
	v_add_nc_u32_e32 v180, -1, v182
	v_cndmask_b32_e64 v178, 0, v180, s13
	v_lshrrev_b32_e32 v180, 23, v181
	s_mov_b32 s13, exec_lo
	s_delay_alu instid0(VALU_DEP_2) | instskip(NEXT) | instid1(VALU_DEP_2)
	v_add_nc_u32_e32 v178, v178, v181
	v_xor_b32_e32 v180, 1, v180
	s_delay_alu instid0(VALU_DEP_2) | instskip(NEXT) | instid1(VALU_DEP_1)
	v_and_b32_e32 v13, 0xfffff, v178
	v_add_nc_u32_e32 v178, v13, v181
                                        ; implicit-def: $vgpr13
	s_delay_alu instid0(VALU_DEP_3)
	v_cmpx_ne_u32_e64 v179, v180
	s_xor_b32 s13, exec_lo, s13
; %bb.7258:                             ;   in Loop: Header=BB4_6538 Depth=3
	s_delay_alu instid0(VALU_DEP_2) | instskip(SKIP_2) | instid1(VALU_DEP_2)
	v_cmp_lt_u32_e32 vcc_lo, 0xffffff, v178
	v_sub_nc_u32_e32 v13, v179, v180
	v_cndmask_b32_e64 v179, 0, 1, vcc_lo
	v_add_co_ci_u32_e32 v13, vcc_lo, 0, v13, vcc_lo
	s_delay_alu instid0(VALU_DEP_2)
	v_lshrrev_b32_e32 v178, v179, v178
; %bb.7259:                             ;   in Loop: Header=BB4_6538 Depth=3
	s_and_not1_saveexec_b32 s13, s13
; %bb.7260:                             ;   in Loop: Header=BB4_6538 Depth=3
	s_delay_alu instid0(VALU_DEP_1)
	v_bfe_u32 v13, v178, 23, 1
; %bb.7261:                             ;   in Loop: Header=BB4_6538 Depth=3
	s_or_b32 exec_lo, exec_lo, s13
	v_lshrrev_b32_e32 v178, 20, v178
	s_delay_alu instid0(VALU_DEP_2) | instskip(SKIP_2) | instid1(VALU_DEP_2)
	v_cmp_gt_i32_e32 vcc_lo, 16, v13
	v_lshrrev_b32_e32 v177, 24, v177
	v_min_i32_e32 v179, 15, v13
	v_dual_cndmask_b32 v178, 7, v178 :: v_dual_and_b32 v177, 0x80, v177
	s_delay_alu instid0(VALU_DEP_2) | instskip(NEXT) | instid1(VALU_DEP_2)
	v_lshlrev_b32_e32 v179, 3, v179
	v_or_b32_e32 v13, v13, v178
	s_delay_alu instid0(VALU_DEP_1) | instskip(SKIP_1) | instid1(VALU_DEP_1)
	v_cmp_ne_u32_e32 vcc_lo, 0, v13
	v_and_b32_e32 v180, 7, v178
	v_or3_b32 v177, v179, v177, v180
	s_delay_alu instid0(VALU_DEP_1)
	v_cndmask_b32_e32 v13, 0, v177, vcc_lo
.LBB4_7262:                             ;   in Loop: Header=BB4_6538 Depth=3
	s_or_b32 exec_lo, exec_lo, s31
.LBB4_7263:                             ;   in Loop: Header=BB4_6538 Depth=3
	s_delay_alu instid0(SALU_CYCLE_1)
	s_or_b32 exec_lo, exec_lo, s17
	v_lshrrev_b16 v178, 8, v14
	v_lshrrev_b16 v177, 8, v10
	s_and_not1_b32 vcc_lo, exec_lo, s16
	s_cbranch_vccnz .LBB4_7273
; %bb.7264:                             ;   in Loop: Header=BB4_6538 Depth=3
	s_mov_b32 s13, 0
	s_mov_b32 s31, exec_lo
                                        ; implicit-def: $sgpr17
	v_cmpx_lt_i16_e64 0x7f, v178
	s_xor_b32 s31, exec_lo, s31
	s_cbranch_execnz .LBB4_7864
; %bb.7265:                             ;   in Loop: Header=BB4_6538 Depth=3
	s_or_saveexec_b32 s31, s31
	v_mov_b32_e32 v179, s17
	s_xor_b32 exec_lo, exec_lo, s31
	s_cbranch_execnz .LBB4_7867
.LBB4_7266:                             ;   in Loop: Header=BB4_6538 Depth=3
	s_or_b32 exec_lo, exec_lo, s31
	s_and_saveexec_b32 s17, s13
	s_cbranch_execz .LBB4_7268
.LBB4_7267:                             ;   in Loop: Header=BB4_6538 Depth=3
	v_and_b32_e32 v179, 0xffff, v178
	v_lshlrev_b32_e32 v183, 16, v14
	s_delay_alu instid0(VALU_DEP_2) | instskip(NEXT) | instid1(VALU_DEP_1)
	v_and_b32_e32 v180, 7, v179
	v_clz_i32_u32_e32 v181, v180
	s_delay_alu instid0(VALU_DEP_1) | instskip(NEXT) | instid1(VALU_DEP_1)
	v_min_u32_e32 v181, 32, v181
	v_subrev_nc_u32_e32 v182, 28, v181
	v_sub_nc_u32_e32 v181, 29, v181
	s_delay_alu instid0(VALU_DEP_2) | instskip(SKIP_1) | instid1(VALU_DEP_2)
	v_lshlrev_b32_e32 v182, v182, v179
	v_bfe_u32 v179, v179, 3, 4
	v_and_b32_e32 v182, 7, v182
	s_delay_alu instid0(VALU_DEP_2) | instskip(NEXT) | instid1(VALU_DEP_2)
	v_cmp_eq_u32_e32 vcc_lo, 0, v179
	v_dual_cndmask_b32 v179, v179, v181 :: v_dual_cndmask_b32 v180, v180, v182
	v_and_b32_e32 v181, 0x80000000, v183
	s_delay_alu instid0(VALU_DEP_2) | instskip(NEXT) | instid1(VALU_DEP_3)
	v_lshl_add_u32 v179, v179, 23, 0x3b800000
	v_lshlrev_b32_e32 v180, 20, v180
	s_delay_alu instid0(VALU_DEP_1)
	v_or3_b32 v179, v181, v179, v180
.LBB4_7268:                             ;   in Loop: Header=BB4_6538 Depth=3
	s_or_b32 exec_lo, exec_lo, s17
	s_mov_b32 s13, 0
	s_mov_b32 s31, exec_lo
                                        ; implicit-def: $sgpr17
	v_cmpx_lt_i16_e64 0x7f, v177
	s_xor_b32 s31, exec_lo, s31
	s_cbranch_execnz .LBB4_7868
; %bb.7269:                             ;   in Loop: Header=BB4_6538 Depth=3
	s_or_saveexec_b32 s31, s31
	v_mov_b32_e32 v180, s17
	s_xor_b32 exec_lo, exec_lo, s31
	s_cbranch_execnz .LBB4_7871
.LBB4_7270:                             ;   in Loop: Header=BB4_6538 Depth=3
	s_or_b32 exec_lo, exec_lo, s31
	s_and_saveexec_b32 s17, s13
	s_cbranch_execz .LBB4_7272
.LBB4_7271:                             ;   in Loop: Header=BB4_6538 Depth=3
	v_and_b32_e32 v180, 0xffff, v177
	v_lshlrev_b32_e32 v40, 16, v10
	s_delay_alu instid0(VALU_DEP_2) | instskip(NEXT) | instid1(VALU_DEP_1)
	v_and_b32_e32 v181, 7, v180
	v_clz_i32_u32_e32 v182, v181
	s_delay_alu instid0(VALU_DEP_1) | instskip(NEXT) | instid1(VALU_DEP_1)
	v_min_u32_e32 v182, 32, v182
	v_subrev_nc_u32_e32 v183, 28, v182
	v_sub_nc_u32_e32 v182, 29, v182
	s_delay_alu instid0(VALU_DEP_2) | instskip(SKIP_1) | instid1(VALU_DEP_2)
	v_lshlrev_b32_e32 v183, v183, v180
	v_bfe_u32 v180, v180, 3, 4
	v_and_b32_e32 v183, 7, v183
	s_delay_alu instid0(VALU_DEP_2) | instskip(NEXT) | instid1(VALU_DEP_2)
	v_cmp_eq_u32_e32 vcc_lo, 0, v180
	v_dual_cndmask_b32 v180, v180, v182 :: v_dual_cndmask_b32 v181, v181, v183
	v_and_b32_e32 v182, 0x80000000, v40
	s_delay_alu instid0(VALU_DEP_2) | instskip(NEXT) | instid1(VALU_DEP_3)
	v_lshl_add_u32 v180, v180, 23, 0x3b800000
	v_lshlrev_b32_e32 v181, 20, v181
	s_delay_alu instid0(VALU_DEP_1)
	v_or3_b32 v180, v182, v180, v181
.LBB4_7272:                             ;   in Loop: Header=BB4_6538 Depth=3
	s_or_b32 exec_lo, exec_lo, s17
	s_delay_alu instid0(VALU_DEP_1) | instskip(SKIP_1) | instid1(VALU_DEP_1)
	v_dual_max_f32 v180, v180, v180 :: v_dual_max_f32 v179, v179, v179
	s_mov_b32 s13, 0
	v_max_f32_e32 v179, v179, v180
	s_branch .LBB4_7274
.LBB4_7273:                             ;   in Loop: Header=BB4_6538 Depth=3
	s_mov_b32 s13, -1
                                        ; implicit-def: $vgpr179
.LBB4_7274:                             ;   in Loop: Header=BB4_6538 Depth=3
	s_delay_alu instid0(SALU_CYCLE_1)
	s_and_b32 vcc_lo, exec_lo, s13
	s_cbranch_vccz .LBB4_7284
; %bb.7275:                             ;   in Loop: Header=BB4_6538 Depth=3
	s_mov_b32 s13, 0
	s_mov_b32 s31, exec_lo
                                        ; implicit-def: $sgpr17
	v_cmpx_lt_i16_e64 0x7f, v178
	s_xor_b32 s31, exec_lo, s31
	s_cbranch_execnz .LBB4_7872
; %bb.7276:                             ;   in Loop: Header=BB4_6538 Depth=3
	s_or_saveexec_b32 s31, s31
	v_mov_b32_e32 v179, s17
	s_xor_b32 exec_lo, exec_lo, s31
	s_cbranch_execnz .LBB4_7875
.LBB4_7277:                             ;   in Loop: Header=BB4_6538 Depth=3
	s_or_b32 exec_lo, exec_lo, s31
	s_and_saveexec_b32 s17, s13
	s_cbranch_execz .LBB4_7279
.LBB4_7278:                             ;   in Loop: Header=BB4_6538 Depth=3
	v_and_b32_e32 v178, 0xffff, v178
	v_lshlrev_b32_e32 v182, 16, v14
	s_delay_alu instid0(VALU_DEP_2) | instskip(NEXT) | instid1(VALU_DEP_1)
	v_and_b32_e32 v179, 7, v178
	v_clz_i32_u32_e32 v180, v179
	s_delay_alu instid0(VALU_DEP_1) | instskip(NEXT) | instid1(VALU_DEP_1)
	v_min_u32_e32 v180, 32, v180
	v_subrev_nc_u32_e32 v181, 28, v180
	v_sub_nc_u32_e32 v180, 29, v180
	s_delay_alu instid0(VALU_DEP_2) | instskip(SKIP_1) | instid1(VALU_DEP_2)
	v_lshlrev_b32_e32 v181, v181, v178
	v_bfe_u32 v178, v178, 3, 4
	v_and_b32_e32 v181, 7, v181
	s_delay_alu instid0(VALU_DEP_2) | instskip(NEXT) | instid1(VALU_DEP_2)
	v_cmp_eq_u32_e32 vcc_lo, 0, v178
	v_dual_cndmask_b32 v178, v178, v180 :: v_dual_cndmask_b32 v179, v179, v181
	v_and_b32_e32 v180, 0x80000000, v182
	s_delay_alu instid0(VALU_DEP_2) | instskip(NEXT) | instid1(VALU_DEP_3)
	v_lshl_add_u32 v178, v178, 23, 0x3b800000
	v_lshlrev_b32_e32 v179, 20, v179
	s_delay_alu instid0(VALU_DEP_1)
	v_or3_b32 v179, v180, v178, v179
.LBB4_7279:                             ;   in Loop: Header=BB4_6538 Depth=3
	s_or_b32 exec_lo, exec_lo, s17
	s_mov_b32 s13, 0
	s_mov_b32 s31, exec_lo
                                        ; implicit-def: $sgpr17
	v_cmpx_lt_i16_e64 0x7f, v177
	s_xor_b32 s31, exec_lo, s31
	s_cbranch_execnz .LBB4_7876
; %bb.7280:                             ;   in Loop: Header=BB4_6538 Depth=3
	s_or_saveexec_b32 s31, s31
	v_mov_b32_e32 v178, s17
	s_xor_b32 exec_lo, exec_lo, s31
	s_cbranch_execnz .LBB4_7879
.LBB4_7281:                             ;   in Loop: Header=BB4_6538 Depth=3
	s_or_b32 exec_lo, exec_lo, s31
	s_and_saveexec_b32 s17, s13
	s_cbranch_execz .LBB4_7283
.LBB4_7282:                             ;   in Loop: Header=BB4_6538 Depth=3
	v_and_b32_e32 v177, 0xffff, v177
	v_lshlrev_b32_e32 v182, 16, v10
	s_delay_alu instid0(VALU_DEP_2) | instskip(NEXT) | instid1(VALU_DEP_1)
	v_and_b32_e32 v178, 7, v177
	v_clz_i32_u32_e32 v180, v178
	s_delay_alu instid0(VALU_DEP_1) | instskip(NEXT) | instid1(VALU_DEP_1)
	v_min_u32_e32 v180, 32, v180
	v_subrev_nc_u32_e32 v181, 28, v180
	v_sub_nc_u32_e32 v180, 29, v180
	s_delay_alu instid0(VALU_DEP_2) | instskip(SKIP_1) | instid1(VALU_DEP_2)
	v_lshlrev_b32_e32 v181, v181, v177
	v_bfe_u32 v177, v177, 3, 4
	v_and_b32_e32 v181, 7, v181
	s_delay_alu instid0(VALU_DEP_2) | instskip(NEXT) | instid1(VALU_DEP_2)
	v_cmp_eq_u32_e32 vcc_lo, 0, v177
	v_dual_cndmask_b32 v177, v177, v180 :: v_dual_cndmask_b32 v178, v178, v181
	v_and_b32_e32 v180, 0x80000000, v182
	s_delay_alu instid0(VALU_DEP_2) | instskip(NEXT) | instid1(VALU_DEP_3)
	v_lshl_add_u32 v177, v177, 23, 0x3b800000
	v_lshlrev_b32_e32 v178, 20, v178
	s_delay_alu instid0(VALU_DEP_1)
	v_or3_b32 v178, v180, v177, v178
.LBB4_7283:                             ;   in Loop: Header=BB4_6538 Depth=3
	s_or_b32 exec_lo, exec_lo, s17
	s_delay_alu instid0(VALU_DEP_1) | instskip(NEXT) | instid1(VALU_DEP_1)
	v_dual_max_f32 v177, v178, v178 :: v_dual_max_f32 v178, v179, v179
	v_min_f32_e32 v179, v178, v177
.LBB4_7284:                             ;   in Loop: Header=BB4_6538 Depth=3
	s_delay_alu instid0(VALU_DEP_1) | instskip(NEXT) | instid1(VALU_DEP_1)
	v_and_b32_e32 v177, 0x7f800000, v179
	v_cmp_ne_u32_e32 vcc_lo, 0x7f800000, v177
	v_mov_b32_e32 v177, 0x80
	s_and_saveexec_b32 s17, vcc_lo
	s_cbranch_execz .LBB4_7292
; %bb.7285:                             ;   in Loop: Header=BB4_6538 Depth=3
	v_mov_b32_e32 v177, 0
	s_mov_b32 s31, exec_lo
	v_cmpx_ne_u32_e32 0, v179
	s_cbranch_execz .LBB4_7291
; %bb.7286:                             ;   in Loop: Header=BB4_6538 Depth=3
	v_bfe_u32 v177, v179, 23, 8
	v_and_b32_e32 v178, 0x7fffff, v179
	s_delay_alu instid0(VALU_DEP_2) | instskip(SKIP_1) | instid1(VALU_DEP_3)
	v_sub_nc_u32_e32 v180, 0x78, v177
	v_cmp_gt_u32_e32 vcc_lo, 0x79, v177
	v_or_b32_e32 v181, 0x800000, v178
	s_delay_alu instid0(VALU_DEP_3) | instskip(SKIP_2) | instid1(VALU_DEP_3)
	v_cndmask_b32_e32 v180, 0, v180, vcc_lo
	v_cmp_eq_u32_e32 vcc_lo, 0, v177
	v_add_nc_u32_e32 v177, 0xffffff89, v177
	v_cndmask_b32_e64 v180, v180, 0x77, vcc_lo
	v_cndmask_b32_e32 v178, v181, v178, vcc_lo
	s_delay_alu instid0(VALU_DEP_3) | instskip(NEXT) | instid1(VALU_DEP_3)
	v_cndmask_b32_e64 v177, v177, 0xffffff8a, vcc_lo
	v_lshl_add_u32 v181, 0x100000, v180, -1
	s_delay_alu instid0(VALU_DEP_3) | instskip(SKIP_1) | instid1(VALU_DEP_4)
	v_lshrrev_b32_e32 v182, v180, v178
	v_lshlrev_b32_e64 v40, v180, 0x80000
	v_add_nc_u32_e32 v180, v180, v177
	s_delay_alu instid0(VALU_DEP_4) | instskip(NEXT) | instid1(VALU_DEP_4)
	v_and_b32_e32 v178, v181, v178
	v_bfe_u32 v183, v182, 20, 1
	s_delay_alu instid0(VALU_DEP_2) | instskip(NEXT) | instid1(VALU_DEP_2)
	v_cmp_eq_u32_e64 s13, v178, v40
	v_add_nc_u32_e32 v181, -1, v183
	s_delay_alu instid0(VALU_DEP_1) | instskip(SKIP_2) | instid1(VALU_DEP_2)
	v_cndmask_b32_e64 v178, 0, v181, s13
	v_lshrrev_b32_e32 v181, 23, v182
	s_mov_b32 s13, exec_lo
	v_add_nc_u32_e32 v178, v178, v182
	s_delay_alu instid0(VALU_DEP_2) | instskip(NEXT) | instid1(VALU_DEP_2)
	v_xor_b32_e32 v181, 1, v181
	v_and_b32_e32 v177, 0xfffff, v178
	s_delay_alu instid0(VALU_DEP_1) | instskip(NEXT) | instid1(VALU_DEP_3)
	v_add_nc_u32_e32 v178, v177, v182
                                        ; implicit-def: $vgpr177
	v_cmpx_ne_u32_e64 v180, v181
	s_xor_b32 s13, exec_lo, s13
; %bb.7287:                             ;   in Loop: Header=BB4_6538 Depth=3
	s_delay_alu instid0(VALU_DEP_2) | instskip(SKIP_2) | instid1(VALU_DEP_2)
	v_cmp_lt_u32_e32 vcc_lo, 0xffffff, v178
	v_sub_nc_u32_e32 v177, v180, v181
	v_cndmask_b32_e64 v180, 0, 1, vcc_lo
	v_add_co_ci_u32_e32 v177, vcc_lo, 0, v177, vcc_lo
	s_delay_alu instid0(VALU_DEP_2)
	v_lshrrev_b32_e32 v178, v180, v178
; %bb.7288:                             ;   in Loop: Header=BB4_6538 Depth=3
	s_and_not1_saveexec_b32 s13, s13
; %bb.7289:                             ;   in Loop: Header=BB4_6538 Depth=3
	s_delay_alu instid0(VALU_DEP_1)
	v_bfe_u32 v177, v178, 23, 1
; %bb.7290:                             ;   in Loop: Header=BB4_6538 Depth=3
	s_or_b32 exec_lo, exec_lo, s13
	v_lshrrev_b32_e32 v178, 20, v178
	s_delay_alu instid0(VALU_DEP_2) | instskip(SKIP_2) | instid1(VALU_DEP_2)
	v_cmp_gt_i32_e32 vcc_lo, 16, v177
	v_lshrrev_b32_e32 v179, 24, v179
	v_min_i32_e32 v180, 15, v177
	v_dual_cndmask_b32 v178, 7, v178 :: v_dual_and_b32 v179, 0x80, v179
	s_delay_alu instid0(VALU_DEP_1) | instskip(SKIP_1) | instid1(VALU_DEP_2)
	v_or_b32_e32 v177, v177, v178
	v_and_b32_e32 v181, 7, v178
	v_cmp_ne_u32_e32 vcc_lo, 0, v177
	v_lshlrev_b32_e32 v180, 3, v180
	s_delay_alu instid0(VALU_DEP_1) | instskip(NEXT) | instid1(VALU_DEP_1)
	v_or3_b32 v178, v180, v179, v181
	v_cndmask_b32_e32 v177, 0, v178, vcc_lo
.LBB4_7291:                             ;   in Loop: Header=BB4_6538 Depth=3
	s_or_b32 exec_lo, exec_lo, s31
.LBB4_7292:                             ;   in Loop: Header=BB4_6538 Depth=3
	s_delay_alu instid0(SALU_CYCLE_1)
	s_or_b32 exec_lo, exec_lo, s17
	v_lshrrev_b32_e32 v179, 16, v14
	v_lshrrev_b32_e32 v178, 16, v10
	s_and_not1_b32 vcc_lo, exec_lo, s16
	s_cbranch_vccnz .LBB4_7302
; %bb.7293:                             ;   in Loop: Header=BB4_6538 Depth=3
	s_delay_alu instid0(VALU_DEP_2) | instskip(SKIP_2) | instid1(VALU_DEP_1)
	v_and_b32_e32 v181, 0xff, v179
	s_mov_b32 s13, 0
	s_mov_b32 s31, exec_lo
                                        ; implicit-def: $sgpr17
	v_cmpx_lt_i16_e64 0x7f, v181
	s_xor_b32 s31, exec_lo, s31
	s_cbranch_execnz .LBB4_7880
; %bb.7294:                             ;   in Loop: Header=BB4_6538 Depth=3
	s_or_saveexec_b32 s31, s31
	v_mov_b32_e32 v180, s17
	s_xor_b32 exec_lo, exec_lo, s31
	s_cbranch_execnz .LBB4_7883
.LBB4_7295:                             ;   in Loop: Header=BB4_6538 Depth=3
	s_or_b32 exec_lo, exec_lo, s31
	s_and_saveexec_b32 s17, s13
	s_cbranch_execz .LBB4_7297
.LBB4_7296:                             ;   in Loop: Header=BB4_6538 Depth=3
	v_bfe_u32 v180, v14, 16, 3
	v_bfe_u32 v183, v14, 19, 4
	v_lshlrev_b32_e32 v40, 24, v179
	s_delay_alu instid0(VALU_DEP_3) | instskip(NEXT) | instid1(VALU_DEP_3)
	v_clz_i32_u32_e32 v181, v180
	v_cmp_eq_u32_e32 vcc_lo, 0, v183
	s_delay_alu instid0(VALU_DEP_2) | instskip(NEXT) | instid1(VALU_DEP_1)
	v_min_u32_e32 v181, 32, v181
	v_subrev_nc_u32_e32 v182, 28, v181
	v_sub_nc_u32_e32 v181, 29, v181
	s_delay_alu instid0(VALU_DEP_1) | instskip(NEXT) | instid1(VALU_DEP_1)
	v_dual_cndmask_b32 v181, v183, v181 :: v_dual_lshlrev_b32 v182, v182, v179
	v_and_b32_e32 v182, 7, v182
	s_delay_alu instid0(VALU_DEP_2) | instskip(NEXT) | instid1(VALU_DEP_2)
	v_lshl_add_u32 v181, v181, 23, 0x3b800000
	v_cndmask_b32_e32 v180, v180, v182, vcc_lo
	v_and_b32_e32 v182, 0x80000000, v40
	s_delay_alu instid0(VALU_DEP_2) | instskip(NEXT) | instid1(VALU_DEP_1)
	v_lshlrev_b32_e32 v180, 20, v180
	v_or3_b32 v180, v182, v181, v180
.LBB4_7297:                             ;   in Loop: Header=BB4_6538 Depth=3
	s_or_b32 exec_lo, exec_lo, s17
	v_and_b32_e32 v182, 0xff, v178
	s_mov_b32 s13, 0
	s_mov_b32 s31, exec_lo
                                        ; implicit-def: $sgpr17
	s_delay_alu instid0(VALU_DEP_1)
	v_cmpx_lt_i16_e64 0x7f, v182
	s_xor_b32 s31, exec_lo, s31
	s_cbranch_execnz .LBB4_7884
; %bb.7298:                             ;   in Loop: Header=BB4_6538 Depth=3
	s_or_saveexec_b32 s31, s31
	v_mov_b32_e32 v181, s17
	s_xor_b32 exec_lo, exec_lo, s31
	s_cbranch_execnz .LBB4_7887
.LBB4_7299:                             ;   in Loop: Header=BB4_6538 Depth=3
	s_or_b32 exec_lo, exec_lo, s31
	s_and_saveexec_b32 s17, s13
	s_cbranch_execz .LBB4_7301
.LBB4_7300:                             ;   in Loop: Header=BB4_6538 Depth=3
	v_bfe_u32 v181, v10, 16, 3
	v_bfe_u32 v40, v10, 19, 4
	v_lshlrev_b32_e32 v41, 24, v178
	s_delay_alu instid0(VALU_DEP_3) | instskip(NEXT) | instid1(VALU_DEP_3)
	v_clz_i32_u32_e32 v182, v181
	v_cmp_eq_u32_e32 vcc_lo, 0, v40
	s_delay_alu instid0(VALU_DEP_2) | instskip(NEXT) | instid1(VALU_DEP_1)
	v_min_u32_e32 v182, 32, v182
	v_subrev_nc_u32_e32 v183, 28, v182
	v_sub_nc_u32_e32 v182, 29, v182
	s_delay_alu instid0(VALU_DEP_2) | instskip(NEXT) | instid1(VALU_DEP_1)
	v_lshlrev_b32_e32 v183, v183, v178
	v_dual_cndmask_b32 v182, v40, v182 :: v_dual_and_b32 v183, 7, v183
	s_delay_alu instid0(VALU_DEP_1) | instskip(NEXT) | instid1(VALU_DEP_2)
	v_lshl_add_u32 v182, v182, 23, 0x3b800000
	v_cndmask_b32_e32 v181, v181, v183, vcc_lo
	v_and_b32_e32 v183, 0x80000000, v41
	s_delay_alu instid0(VALU_DEP_2) | instskip(NEXT) | instid1(VALU_DEP_1)
	v_lshlrev_b32_e32 v181, 20, v181
	v_or3_b32 v181, v183, v182, v181
.LBB4_7301:                             ;   in Loop: Header=BB4_6538 Depth=3
	s_or_b32 exec_lo, exec_lo, s17
	s_delay_alu instid0(VALU_DEP_1) | instskip(SKIP_1) | instid1(VALU_DEP_1)
	v_dual_max_f32 v181, v181, v181 :: v_dual_max_f32 v180, v180, v180
	s_mov_b32 s13, 0
	v_max_f32_e32 v180, v180, v181
	s_branch .LBB4_7303
.LBB4_7302:                             ;   in Loop: Header=BB4_6538 Depth=3
	s_mov_b32 s13, -1
                                        ; implicit-def: $vgpr180
.LBB4_7303:                             ;   in Loop: Header=BB4_6538 Depth=3
	s_delay_alu instid0(SALU_CYCLE_1)
	s_and_b32 vcc_lo, exec_lo, s13
	s_cbranch_vccz .LBB4_7313
; %bb.7304:                             ;   in Loop: Header=BB4_6538 Depth=3
	v_and_b32_e32 v181, 0xff, v179
	s_mov_b32 s13, 0
	s_mov_b32 s31, exec_lo
                                        ; implicit-def: $sgpr17
	s_delay_alu instid0(VALU_DEP_1)
	v_cmpx_lt_i16_e64 0x7f, v181
	s_xor_b32 s31, exec_lo, s31
	s_cbranch_execnz .LBB4_7888
; %bb.7305:                             ;   in Loop: Header=BB4_6538 Depth=3
	s_or_saveexec_b32 s31, s31
	v_mov_b32_e32 v180, s17
	s_xor_b32 exec_lo, exec_lo, s31
	s_cbranch_execnz .LBB4_7891
.LBB4_7306:                             ;   in Loop: Header=BB4_6538 Depth=3
	s_or_b32 exec_lo, exec_lo, s31
	s_and_saveexec_b32 s17, s13
	s_cbranch_execz .LBB4_7308
.LBB4_7307:                             ;   in Loop: Header=BB4_6538 Depth=3
	v_bfe_u32 v180, v14, 16, 3
	v_bfe_u32 v183, v14, 19, 4
	s_delay_alu instid0(VALU_DEP_2) | instskip(NEXT) | instid1(VALU_DEP_2)
	v_clz_i32_u32_e32 v181, v180
	v_cmp_eq_u32_e32 vcc_lo, 0, v183
	s_delay_alu instid0(VALU_DEP_2) | instskip(NEXT) | instid1(VALU_DEP_1)
	v_min_u32_e32 v181, 32, v181
	v_subrev_nc_u32_e32 v182, 28, v181
	v_sub_nc_u32_e32 v181, 29, v181
	s_delay_alu instid0(VALU_DEP_1) | instskip(NEXT) | instid1(VALU_DEP_1)
	v_dual_cndmask_b32 v181, v183, v181 :: v_dual_lshlrev_b32 v182, v182, v179
	v_and_b32_e32 v182, 7, v182
	v_lshlrev_b32_e32 v179, 24, v179
	s_delay_alu instid0(VALU_DEP_3) | instskip(NEXT) | instid1(VALU_DEP_2)
	v_lshl_add_u32 v181, v181, 23, 0x3b800000
	v_dual_cndmask_b32 v180, v180, v182 :: v_dual_and_b32 v179, 0x80000000, v179
	s_delay_alu instid0(VALU_DEP_1) | instskip(NEXT) | instid1(VALU_DEP_1)
	v_lshlrev_b32_e32 v180, 20, v180
	v_or3_b32 v180, v179, v181, v180
.LBB4_7308:                             ;   in Loop: Header=BB4_6538 Depth=3
	s_or_b32 exec_lo, exec_lo, s17
	v_and_b32_e32 v181, 0xff, v178
	s_mov_b32 s13, 0
	s_mov_b32 s31, exec_lo
                                        ; implicit-def: $sgpr17
	s_delay_alu instid0(VALU_DEP_1)
	v_cmpx_lt_i16_e64 0x7f, v181
	s_xor_b32 s31, exec_lo, s31
	s_cbranch_execnz .LBB4_7892
; %bb.7309:                             ;   in Loop: Header=BB4_6538 Depth=3
	s_or_saveexec_b32 s31, s31
	v_mov_b32_e32 v179, s17
	s_xor_b32 exec_lo, exec_lo, s31
	s_cbranch_execnz .LBB4_7895
.LBB4_7310:                             ;   in Loop: Header=BB4_6538 Depth=3
	s_or_b32 exec_lo, exec_lo, s31
	s_and_saveexec_b32 s17, s13
	s_cbranch_execz .LBB4_7312
.LBB4_7311:                             ;   in Loop: Header=BB4_6538 Depth=3
	v_bfe_u32 v179, v10, 16, 3
	v_bfe_u32 v183, v10, 19, 4
	s_delay_alu instid0(VALU_DEP_2) | instskip(NEXT) | instid1(VALU_DEP_2)
	v_clz_i32_u32_e32 v181, v179
	v_cmp_eq_u32_e32 vcc_lo, 0, v183
	s_delay_alu instid0(VALU_DEP_2) | instskip(NEXT) | instid1(VALU_DEP_1)
	v_min_u32_e32 v181, 32, v181
	v_subrev_nc_u32_e32 v182, 28, v181
	v_sub_nc_u32_e32 v181, 29, v181
	s_delay_alu instid0(VALU_DEP_1) | instskip(SKIP_1) | instid1(VALU_DEP_2)
	v_dual_cndmask_b32 v181, v183, v181 :: v_dual_lshlrev_b32 v182, v182, v178
	v_lshlrev_b32_e32 v178, 24, v178
	v_and_b32_e32 v182, 7, v182
	s_delay_alu instid0(VALU_DEP_3) | instskip(NEXT) | instid1(VALU_DEP_3)
	v_lshl_add_u32 v181, v181, 23, 0x3b800000
	v_and_b32_e32 v178, 0x80000000, v178
	s_delay_alu instid0(VALU_DEP_3) | instskip(NEXT) | instid1(VALU_DEP_1)
	v_cndmask_b32_e32 v179, v179, v182, vcc_lo
	v_lshlrev_b32_e32 v179, 20, v179
	s_delay_alu instid0(VALU_DEP_1)
	v_or3_b32 v179, v178, v181, v179
.LBB4_7312:                             ;   in Loop: Header=BB4_6538 Depth=3
	s_or_b32 exec_lo, exec_lo, s17
	s_delay_alu instid0(VALU_DEP_1) | instskip(NEXT) | instid1(VALU_DEP_1)
	v_dual_max_f32 v178, v179, v179 :: v_dual_max_f32 v179, v180, v180
	v_min_f32_e32 v180, v179, v178
.LBB4_7313:                             ;   in Loop: Header=BB4_6538 Depth=3
	s_delay_alu instid0(VALU_DEP_1) | instskip(NEXT) | instid1(VALU_DEP_1)
	v_and_b32_e32 v178, 0x7f800000, v180
	v_cmp_ne_u32_e32 vcc_lo, 0x7f800000, v178
	v_mov_b32_e32 v178, 0x80
	s_and_saveexec_b32 s17, vcc_lo
	s_cbranch_execz .LBB4_7321
; %bb.7314:                             ;   in Loop: Header=BB4_6538 Depth=3
	v_mov_b32_e32 v178, 0
	s_mov_b32 s31, exec_lo
	v_cmpx_ne_u32_e32 0, v180
	s_cbranch_execz .LBB4_7320
; %bb.7315:                             ;   in Loop: Header=BB4_6538 Depth=3
	v_bfe_u32 v178, v180, 23, 8
	v_and_b32_e32 v179, 0x7fffff, v180
	s_delay_alu instid0(VALU_DEP_2) | instskip(SKIP_1) | instid1(VALU_DEP_3)
	v_sub_nc_u32_e32 v181, 0x78, v178
	v_cmp_gt_u32_e32 vcc_lo, 0x79, v178
	v_or_b32_e32 v182, 0x800000, v179
	s_delay_alu instid0(VALU_DEP_3) | instskip(SKIP_2) | instid1(VALU_DEP_3)
	v_cndmask_b32_e32 v181, 0, v181, vcc_lo
	v_cmp_eq_u32_e32 vcc_lo, 0, v178
	v_add_nc_u32_e32 v178, 0xffffff89, v178
	v_cndmask_b32_e64 v181, v181, 0x77, vcc_lo
	v_cndmask_b32_e32 v179, v182, v179, vcc_lo
	s_delay_alu instid0(VALU_DEP_3) | instskip(NEXT) | instid1(VALU_DEP_3)
	v_cndmask_b32_e64 v178, v178, 0xffffff8a, vcc_lo
	v_lshl_add_u32 v182, 0x100000, v181, -1
	s_delay_alu instid0(VALU_DEP_3) | instskip(SKIP_1) | instid1(VALU_DEP_4)
	v_lshrrev_b32_e32 v183, v181, v179
	v_lshlrev_b32_e64 v41, v181, 0x80000
	v_add_nc_u32_e32 v181, v181, v178
	s_delay_alu instid0(VALU_DEP_4) | instskip(NEXT) | instid1(VALU_DEP_4)
	v_and_b32_e32 v179, v182, v179
	v_bfe_u32 v40, v183, 20, 1
	s_delay_alu instid0(VALU_DEP_2) | instskip(NEXT) | instid1(VALU_DEP_2)
	v_cmp_eq_u32_e64 s13, v179, v41
	v_add_nc_u32_e32 v182, -1, v40
	s_delay_alu instid0(VALU_DEP_1) | instskip(SKIP_2) | instid1(VALU_DEP_2)
	v_cndmask_b32_e64 v179, 0, v182, s13
	v_lshrrev_b32_e32 v182, 23, v183
	s_mov_b32 s13, exec_lo
	v_add_nc_u32_e32 v179, v179, v183
	s_delay_alu instid0(VALU_DEP_2) | instskip(NEXT) | instid1(VALU_DEP_2)
	v_xor_b32_e32 v182, 1, v182
	v_and_b32_e32 v178, 0xfffff, v179
	s_delay_alu instid0(VALU_DEP_1) | instskip(NEXT) | instid1(VALU_DEP_3)
	v_add_nc_u32_e32 v179, v178, v183
                                        ; implicit-def: $vgpr178
	v_cmpx_ne_u32_e64 v181, v182
	s_xor_b32 s13, exec_lo, s13
; %bb.7316:                             ;   in Loop: Header=BB4_6538 Depth=3
	s_delay_alu instid0(VALU_DEP_2) | instskip(SKIP_2) | instid1(VALU_DEP_2)
	v_cmp_lt_u32_e32 vcc_lo, 0xffffff, v179
	v_sub_nc_u32_e32 v178, v181, v182
	v_cndmask_b32_e64 v181, 0, 1, vcc_lo
	v_add_co_ci_u32_e32 v178, vcc_lo, 0, v178, vcc_lo
	s_delay_alu instid0(VALU_DEP_2)
	v_lshrrev_b32_e32 v179, v181, v179
; %bb.7317:                             ;   in Loop: Header=BB4_6538 Depth=3
	s_and_not1_saveexec_b32 s13, s13
; %bb.7318:                             ;   in Loop: Header=BB4_6538 Depth=3
	s_delay_alu instid0(VALU_DEP_1)
	v_bfe_u32 v178, v179, 23, 1
; %bb.7319:                             ;   in Loop: Header=BB4_6538 Depth=3
	s_or_b32 exec_lo, exec_lo, s13
	v_lshrrev_b32_e32 v179, 20, v179
	s_delay_alu instid0(VALU_DEP_2) | instskip(SKIP_2) | instid1(VALU_DEP_2)
	v_cmp_gt_i32_e32 vcc_lo, 16, v178
	v_lshrrev_b32_e32 v180, 24, v180
	v_min_i32_e32 v181, 15, v178
	v_dual_cndmask_b32 v179, 7, v179 :: v_dual_and_b32 v180, 0x80, v180
	s_delay_alu instid0(VALU_DEP_1) | instskip(SKIP_1) | instid1(VALU_DEP_2)
	v_or_b32_e32 v178, v178, v179
	v_and_b32_e32 v182, 7, v179
	v_cmp_ne_u32_e32 vcc_lo, 0, v178
	v_lshlrev_b32_e32 v181, 3, v181
	s_delay_alu instid0(VALU_DEP_1) | instskip(NEXT) | instid1(VALU_DEP_1)
	v_or3_b32 v179, v181, v180, v182
	v_cndmask_b32_e32 v178, 0, v179, vcc_lo
.LBB4_7320:                             ;   in Loop: Header=BB4_6538 Depth=3
	s_or_b32 exec_lo, exec_lo, s31
.LBB4_7321:                             ;   in Loop: Header=BB4_6538 Depth=3
	s_delay_alu instid0(SALU_CYCLE_1)
	s_or_b32 exec_lo, exec_lo, s17
	v_lshrrev_b32_e32 v180, 24, v14
	v_lshrrev_b32_e32 v179, 24, v10
	s_and_not1_b32 vcc_lo, exec_lo, s16
	s_cbranch_vccnz .LBB4_7331
; %bb.7322:                             ;   in Loop: Header=BB4_6538 Depth=3
	s_mov_b32 s13, 0
	s_mov_b32 s31, exec_lo
                                        ; implicit-def: $sgpr17
	v_cmpx_lt_i16_e64 0x7f, v180
	s_xor_b32 s31, exec_lo, s31
	s_cbranch_execnz .LBB4_7896
; %bb.7323:                             ;   in Loop: Header=BB4_6538 Depth=3
	s_or_saveexec_b32 s31, s31
	v_mov_b32_e32 v181, s17
	s_xor_b32 exec_lo, exec_lo, s31
	s_cbranch_execnz .LBB4_7899
.LBB4_7324:                             ;   in Loop: Header=BB4_6538 Depth=3
	s_or_b32 exec_lo, exec_lo, s31
	s_and_saveexec_b32 s17, s13
	s_cbranch_execz .LBB4_7326
.LBB4_7325:                             ;   in Loop: Header=BB4_6538 Depth=3
	v_bfe_u32 v181, v14, 24, 3
	v_bfe_u32 v40, v14, 27, 4
	s_delay_alu instid0(VALU_DEP_2) | instskip(NEXT) | instid1(VALU_DEP_2)
	v_clz_i32_u32_e32 v182, v181
	v_cmp_eq_u32_e32 vcc_lo, 0, v40
	s_delay_alu instid0(VALU_DEP_2) | instskip(NEXT) | instid1(VALU_DEP_1)
	v_min_u32_e32 v182, 32, v182
	v_subrev_nc_u32_e32 v183, 28, v182
	v_sub_nc_u32_e32 v182, 29, v182
	s_delay_alu instid0(VALU_DEP_1) | instskip(NEXT) | instid1(VALU_DEP_1)
	v_dual_cndmask_b32 v182, v40, v182 :: v_dual_lshlrev_b32 v183, v183, v180
	v_and_b32_e32 v183, 7, v183
	s_delay_alu instid0(VALU_DEP_2) | instskip(NEXT) | instid1(VALU_DEP_2)
	v_lshl_add_u32 v182, v182, 23, 0x3b800000
	v_cndmask_b32_e32 v181, v181, v183, vcc_lo
	v_and_b32_e32 v183, 0x80000000, v14
	s_delay_alu instid0(VALU_DEP_2) | instskip(NEXT) | instid1(VALU_DEP_1)
	v_lshlrev_b32_e32 v181, 20, v181
	v_or3_b32 v181, v183, v182, v181
.LBB4_7326:                             ;   in Loop: Header=BB4_6538 Depth=3
	s_or_b32 exec_lo, exec_lo, s17
	s_mov_b32 s13, 0
	s_mov_b32 s31, exec_lo
                                        ; implicit-def: $sgpr17
	v_cmpx_lt_i16_e64 0x7f, v179
	s_xor_b32 s31, exec_lo, s31
	s_cbranch_execnz .LBB4_7900
; %bb.7327:                             ;   in Loop: Header=BB4_6538 Depth=3
	s_or_saveexec_b32 s31, s31
	v_mov_b32_e32 v182, s17
	s_xor_b32 exec_lo, exec_lo, s31
	s_cbranch_execnz .LBB4_7903
.LBB4_7328:                             ;   in Loop: Header=BB4_6538 Depth=3
	s_or_b32 exec_lo, exec_lo, s31
	s_and_saveexec_b32 s17, s13
	s_cbranch_execz .LBB4_7330
.LBB4_7329:                             ;   in Loop: Header=BB4_6538 Depth=3
	v_bfe_u32 v182, v10, 24, 3
	v_bfe_u32 v41, v10, 27, 4
	s_delay_alu instid0(VALU_DEP_2) | instskip(NEXT) | instid1(VALU_DEP_2)
	v_clz_i32_u32_e32 v183, v182
	v_cmp_eq_u32_e32 vcc_lo, 0, v41
	s_delay_alu instid0(VALU_DEP_2) | instskip(NEXT) | instid1(VALU_DEP_1)
	v_min_u32_e32 v183, 32, v183
	v_subrev_nc_u32_e32 v40, 28, v183
	v_sub_nc_u32_e32 v183, 29, v183
	s_delay_alu instid0(VALU_DEP_2) | instskip(NEXT) | instid1(VALU_DEP_1)
	v_lshlrev_b32_e32 v40, v40, v179
	v_dual_cndmask_b32 v183, v41, v183 :: v_dual_and_b32 v40, 7, v40
	s_delay_alu instid0(VALU_DEP_1) | instskip(NEXT) | instid1(VALU_DEP_2)
	v_lshl_add_u32 v183, v183, 23, 0x3b800000
	v_cndmask_b32_e32 v182, v182, v40, vcc_lo
	v_and_b32_e32 v40, 0x80000000, v10
	s_delay_alu instid0(VALU_DEP_2) | instskip(NEXT) | instid1(VALU_DEP_1)
	v_lshlrev_b32_e32 v182, 20, v182
	v_or3_b32 v182, v40, v183, v182
.LBB4_7330:                             ;   in Loop: Header=BB4_6538 Depth=3
	s_or_b32 exec_lo, exec_lo, s17
	s_delay_alu instid0(VALU_DEP_1) | instskip(SKIP_1) | instid1(VALU_DEP_1)
	v_dual_max_f32 v182, v182, v182 :: v_dual_max_f32 v181, v181, v181
	s_mov_b32 s13, 0
	v_max_f32_e32 v181, v181, v182
	s_branch .LBB4_7332
.LBB4_7331:                             ;   in Loop: Header=BB4_6538 Depth=3
	s_mov_b32 s13, -1
                                        ; implicit-def: $vgpr181
.LBB4_7332:                             ;   in Loop: Header=BB4_6538 Depth=3
	s_delay_alu instid0(SALU_CYCLE_1)
	s_and_b32 vcc_lo, exec_lo, s13
	s_cbranch_vccz .LBB4_7342
; %bb.7333:                             ;   in Loop: Header=BB4_6538 Depth=3
	s_mov_b32 s13, 0
	s_mov_b32 s31, exec_lo
                                        ; implicit-def: $sgpr17
	v_cmpx_lt_i16_e64 0x7f, v180
	s_xor_b32 s31, exec_lo, s31
	s_cbranch_execnz .LBB4_7904
; %bb.7334:                             ;   in Loop: Header=BB4_6538 Depth=3
	s_or_saveexec_b32 s31, s31
	v_mov_b32_e32 v181, s17
	s_xor_b32 exec_lo, exec_lo, s31
	s_cbranch_execnz .LBB4_7907
.LBB4_7335:                             ;   in Loop: Header=BB4_6538 Depth=3
	s_or_b32 exec_lo, exec_lo, s31
	s_and_saveexec_b32 s17, s13
	s_cbranch_execz .LBB4_7337
.LBB4_7336:                             ;   in Loop: Header=BB4_6538 Depth=3
	v_bfe_u32 v181, v14, 24, 3
	s_delay_alu instid0(VALU_DEP_1) | instskip(NEXT) | instid1(VALU_DEP_1)
	v_clz_i32_u32_e32 v182, v181
	v_min_u32_e32 v182, 32, v182
	s_delay_alu instid0(VALU_DEP_1) | instskip(SKIP_1) | instid1(VALU_DEP_2)
	v_subrev_nc_u32_e32 v183, 28, v182
	v_sub_nc_u32_e32 v182, 29, v182
	v_lshlrev_b32_e32 v180, v183, v180
	v_bfe_u32 v183, v14, 27, 4
	v_and_b32_e32 v14, 0x80000000, v14
	s_delay_alu instid0(VALU_DEP_3) | instskip(NEXT) | instid1(VALU_DEP_3)
	v_and_b32_e32 v180, 7, v180
	v_cmp_eq_u32_e32 vcc_lo, 0, v183
	v_cndmask_b32_e32 v182, v183, v182, vcc_lo
	s_delay_alu instid0(VALU_DEP_3) | instskip(NEXT) | instid1(VALU_DEP_2)
	v_cndmask_b32_e32 v180, v181, v180, vcc_lo
	v_lshl_add_u32 v181, v182, 23, 0x3b800000
	s_delay_alu instid0(VALU_DEP_2) | instskip(NEXT) | instid1(VALU_DEP_1)
	v_lshlrev_b32_e32 v180, 20, v180
	v_or3_b32 v181, v14, v181, v180
.LBB4_7337:                             ;   in Loop: Header=BB4_6538 Depth=3
	s_or_b32 exec_lo, exec_lo, s17
	s_mov_b32 s13, 0
	s_mov_b32 s31, exec_lo
                                        ; implicit-def: $sgpr17
	v_cmpx_lt_i16_e64 0x7f, v179
	s_xor_b32 s31, exec_lo, s31
	s_cbranch_execnz .LBB4_7908
; %bb.7338:                             ;   in Loop: Header=BB4_6538 Depth=3
	s_or_saveexec_b32 s31, s31
	v_mov_b32_e32 v14, s17
	s_xor_b32 exec_lo, exec_lo, s31
	s_cbranch_execnz .LBB4_7911
.LBB4_7339:                             ;   in Loop: Header=BB4_6538 Depth=3
	s_or_b32 exec_lo, exec_lo, s31
	s_and_saveexec_b32 s17, s13
	s_cbranch_execz .LBB4_7341
.LBB4_7340:                             ;   in Loop: Header=BB4_6538 Depth=3
	v_bfe_u32 v14, v10, 24, 3
	s_delay_alu instid0(VALU_DEP_1) | instskip(NEXT) | instid1(VALU_DEP_1)
	v_clz_i32_u32_e32 v180, v14
	v_min_u32_e32 v180, 32, v180
	s_delay_alu instid0(VALU_DEP_1) | instskip(SKIP_1) | instid1(VALU_DEP_2)
	v_subrev_nc_u32_e32 v182, 28, v180
	v_sub_nc_u32_e32 v180, 29, v180
	v_lshlrev_b32_e32 v179, v182, v179
	v_bfe_u32 v182, v10, 27, 4
	v_and_b32_e32 v10, 0x80000000, v10
	s_delay_alu instid0(VALU_DEP_2) | instskip(NEXT) | instid1(VALU_DEP_4)
	v_cmp_eq_u32_e32 vcc_lo, 0, v182
	v_dual_cndmask_b32 v180, v182, v180 :: v_dual_and_b32 v179, 7, v179
	s_delay_alu instid0(VALU_DEP_1) | instskip(NEXT) | instid1(VALU_DEP_2)
	v_cndmask_b32_e32 v14, v14, v179, vcc_lo
	v_lshl_add_u32 v179, v180, 23, 0x3b800000
	s_delay_alu instid0(VALU_DEP_2) | instskip(NEXT) | instid1(VALU_DEP_1)
	v_lshlrev_b32_e32 v14, 20, v14
	v_or3_b32 v14, v10, v179, v14
.LBB4_7341:                             ;   in Loop: Header=BB4_6538 Depth=3
	s_or_b32 exec_lo, exec_lo, s17
	s_delay_alu instid0(VALU_DEP_1) | instskip(SKIP_1) | instid1(VALU_DEP_1)
	v_max_f32_e32 v10, v14, v14
	v_max_f32_e32 v14, v181, v181
	v_min_f32_e32 v181, v14, v10
.LBB4_7342:                             ;   in Loop: Header=BB4_6538 Depth=3
	s_delay_alu instid0(VALU_DEP_1) | instskip(NEXT) | instid1(VALU_DEP_1)
	v_and_b32_e32 v10, 0x7f800000, v181
	v_cmp_ne_u32_e32 vcc_lo, 0x7f800000, v10
	v_mov_b32_e32 v10, 0x80
	s_and_saveexec_b32 s17, vcc_lo
	s_cbranch_execz .LBB4_7350
; %bb.7343:                             ;   in Loop: Header=BB4_6538 Depth=3
	v_mov_b32_e32 v10, 0
	s_mov_b32 s31, exec_lo
	v_cmpx_ne_u32_e32 0, v181
	s_cbranch_execz .LBB4_7349
; %bb.7344:                             ;   in Loop: Header=BB4_6538 Depth=3
	v_bfe_u32 v10, v181, 23, 8
	s_delay_alu instid0(VALU_DEP_1) | instskip(SKIP_1) | instid1(VALU_DEP_2)
	v_sub_nc_u32_e32 v179, 0x78, v10
	v_cmp_gt_u32_e32 vcc_lo, 0x79, v10
	v_dual_cndmask_b32 v179, 0, v179 :: v_dual_and_b32 v14, 0x7fffff, v181
	s_delay_alu instid0(VALU_DEP_1) | instskip(SKIP_2) | instid1(VALU_DEP_4)
	v_or_b32_e32 v180, 0x800000, v14
	v_cmp_eq_u32_e32 vcc_lo, 0, v10
	v_add_nc_u32_e32 v10, 0xffffff89, v10
	v_cndmask_b32_e64 v179, v179, 0x77, vcc_lo
	s_delay_alu instid0(VALU_DEP_4) | instskip(NEXT) | instid1(VALU_DEP_3)
	v_cndmask_b32_e32 v14, v180, v14, vcc_lo
	v_cndmask_b32_e64 v10, v10, 0xffffff8a, vcc_lo
	s_delay_alu instid0(VALU_DEP_3) | instskip(NEXT) | instid1(VALU_DEP_3)
	v_lshl_add_u32 v180, 0x100000, v179, -1
	v_lshrrev_b32_e32 v182, v179, v14
	v_lshlrev_b32_e64 v40, v179, 0x80000
	s_delay_alu instid0(VALU_DEP_4) | instskip(NEXT) | instid1(VALU_DEP_4)
	v_add_nc_u32_e32 v179, v179, v10
	v_and_b32_e32 v14, v180, v14
	s_delay_alu instid0(VALU_DEP_4) | instskip(NEXT) | instid1(VALU_DEP_2)
	v_bfe_u32 v183, v182, 20, 1
	v_cmp_eq_u32_e64 s13, v14, v40
	s_delay_alu instid0(VALU_DEP_2) | instskip(NEXT) | instid1(VALU_DEP_1)
	v_add_nc_u32_e32 v180, -1, v183
	v_cndmask_b32_e64 v14, 0, v180, s13
	v_lshrrev_b32_e32 v180, 23, v182
	s_mov_b32 s13, exec_lo
	s_delay_alu instid0(VALU_DEP_2) | instskip(NEXT) | instid1(VALU_DEP_2)
	v_add_nc_u32_e32 v14, v14, v182
	v_xor_b32_e32 v180, 1, v180
	s_delay_alu instid0(VALU_DEP_2) | instskip(NEXT) | instid1(VALU_DEP_1)
	v_and_b32_e32 v10, 0xfffff, v14
	v_add_nc_u32_e32 v14, v10, v182
                                        ; implicit-def: $vgpr10
	s_delay_alu instid0(VALU_DEP_3)
	v_cmpx_ne_u32_e64 v179, v180
	s_xor_b32 s13, exec_lo, s13
; %bb.7345:                             ;   in Loop: Header=BB4_6538 Depth=3
	s_delay_alu instid0(VALU_DEP_2) | instskip(SKIP_2) | instid1(VALU_DEP_2)
	v_cmp_lt_u32_e32 vcc_lo, 0xffffff, v14
	v_sub_nc_u32_e32 v10, v179, v180
	v_cndmask_b32_e64 v179, 0, 1, vcc_lo
	v_add_co_ci_u32_e32 v10, vcc_lo, 0, v10, vcc_lo
	s_delay_alu instid0(VALU_DEP_2)
	v_lshrrev_b32_e32 v14, v179, v14
; %bb.7346:                             ;   in Loop: Header=BB4_6538 Depth=3
	s_and_not1_saveexec_b32 s13, s13
; %bb.7347:                             ;   in Loop: Header=BB4_6538 Depth=3
	s_delay_alu instid0(VALU_DEP_1)
	v_bfe_u32 v10, v14, 23, 1
; %bb.7348:                             ;   in Loop: Header=BB4_6538 Depth=3
	s_or_b32 exec_lo, exec_lo, s13
	v_lshrrev_b32_e32 v14, 20, v14
	s_delay_alu instid0(VALU_DEP_2) | instskip(SKIP_2) | instid1(VALU_DEP_2)
	v_cmp_gt_i32_e32 vcc_lo, 16, v10
	v_lshrrev_b32_e32 v179, 24, v181
	v_min_i32_e32 v180, 15, v10
	v_dual_cndmask_b32 v14, 7, v14 :: v_dual_and_b32 v179, 0x80, v179
	s_delay_alu instid0(VALU_DEP_2) | instskip(NEXT) | instid1(VALU_DEP_2)
	v_lshlrev_b32_e32 v180, 3, v180
	v_and_b32_e32 v181, 7, v14
	v_or_b32_e32 v10, v10, v14
	s_delay_alu instid0(VALU_DEP_2) | instskip(NEXT) | instid1(VALU_DEP_2)
	v_or3_b32 v14, v180, v179, v181
	v_cmp_ne_u32_e32 vcc_lo, 0, v10
	s_delay_alu instid0(VALU_DEP_2)
	v_cndmask_b32_e32 v10, 0, v14, vcc_lo
.LBB4_7349:                             ;   in Loop: Header=BB4_6538 Depth=3
	s_or_b32 exec_lo, exec_lo, s31
.LBB4_7350:                             ;   in Loop: Header=BB4_6538 Depth=3
	s_delay_alu instid0(SALU_CYCLE_1) | instskip(NEXT) | instid1(SALU_CYCLE_1)
	s_or_b32 exec_lo, exec_lo, s17
	s_and_not1_b32 vcc_lo, exec_lo, s16
	s_cbranch_vccnz .LBB4_7360
; %bb.7351:                             ;   in Loop: Header=BB4_6538 Depth=3
	v_and_b32_e32 v179, 0xff, v15
	s_mov_b32 s13, 0
	s_mov_b32 s31, exec_lo
                                        ; implicit-def: $sgpr17
	s_delay_alu instid0(VALU_DEP_1)
	v_cmpx_lt_i16_e64 0x7f, v179
	s_xor_b32 s31, exec_lo, s31
	s_cbranch_execnz .LBB4_7912
; %bb.7352:                             ;   in Loop: Header=BB4_6538 Depth=3
	s_or_saveexec_b32 s31, s31
	v_mov_b32_e32 v14, s17
	s_xor_b32 exec_lo, exec_lo, s31
	s_cbranch_execnz .LBB4_7915
.LBB4_7353:                             ;   in Loop: Header=BB4_6538 Depth=3
	s_or_b32 exec_lo, exec_lo, s31
	s_and_saveexec_b32 s17, s13
	s_cbranch_execz .LBB4_7355
.LBB4_7354:                             ;   in Loop: Header=BB4_6538 Depth=3
	v_and_b32_e32 v14, 7, v15
	v_bfe_u32 v181, v15, 3, 4
	v_lshlrev_b32_e32 v182, 24, v15
	s_delay_alu instid0(VALU_DEP_3) | instskip(NEXT) | instid1(VALU_DEP_3)
	v_clz_i32_u32_e32 v179, v14
	v_cmp_eq_u32_e32 vcc_lo, 0, v181
	s_delay_alu instid0(VALU_DEP_2) | instskip(NEXT) | instid1(VALU_DEP_1)
	v_min_u32_e32 v179, 32, v179
	v_subrev_nc_u32_e32 v180, 28, v179
	v_sub_nc_u32_e32 v179, 29, v179
	s_delay_alu instid0(VALU_DEP_2) | instskip(NEXT) | instid1(VALU_DEP_1)
	v_lshlrev_b32_e32 v180, v180, v15
	v_dual_cndmask_b32 v179, v181, v179 :: v_dual_and_b32 v180, 7, v180
	s_delay_alu instid0(VALU_DEP_1) | instskip(NEXT) | instid1(VALU_DEP_2)
	v_lshl_add_u32 v179, v179, 23, 0x3b800000
	v_cndmask_b32_e32 v14, v14, v180, vcc_lo
	v_and_b32_e32 v180, 0x80000000, v182
	s_delay_alu instid0(VALU_DEP_2) | instskip(NEXT) | instid1(VALU_DEP_1)
	v_lshlrev_b32_e32 v14, 20, v14
	v_or3_b32 v14, v180, v179, v14
.LBB4_7355:                             ;   in Loop: Header=BB4_6538 Depth=3
	s_or_b32 exec_lo, exec_lo, s17
	v_and_b32_e32 v180, 0xff, v11
	s_mov_b32 s13, 0
	s_mov_b32 s31, exec_lo
                                        ; implicit-def: $sgpr17
	s_delay_alu instid0(VALU_DEP_1)
	v_cmpx_lt_i16_e64 0x7f, v180
	s_xor_b32 s31, exec_lo, s31
	s_cbranch_execnz .LBB4_7916
; %bb.7356:                             ;   in Loop: Header=BB4_6538 Depth=3
	s_or_saveexec_b32 s31, s31
	v_mov_b32_e32 v179, s17
	s_xor_b32 exec_lo, exec_lo, s31
	s_cbranch_execnz .LBB4_7919
.LBB4_7357:                             ;   in Loop: Header=BB4_6538 Depth=3
	s_or_b32 exec_lo, exec_lo, s31
	s_and_saveexec_b32 s17, s13
	s_cbranch_execz .LBB4_7359
.LBB4_7358:                             ;   in Loop: Header=BB4_6538 Depth=3
	v_bfe_u32 v182, v11, 3, 4
	v_lshlrev_b32_e32 v183, 24, v11
	s_delay_alu instid0(VALU_DEP_2) | instskip(SKIP_1) | instid1(VALU_DEP_1)
	v_cmp_eq_u32_e32 vcc_lo, 0, v182
	v_and_b32_e32 v179, 7, v11
	v_clz_i32_u32_e32 v180, v179
	s_delay_alu instid0(VALU_DEP_1) | instskip(NEXT) | instid1(VALU_DEP_1)
	v_min_u32_e32 v180, 32, v180
	v_subrev_nc_u32_e32 v181, 28, v180
	v_sub_nc_u32_e32 v180, 29, v180
	s_delay_alu instid0(VALU_DEP_1) | instskip(NEXT) | instid1(VALU_DEP_1)
	v_dual_cndmask_b32 v180, v182, v180 :: v_dual_lshlrev_b32 v181, v181, v11
	v_and_b32_e32 v181, 7, v181
	s_delay_alu instid0(VALU_DEP_2) | instskip(NEXT) | instid1(VALU_DEP_2)
	v_lshl_add_u32 v180, v180, 23, 0x3b800000
	v_cndmask_b32_e32 v179, v179, v181, vcc_lo
	v_and_b32_e32 v181, 0x80000000, v183
	s_delay_alu instid0(VALU_DEP_2) | instskip(NEXT) | instid1(VALU_DEP_1)
	v_lshlrev_b32_e32 v179, 20, v179
	v_or3_b32 v179, v181, v180, v179
.LBB4_7359:                             ;   in Loop: Header=BB4_6538 Depth=3
	s_or_b32 exec_lo, exec_lo, s17
	s_delay_alu instid0(VALU_DEP_1) | instskip(SKIP_1) | instid1(VALU_DEP_1)
	v_dual_max_f32 v179, v179, v179 :: v_dual_max_f32 v14, v14, v14
	s_mov_b32 s13, 0
	v_max_f32_e32 v179, v14, v179
	s_branch .LBB4_7361
.LBB4_7360:                             ;   in Loop: Header=BB4_6538 Depth=3
	s_mov_b32 s13, -1
                                        ; implicit-def: $vgpr179
.LBB4_7361:                             ;   in Loop: Header=BB4_6538 Depth=3
	s_delay_alu instid0(SALU_CYCLE_1)
	s_and_b32 vcc_lo, exec_lo, s13
	s_cbranch_vccz .LBB4_7371
; %bb.7362:                             ;   in Loop: Header=BB4_6538 Depth=3
	v_and_b32_e32 v179, 0xff, v15
	s_mov_b32 s13, 0
	s_mov_b32 s31, exec_lo
                                        ; implicit-def: $sgpr17
	s_delay_alu instid0(VALU_DEP_1)
	v_cmpx_lt_i16_e64 0x7f, v179
	s_xor_b32 s31, exec_lo, s31
	s_cbranch_execnz .LBB4_7920
; %bb.7363:                             ;   in Loop: Header=BB4_6538 Depth=3
	s_or_saveexec_b32 s31, s31
	v_mov_b32_e32 v14, s17
	s_xor_b32 exec_lo, exec_lo, s31
	s_cbranch_execnz .LBB4_7923
.LBB4_7364:                             ;   in Loop: Header=BB4_6538 Depth=3
	s_or_b32 exec_lo, exec_lo, s31
	s_and_saveexec_b32 s17, s13
	s_cbranch_execz .LBB4_7366
.LBB4_7365:                             ;   in Loop: Header=BB4_6538 Depth=3
	v_and_b32_e32 v14, 7, v15
	v_bfe_u32 v181, v15, 3, 4
	v_lshlrev_b32_e32 v182, 24, v15
	s_delay_alu instid0(VALU_DEP_3) | instskip(NEXT) | instid1(VALU_DEP_3)
	v_clz_i32_u32_e32 v179, v14
	v_cmp_eq_u32_e32 vcc_lo, 0, v181
	s_delay_alu instid0(VALU_DEP_2) | instskip(NEXT) | instid1(VALU_DEP_1)
	v_min_u32_e32 v179, 32, v179
	v_subrev_nc_u32_e32 v180, 28, v179
	v_sub_nc_u32_e32 v179, 29, v179
	s_delay_alu instid0(VALU_DEP_2) | instskip(NEXT) | instid1(VALU_DEP_1)
	v_lshlrev_b32_e32 v180, v180, v15
	v_dual_cndmask_b32 v179, v181, v179 :: v_dual_and_b32 v180, 7, v180
	s_delay_alu instid0(VALU_DEP_1) | instskip(NEXT) | instid1(VALU_DEP_2)
	v_lshl_add_u32 v179, v179, 23, 0x3b800000
	v_cndmask_b32_e32 v14, v14, v180, vcc_lo
	v_and_b32_e32 v180, 0x80000000, v182
	s_delay_alu instid0(VALU_DEP_2) | instskip(NEXT) | instid1(VALU_DEP_1)
	v_lshlrev_b32_e32 v14, 20, v14
	v_or3_b32 v14, v180, v179, v14
.LBB4_7366:                             ;   in Loop: Header=BB4_6538 Depth=3
	s_or_b32 exec_lo, exec_lo, s17
	v_and_b32_e32 v180, 0xff, v11
	s_mov_b32 s13, 0
	s_mov_b32 s31, exec_lo
                                        ; implicit-def: $sgpr17
	s_delay_alu instid0(VALU_DEP_1)
	v_cmpx_lt_i16_e64 0x7f, v180
	s_xor_b32 s31, exec_lo, s31
	s_cbranch_execnz .LBB4_7924
; %bb.7367:                             ;   in Loop: Header=BB4_6538 Depth=3
	s_or_saveexec_b32 s31, s31
	v_mov_b32_e32 v179, s17
	s_xor_b32 exec_lo, exec_lo, s31
	s_cbranch_execnz .LBB4_7927
.LBB4_7368:                             ;   in Loop: Header=BB4_6538 Depth=3
	s_or_b32 exec_lo, exec_lo, s31
	s_and_saveexec_b32 s17, s13
	s_cbranch_execz .LBB4_7370
.LBB4_7369:                             ;   in Loop: Header=BB4_6538 Depth=3
	v_bfe_u32 v182, v11, 3, 4
	v_lshlrev_b32_e32 v183, 24, v11
	s_delay_alu instid0(VALU_DEP_2) | instskip(SKIP_1) | instid1(VALU_DEP_1)
	v_cmp_eq_u32_e32 vcc_lo, 0, v182
	v_and_b32_e32 v179, 7, v11
	v_clz_i32_u32_e32 v180, v179
	s_delay_alu instid0(VALU_DEP_1) | instskip(NEXT) | instid1(VALU_DEP_1)
	v_min_u32_e32 v180, 32, v180
	v_subrev_nc_u32_e32 v181, 28, v180
	v_sub_nc_u32_e32 v180, 29, v180
	s_delay_alu instid0(VALU_DEP_1) | instskip(NEXT) | instid1(VALU_DEP_1)
	v_dual_cndmask_b32 v180, v182, v180 :: v_dual_lshlrev_b32 v181, v181, v11
	v_and_b32_e32 v181, 7, v181
	s_delay_alu instid0(VALU_DEP_2) | instskip(NEXT) | instid1(VALU_DEP_2)
	v_lshl_add_u32 v180, v180, 23, 0x3b800000
	v_cndmask_b32_e32 v179, v179, v181, vcc_lo
	v_and_b32_e32 v181, 0x80000000, v183
	s_delay_alu instid0(VALU_DEP_2) | instskip(NEXT) | instid1(VALU_DEP_1)
	v_lshlrev_b32_e32 v179, 20, v179
	v_or3_b32 v179, v181, v180, v179
.LBB4_7370:                             ;   in Loop: Header=BB4_6538 Depth=3
	s_or_b32 exec_lo, exec_lo, s17
	s_delay_alu instid0(VALU_DEP_1) | instskip(NEXT) | instid1(VALU_DEP_1)
	v_dual_max_f32 v179, v179, v179 :: v_dual_max_f32 v14, v14, v14
	v_min_f32_e32 v179, v14, v179
.LBB4_7371:                             ;   in Loop: Header=BB4_6538 Depth=3
	s_delay_alu instid0(VALU_DEP_1) | instskip(NEXT) | instid1(VALU_DEP_1)
	v_and_b32_e32 v14, 0x7f800000, v179
	v_cmp_ne_u32_e32 vcc_lo, 0x7f800000, v14
	v_mov_b32_e32 v14, 0x80
	s_and_saveexec_b32 s17, vcc_lo
	s_cbranch_execz .LBB4_7379
; %bb.7372:                             ;   in Loop: Header=BB4_6538 Depth=3
	v_mov_b32_e32 v14, 0
	s_mov_b32 s31, exec_lo
	v_cmpx_ne_u32_e32 0, v179
	s_cbranch_execz .LBB4_7378
; %bb.7373:                             ;   in Loop: Header=BB4_6538 Depth=3
	v_bfe_u32 v14, v179, 23, 8
	s_delay_alu instid0(VALU_DEP_1) | instskip(SKIP_1) | instid1(VALU_DEP_2)
	v_sub_nc_u32_e32 v181, 0x78, v14
	v_cmp_gt_u32_e32 vcc_lo, 0x79, v14
	v_dual_cndmask_b32 v181, 0, v181 :: v_dual_and_b32 v180, 0x7fffff, v179
	s_delay_alu instid0(VALU_DEP_1) | instskip(SKIP_2) | instid1(VALU_DEP_4)
	v_or_b32_e32 v182, 0x800000, v180
	v_cmp_eq_u32_e32 vcc_lo, 0, v14
	v_add_nc_u32_e32 v14, 0xffffff89, v14
	v_cndmask_b32_e64 v181, v181, 0x77, vcc_lo
	s_delay_alu instid0(VALU_DEP_2) | instskip(SKIP_1) | instid1(VALU_DEP_3)
	v_cndmask_b32_e64 v14, v14, 0xffffff8a, vcc_lo
	v_cndmask_b32_e32 v180, v182, v180, vcc_lo
	v_lshl_add_u32 v182, 0x100000, v181, -1
	v_lshlrev_b32_e64 v41, v181, 0x80000
	s_delay_alu instid0(VALU_DEP_3) | instskip(SKIP_1) | instid1(VALU_DEP_4)
	v_lshrrev_b32_e32 v183, v181, v180
	v_add_nc_u32_e32 v181, v181, v14
	v_and_b32_e32 v180, v182, v180
	s_delay_alu instid0(VALU_DEP_3) | instskip(NEXT) | instid1(VALU_DEP_2)
	v_bfe_u32 v40, v183, 20, 1
	v_cmp_eq_u32_e64 s13, v180, v41
	s_delay_alu instid0(VALU_DEP_2) | instskip(NEXT) | instid1(VALU_DEP_1)
	v_add_nc_u32_e32 v182, -1, v40
	v_cndmask_b32_e64 v180, 0, v182, s13
	v_lshrrev_b32_e32 v182, 23, v183
	s_mov_b32 s13, exec_lo
	s_delay_alu instid0(VALU_DEP_2) | instskip(NEXT) | instid1(VALU_DEP_2)
	v_add_nc_u32_e32 v180, v180, v183
	v_xor_b32_e32 v182, 1, v182
	s_delay_alu instid0(VALU_DEP_2) | instskip(NEXT) | instid1(VALU_DEP_1)
	v_and_b32_e32 v14, 0xfffff, v180
	v_add_nc_u32_e32 v180, v14, v183
                                        ; implicit-def: $vgpr14
	s_delay_alu instid0(VALU_DEP_3)
	v_cmpx_ne_u32_e64 v181, v182
	s_xor_b32 s13, exec_lo, s13
; %bb.7374:                             ;   in Loop: Header=BB4_6538 Depth=3
	s_delay_alu instid0(VALU_DEP_2) | instskip(SKIP_2) | instid1(VALU_DEP_2)
	v_cmp_lt_u32_e32 vcc_lo, 0xffffff, v180
	v_sub_nc_u32_e32 v14, v181, v182
	v_cndmask_b32_e64 v181, 0, 1, vcc_lo
	v_add_co_ci_u32_e32 v14, vcc_lo, 0, v14, vcc_lo
	s_delay_alu instid0(VALU_DEP_2)
	v_lshrrev_b32_e32 v180, v181, v180
; %bb.7375:                             ;   in Loop: Header=BB4_6538 Depth=3
	s_and_not1_saveexec_b32 s13, s13
; %bb.7376:                             ;   in Loop: Header=BB4_6538 Depth=3
	s_delay_alu instid0(VALU_DEP_1)
	v_bfe_u32 v14, v180, 23, 1
; %bb.7377:                             ;   in Loop: Header=BB4_6538 Depth=3
	s_or_b32 exec_lo, exec_lo, s13
	v_lshrrev_b32_e32 v180, 20, v180
	s_delay_alu instid0(VALU_DEP_2) | instskip(SKIP_2) | instid1(VALU_DEP_2)
	v_cmp_gt_i32_e32 vcc_lo, 16, v14
	v_lshrrev_b32_e32 v179, 24, v179
	v_min_i32_e32 v181, 15, v14
	v_dual_cndmask_b32 v180, 7, v180 :: v_dual_and_b32 v179, 0x80, v179
	s_delay_alu instid0(VALU_DEP_1) | instskip(SKIP_1) | instid1(VALU_DEP_2)
	v_or_b32_e32 v14, v14, v180
	v_and_b32_e32 v182, 7, v180
	v_cmp_ne_u32_e32 vcc_lo, 0, v14
	v_lshlrev_b32_e32 v181, 3, v181
	s_delay_alu instid0(VALU_DEP_1) | instskip(NEXT) | instid1(VALU_DEP_1)
	v_or3_b32 v179, v181, v179, v182
	v_cndmask_b32_e32 v14, 0, v179, vcc_lo
.LBB4_7378:                             ;   in Loop: Header=BB4_6538 Depth=3
	s_or_b32 exec_lo, exec_lo, s31
.LBB4_7379:                             ;   in Loop: Header=BB4_6538 Depth=3
	s_delay_alu instid0(SALU_CYCLE_1)
	s_or_b32 exec_lo, exec_lo, s17
	v_lshrrev_b16 v180, 8, v15
	v_lshrrev_b16 v179, 8, v11
	s_and_not1_b32 vcc_lo, exec_lo, s16
	s_cbranch_vccnz .LBB4_7389
; %bb.7380:                             ;   in Loop: Header=BB4_6538 Depth=3
	s_mov_b32 s13, 0
	s_mov_b32 s31, exec_lo
                                        ; implicit-def: $sgpr17
	v_cmpx_lt_i16_e64 0x7f, v180
	s_xor_b32 s31, exec_lo, s31
	s_cbranch_execnz .LBB4_7928
; %bb.7381:                             ;   in Loop: Header=BB4_6538 Depth=3
	s_or_saveexec_b32 s31, s31
	v_mov_b32_e32 v181, s17
	s_xor_b32 exec_lo, exec_lo, s31
	s_cbranch_execnz .LBB4_7931
.LBB4_7382:                             ;   in Loop: Header=BB4_6538 Depth=3
	s_or_b32 exec_lo, exec_lo, s31
	s_and_saveexec_b32 s17, s13
	s_cbranch_execz .LBB4_7384
.LBB4_7383:                             ;   in Loop: Header=BB4_6538 Depth=3
	v_and_b32_e32 v181, 0xffff, v180
	s_delay_alu instid0(VALU_DEP_1) | instskip(NEXT) | instid1(VALU_DEP_1)
	v_and_b32_e32 v182, 7, v181
	v_clz_i32_u32_e32 v183, v182
	s_delay_alu instid0(VALU_DEP_1) | instskip(NEXT) | instid1(VALU_DEP_1)
	v_min_u32_e32 v183, 32, v183
	v_subrev_nc_u32_e32 v40, 28, v183
	v_sub_nc_u32_e32 v183, 29, v183
	s_delay_alu instid0(VALU_DEP_2) | instskip(SKIP_1) | instid1(VALU_DEP_2)
	v_lshlrev_b32_e32 v40, v40, v181
	v_bfe_u32 v181, v181, 3, 4
	v_and_b32_e32 v40, 7, v40
	s_delay_alu instid0(VALU_DEP_2) | instskip(SKIP_1) | instid1(VALU_DEP_3)
	v_cmp_eq_u32_e32 vcc_lo, 0, v181
	v_cndmask_b32_e32 v181, v181, v183, vcc_lo
	v_dual_cndmask_b32 v182, v182, v40 :: v_dual_lshlrev_b32 v41, 16, v15
	s_delay_alu instid0(VALU_DEP_2) | instskip(NEXT) | instid1(VALU_DEP_2)
	v_lshl_add_u32 v181, v181, 23, 0x3b800000
	v_and_b32_e32 v183, 0x80000000, v41
	s_delay_alu instid0(VALU_DEP_3) | instskip(NEXT) | instid1(VALU_DEP_1)
	v_lshlrev_b32_e32 v182, 20, v182
	v_or3_b32 v181, v183, v181, v182
.LBB4_7384:                             ;   in Loop: Header=BB4_6538 Depth=3
	s_or_b32 exec_lo, exec_lo, s17
	s_mov_b32 s13, 0
	s_mov_b32 s31, exec_lo
                                        ; implicit-def: $sgpr17
	v_cmpx_lt_i16_e64 0x7f, v179
	s_xor_b32 s31, exec_lo, s31
	s_cbranch_execnz .LBB4_7932
; %bb.7385:                             ;   in Loop: Header=BB4_6538 Depth=3
	s_or_saveexec_b32 s31, s31
	v_mov_b32_e32 v182, s17
	s_xor_b32 exec_lo, exec_lo, s31
	s_cbranch_execnz .LBB4_7935
.LBB4_7386:                             ;   in Loop: Header=BB4_6538 Depth=3
	s_or_b32 exec_lo, exec_lo, s31
	s_and_saveexec_b32 s17, s13
	s_cbranch_execz .LBB4_7388
.LBB4_7387:                             ;   in Loop: Header=BB4_6538 Depth=3
	v_and_b32_e32 v182, 0xffff, v179
	v_lshlrev_b32_e32 v42, 16, v11
	s_delay_alu instid0(VALU_DEP_2) | instskip(NEXT) | instid1(VALU_DEP_1)
	v_and_b32_e32 v183, 7, v182
	v_clz_i32_u32_e32 v40, v183
	s_delay_alu instid0(VALU_DEP_1) | instskip(NEXT) | instid1(VALU_DEP_1)
	v_min_u32_e32 v40, 32, v40
	v_subrev_nc_u32_e32 v41, 28, v40
	v_sub_nc_u32_e32 v40, 29, v40
	s_delay_alu instid0(VALU_DEP_2) | instskip(SKIP_1) | instid1(VALU_DEP_2)
	v_lshlrev_b32_e32 v41, v41, v182
	v_bfe_u32 v182, v182, 3, 4
	v_and_b32_e32 v41, 7, v41
	s_delay_alu instid0(VALU_DEP_2) | instskip(NEXT) | instid1(VALU_DEP_2)
	v_cmp_eq_u32_e32 vcc_lo, 0, v182
	v_dual_cndmask_b32 v182, v182, v40 :: v_dual_cndmask_b32 v183, v183, v41
	v_and_b32_e32 v40, 0x80000000, v42
	s_delay_alu instid0(VALU_DEP_2) | instskip(NEXT) | instid1(VALU_DEP_3)
	v_lshl_add_u32 v182, v182, 23, 0x3b800000
	v_lshlrev_b32_e32 v183, 20, v183
	s_delay_alu instid0(VALU_DEP_1)
	v_or3_b32 v182, v40, v182, v183
.LBB4_7388:                             ;   in Loop: Header=BB4_6538 Depth=3
	s_or_b32 exec_lo, exec_lo, s17
	s_delay_alu instid0(VALU_DEP_1) | instskip(SKIP_1) | instid1(VALU_DEP_1)
	v_dual_max_f32 v182, v182, v182 :: v_dual_max_f32 v181, v181, v181
	s_mov_b32 s13, 0
	v_max_f32_e32 v181, v181, v182
	s_branch .LBB4_7390
.LBB4_7389:                             ;   in Loop: Header=BB4_6538 Depth=3
	s_mov_b32 s13, -1
                                        ; implicit-def: $vgpr181
.LBB4_7390:                             ;   in Loop: Header=BB4_6538 Depth=3
	s_delay_alu instid0(SALU_CYCLE_1)
	s_and_b32 vcc_lo, exec_lo, s13
	s_cbranch_vccz .LBB4_7400
; %bb.7391:                             ;   in Loop: Header=BB4_6538 Depth=3
	s_mov_b32 s13, 0
	s_mov_b32 s31, exec_lo
                                        ; implicit-def: $sgpr17
	v_cmpx_lt_i16_e64 0x7f, v180
	s_xor_b32 s31, exec_lo, s31
	s_cbranch_execnz .LBB4_7936
; %bb.7392:                             ;   in Loop: Header=BB4_6538 Depth=3
	s_or_saveexec_b32 s31, s31
	v_mov_b32_e32 v181, s17
	s_xor_b32 exec_lo, exec_lo, s31
	s_cbranch_execnz .LBB4_7939
.LBB4_7393:                             ;   in Loop: Header=BB4_6538 Depth=3
	s_or_b32 exec_lo, exec_lo, s31
	s_and_saveexec_b32 s17, s13
	s_cbranch_execz .LBB4_7395
.LBB4_7394:                             ;   in Loop: Header=BB4_6538 Depth=3
	v_and_b32_e32 v180, 0xffff, v180
	v_lshlrev_b32_e32 v40, 16, v15
	s_delay_alu instid0(VALU_DEP_2) | instskip(NEXT) | instid1(VALU_DEP_1)
	v_and_b32_e32 v181, 7, v180
	v_clz_i32_u32_e32 v182, v181
	s_delay_alu instid0(VALU_DEP_1) | instskip(NEXT) | instid1(VALU_DEP_1)
	v_min_u32_e32 v182, 32, v182
	v_subrev_nc_u32_e32 v183, 28, v182
	v_sub_nc_u32_e32 v182, 29, v182
	s_delay_alu instid0(VALU_DEP_2) | instskip(SKIP_1) | instid1(VALU_DEP_2)
	v_lshlrev_b32_e32 v183, v183, v180
	v_bfe_u32 v180, v180, 3, 4
	v_and_b32_e32 v183, 7, v183
	s_delay_alu instid0(VALU_DEP_2) | instskip(NEXT) | instid1(VALU_DEP_2)
	v_cmp_eq_u32_e32 vcc_lo, 0, v180
	v_dual_cndmask_b32 v180, v180, v182 :: v_dual_cndmask_b32 v181, v181, v183
	v_and_b32_e32 v182, 0x80000000, v40
	s_delay_alu instid0(VALU_DEP_2) | instskip(NEXT) | instid1(VALU_DEP_3)
	v_lshl_add_u32 v180, v180, 23, 0x3b800000
	v_lshlrev_b32_e32 v181, 20, v181
	s_delay_alu instid0(VALU_DEP_1)
	v_or3_b32 v181, v182, v180, v181
.LBB4_7395:                             ;   in Loop: Header=BB4_6538 Depth=3
	s_or_b32 exec_lo, exec_lo, s17
	s_mov_b32 s13, 0
	s_mov_b32 s31, exec_lo
                                        ; implicit-def: $sgpr17
	v_cmpx_lt_i16_e64 0x7f, v179
	s_xor_b32 s31, exec_lo, s31
	s_cbranch_execnz .LBB4_7940
; %bb.7396:                             ;   in Loop: Header=BB4_6538 Depth=3
	s_or_saveexec_b32 s31, s31
	v_mov_b32_e32 v180, s17
	s_xor_b32 exec_lo, exec_lo, s31
	s_cbranch_execnz .LBB4_7943
.LBB4_7397:                             ;   in Loop: Header=BB4_6538 Depth=3
	s_or_b32 exec_lo, exec_lo, s31
	s_and_saveexec_b32 s17, s13
	s_cbranch_execz .LBB4_7399
.LBB4_7398:                             ;   in Loop: Header=BB4_6538 Depth=3
	v_and_b32_e32 v179, 0xffff, v179
	v_lshlrev_b32_e32 v40, 16, v11
	s_delay_alu instid0(VALU_DEP_2) | instskip(NEXT) | instid1(VALU_DEP_1)
	v_and_b32_e32 v180, 7, v179
	v_clz_i32_u32_e32 v182, v180
	s_delay_alu instid0(VALU_DEP_1) | instskip(NEXT) | instid1(VALU_DEP_1)
	v_min_u32_e32 v182, 32, v182
	v_subrev_nc_u32_e32 v183, 28, v182
	v_sub_nc_u32_e32 v182, 29, v182
	s_delay_alu instid0(VALU_DEP_2) | instskip(SKIP_1) | instid1(VALU_DEP_2)
	v_lshlrev_b32_e32 v183, v183, v179
	v_bfe_u32 v179, v179, 3, 4
	v_and_b32_e32 v183, 7, v183
	s_delay_alu instid0(VALU_DEP_2) | instskip(NEXT) | instid1(VALU_DEP_2)
	v_cmp_eq_u32_e32 vcc_lo, 0, v179
	v_dual_cndmask_b32 v179, v179, v182 :: v_dual_cndmask_b32 v180, v180, v183
	v_and_b32_e32 v182, 0x80000000, v40
	s_delay_alu instid0(VALU_DEP_2) | instskip(NEXT) | instid1(VALU_DEP_3)
	v_lshl_add_u32 v179, v179, 23, 0x3b800000
	v_lshlrev_b32_e32 v180, 20, v180
	s_delay_alu instid0(VALU_DEP_1)
	v_or3_b32 v180, v182, v179, v180
.LBB4_7399:                             ;   in Loop: Header=BB4_6538 Depth=3
	s_or_b32 exec_lo, exec_lo, s17
	s_delay_alu instid0(VALU_DEP_1) | instskip(NEXT) | instid1(VALU_DEP_1)
	v_dual_max_f32 v179, v180, v180 :: v_dual_max_f32 v180, v181, v181
	v_min_f32_e32 v181, v180, v179
.LBB4_7400:                             ;   in Loop: Header=BB4_6538 Depth=3
	s_delay_alu instid0(VALU_DEP_1) | instskip(NEXT) | instid1(VALU_DEP_1)
	v_and_b32_e32 v179, 0x7f800000, v181
	v_cmp_ne_u32_e32 vcc_lo, 0x7f800000, v179
	v_mov_b32_e32 v179, 0x80
	s_and_saveexec_b32 s17, vcc_lo
	s_cbranch_execz .LBB4_7408
; %bb.7401:                             ;   in Loop: Header=BB4_6538 Depth=3
	v_mov_b32_e32 v179, 0
	s_mov_b32 s31, exec_lo
	v_cmpx_ne_u32_e32 0, v181
	s_cbranch_execz .LBB4_7407
; %bb.7402:                             ;   in Loop: Header=BB4_6538 Depth=3
	v_bfe_u32 v179, v181, 23, 8
	v_and_b32_e32 v180, 0x7fffff, v181
	s_delay_alu instid0(VALU_DEP_2) | instskip(SKIP_1) | instid1(VALU_DEP_3)
	v_sub_nc_u32_e32 v182, 0x78, v179
	v_cmp_gt_u32_e32 vcc_lo, 0x79, v179
	v_or_b32_e32 v183, 0x800000, v180
	s_delay_alu instid0(VALU_DEP_3) | instskip(SKIP_2) | instid1(VALU_DEP_3)
	v_cndmask_b32_e32 v182, 0, v182, vcc_lo
	v_cmp_eq_u32_e32 vcc_lo, 0, v179
	v_add_nc_u32_e32 v179, 0xffffff89, v179
	v_cndmask_b32_e64 v182, v182, 0x77, vcc_lo
	v_cndmask_b32_e32 v180, v183, v180, vcc_lo
	s_delay_alu instid0(VALU_DEP_3) | instskip(NEXT) | instid1(VALU_DEP_3)
	v_cndmask_b32_e64 v179, v179, 0xffffff8a, vcc_lo
	v_lshl_add_u32 v183, 0x100000, v182, -1
	s_delay_alu instid0(VALU_DEP_3) | instskip(SKIP_1) | instid1(VALU_DEP_4)
	v_lshrrev_b32_e32 v40, v182, v180
	v_lshlrev_b32_e64 v42, v182, 0x80000
	v_add_nc_u32_e32 v182, v182, v179
	s_delay_alu instid0(VALU_DEP_4) | instskip(NEXT) | instid1(VALU_DEP_4)
	v_and_b32_e32 v180, v183, v180
	v_bfe_u32 v41, v40, 20, 1
	s_delay_alu instid0(VALU_DEP_2) | instskip(NEXT) | instid1(VALU_DEP_2)
	v_cmp_eq_u32_e64 s13, v180, v42
	v_add_nc_u32_e32 v183, -1, v41
	s_delay_alu instid0(VALU_DEP_1) | instskip(SKIP_2) | instid1(VALU_DEP_2)
	v_cndmask_b32_e64 v180, 0, v183, s13
	v_lshrrev_b32_e32 v183, 23, v40
	s_mov_b32 s13, exec_lo
	v_add_nc_u32_e32 v180, v180, v40
	s_delay_alu instid0(VALU_DEP_2) | instskip(NEXT) | instid1(VALU_DEP_2)
	v_xor_b32_e32 v183, 1, v183
	v_and_b32_e32 v179, 0xfffff, v180
	s_delay_alu instid0(VALU_DEP_1) | instskip(NEXT) | instid1(VALU_DEP_3)
	v_add_nc_u32_e32 v180, v179, v40
                                        ; implicit-def: $vgpr179
	v_cmpx_ne_u32_e64 v182, v183
	s_xor_b32 s13, exec_lo, s13
; %bb.7403:                             ;   in Loop: Header=BB4_6538 Depth=3
	s_delay_alu instid0(VALU_DEP_2) | instskip(SKIP_2) | instid1(VALU_DEP_2)
	v_cmp_lt_u32_e32 vcc_lo, 0xffffff, v180
	v_sub_nc_u32_e32 v179, v182, v183
	v_cndmask_b32_e64 v182, 0, 1, vcc_lo
	v_add_co_ci_u32_e32 v179, vcc_lo, 0, v179, vcc_lo
	s_delay_alu instid0(VALU_DEP_2)
	v_lshrrev_b32_e32 v180, v182, v180
; %bb.7404:                             ;   in Loop: Header=BB4_6538 Depth=3
	s_and_not1_saveexec_b32 s13, s13
; %bb.7405:                             ;   in Loop: Header=BB4_6538 Depth=3
	s_delay_alu instid0(VALU_DEP_1)
	v_bfe_u32 v179, v180, 23, 1
; %bb.7406:                             ;   in Loop: Header=BB4_6538 Depth=3
	s_or_b32 exec_lo, exec_lo, s13
	v_lshrrev_b32_e32 v180, 20, v180
	s_delay_alu instid0(VALU_DEP_2) | instskip(SKIP_2) | instid1(VALU_DEP_2)
	v_cmp_gt_i32_e32 vcc_lo, 16, v179
	v_lshrrev_b32_e32 v181, 24, v181
	v_min_i32_e32 v182, 15, v179
	v_dual_cndmask_b32 v180, 7, v180 :: v_dual_and_b32 v181, 0x80, v181
	s_delay_alu instid0(VALU_DEP_1) | instskip(SKIP_1) | instid1(VALU_DEP_2)
	v_or_b32_e32 v179, v179, v180
	v_and_b32_e32 v183, 7, v180
	v_cmp_ne_u32_e32 vcc_lo, 0, v179
	v_lshlrev_b32_e32 v182, 3, v182
	s_delay_alu instid0(VALU_DEP_1) | instskip(NEXT) | instid1(VALU_DEP_1)
	v_or3_b32 v180, v182, v181, v183
	v_cndmask_b32_e32 v179, 0, v180, vcc_lo
.LBB4_7407:                             ;   in Loop: Header=BB4_6538 Depth=3
	s_or_b32 exec_lo, exec_lo, s31
.LBB4_7408:                             ;   in Loop: Header=BB4_6538 Depth=3
	s_delay_alu instid0(SALU_CYCLE_1)
	s_or_b32 exec_lo, exec_lo, s17
	v_lshrrev_b32_e32 v181, 16, v15
	v_lshrrev_b32_e32 v180, 16, v11
	s_and_not1_b32 vcc_lo, exec_lo, s16
	s_cbranch_vccnz .LBB4_7418
; %bb.7409:                             ;   in Loop: Header=BB4_6538 Depth=3
	s_delay_alu instid0(VALU_DEP_2) | instskip(SKIP_2) | instid1(VALU_DEP_1)
	v_and_b32_e32 v183, 0xff, v181
	s_mov_b32 s13, 0
	s_mov_b32 s31, exec_lo
                                        ; implicit-def: $sgpr17
	v_cmpx_lt_i16_e64 0x7f, v183
	s_xor_b32 s31, exec_lo, s31
	s_cbranch_execnz .LBB4_7944
; %bb.7410:                             ;   in Loop: Header=BB4_6538 Depth=3
	s_or_saveexec_b32 s31, s31
	v_mov_b32_e32 v182, s17
	s_xor_b32 exec_lo, exec_lo, s31
	s_cbranch_execnz .LBB4_7947
.LBB4_7411:                             ;   in Loop: Header=BB4_6538 Depth=3
	s_or_b32 exec_lo, exec_lo, s31
	s_and_saveexec_b32 s17, s13
	s_cbranch_execz .LBB4_7413
.LBB4_7412:                             ;   in Loop: Header=BB4_6538 Depth=3
	v_bfe_u32 v182, v15, 16, 3
	v_bfe_u32 v41, v15, 19, 4
	v_lshlrev_b32_e32 v42, 24, v181
	s_delay_alu instid0(VALU_DEP_3) | instskip(NEXT) | instid1(VALU_DEP_3)
	v_clz_i32_u32_e32 v183, v182
	v_cmp_eq_u32_e32 vcc_lo, 0, v41
	s_delay_alu instid0(VALU_DEP_2) | instskip(NEXT) | instid1(VALU_DEP_1)
	v_min_u32_e32 v183, 32, v183
	v_subrev_nc_u32_e32 v40, 28, v183
	v_sub_nc_u32_e32 v183, 29, v183
	s_delay_alu instid0(VALU_DEP_1) | instskip(NEXT) | instid1(VALU_DEP_1)
	v_dual_cndmask_b32 v183, v41, v183 :: v_dual_lshlrev_b32 v40, v40, v181
	v_and_b32_e32 v40, 7, v40
	s_delay_alu instid0(VALU_DEP_2) | instskip(NEXT) | instid1(VALU_DEP_2)
	v_lshl_add_u32 v183, v183, 23, 0x3b800000
	v_cndmask_b32_e32 v182, v182, v40, vcc_lo
	v_and_b32_e32 v40, 0x80000000, v42
	s_delay_alu instid0(VALU_DEP_2) | instskip(NEXT) | instid1(VALU_DEP_1)
	v_lshlrev_b32_e32 v182, 20, v182
	v_or3_b32 v182, v40, v183, v182
.LBB4_7413:                             ;   in Loop: Header=BB4_6538 Depth=3
	s_or_b32 exec_lo, exec_lo, s17
	v_and_b32_e32 v40, 0xff, v180
	s_mov_b32 s13, 0
	s_mov_b32 s31, exec_lo
                                        ; implicit-def: $sgpr17
	s_delay_alu instid0(VALU_DEP_1)
	v_cmpx_lt_i16_e32 0x7f, v40
	s_xor_b32 s31, exec_lo, s31
	s_cbranch_execnz .LBB4_7948
; %bb.7414:                             ;   in Loop: Header=BB4_6538 Depth=3
	s_or_saveexec_b32 s31, s31
	v_mov_b32_e32 v183, s17
	s_xor_b32 exec_lo, exec_lo, s31
	s_cbranch_execnz .LBB4_7951
.LBB4_7415:                             ;   in Loop: Header=BB4_6538 Depth=3
	s_or_b32 exec_lo, exec_lo, s31
	s_and_saveexec_b32 s17, s13
	s_cbranch_execz .LBB4_7417
.LBB4_7416:                             ;   in Loop: Header=BB4_6538 Depth=3
	v_bfe_u32 v183, v11, 16, 3
	v_bfe_u32 v42, v11, 19, 4
	v_lshlrev_b32_e32 v43, 24, v180
	s_delay_alu instid0(VALU_DEP_3) | instskip(NEXT) | instid1(VALU_DEP_3)
	v_clz_i32_u32_e32 v40, v183
	v_cmp_eq_u32_e32 vcc_lo, 0, v42
	s_delay_alu instid0(VALU_DEP_2) | instskip(NEXT) | instid1(VALU_DEP_1)
	v_min_u32_e32 v40, 32, v40
	v_subrev_nc_u32_e32 v41, 28, v40
	v_sub_nc_u32_e32 v40, 29, v40
	s_delay_alu instid0(VALU_DEP_2) | instskip(NEXT) | instid1(VALU_DEP_1)
	v_lshlrev_b32_e32 v41, v41, v180
	v_dual_cndmask_b32 v40, v42, v40 :: v_dual_and_b32 v41, 7, v41
	s_delay_alu instid0(VALU_DEP_1) | instskip(NEXT) | instid1(VALU_DEP_2)
	v_lshl_add_u32 v40, v40, 23, 0x3b800000
	v_cndmask_b32_e32 v183, v183, v41, vcc_lo
	v_and_b32_e32 v41, 0x80000000, v43
	s_delay_alu instid0(VALU_DEP_2) | instskip(NEXT) | instid1(VALU_DEP_1)
	v_lshlrev_b32_e32 v183, 20, v183
	v_or3_b32 v183, v41, v40, v183
.LBB4_7417:                             ;   in Loop: Header=BB4_6538 Depth=3
	s_or_b32 exec_lo, exec_lo, s17
	s_delay_alu instid0(VALU_DEP_1) | instskip(SKIP_1) | instid1(VALU_DEP_1)
	v_dual_max_f32 v183, v183, v183 :: v_dual_max_f32 v182, v182, v182
	s_mov_b32 s13, 0
	v_max_f32_e32 v182, v182, v183
	s_branch .LBB4_7419
.LBB4_7418:                             ;   in Loop: Header=BB4_6538 Depth=3
	s_mov_b32 s13, -1
                                        ; implicit-def: $vgpr182
.LBB4_7419:                             ;   in Loop: Header=BB4_6538 Depth=3
	s_delay_alu instid0(SALU_CYCLE_1)
	s_and_b32 vcc_lo, exec_lo, s13
	s_cbranch_vccz .LBB4_7429
; %bb.7420:                             ;   in Loop: Header=BB4_6538 Depth=3
	v_and_b32_e32 v183, 0xff, v181
	s_mov_b32 s13, 0
	s_mov_b32 s31, exec_lo
                                        ; implicit-def: $sgpr17
	s_delay_alu instid0(VALU_DEP_1)
	v_cmpx_lt_i16_e64 0x7f, v183
	s_xor_b32 s31, exec_lo, s31
	s_cbranch_execnz .LBB4_7952
; %bb.7421:                             ;   in Loop: Header=BB4_6538 Depth=3
	s_or_saveexec_b32 s31, s31
	v_mov_b32_e32 v182, s17
	s_xor_b32 exec_lo, exec_lo, s31
	s_cbranch_execnz .LBB4_7955
.LBB4_7422:                             ;   in Loop: Header=BB4_6538 Depth=3
	s_or_b32 exec_lo, exec_lo, s31
	s_and_saveexec_b32 s17, s13
	s_cbranch_execz .LBB4_7424
.LBB4_7423:                             ;   in Loop: Header=BB4_6538 Depth=3
	v_bfe_u32 v182, v15, 16, 3
	v_bfe_u32 v41, v15, 19, 4
	s_delay_alu instid0(VALU_DEP_2) | instskip(NEXT) | instid1(VALU_DEP_2)
	v_clz_i32_u32_e32 v183, v182
	v_cmp_eq_u32_e32 vcc_lo, 0, v41
	s_delay_alu instid0(VALU_DEP_2) | instskip(NEXT) | instid1(VALU_DEP_1)
	v_min_u32_e32 v183, 32, v183
	v_subrev_nc_u32_e32 v40, 28, v183
	v_sub_nc_u32_e32 v183, 29, v183
	s_delay_alu instid0(VALU_DEP_1) | instskip(NEXT) | instid1(VALU_DEP_1)
	v_dual_cndmask_b32 v183, v41, v183 :: v_dual_lshlrev_b32 v40, v40, v181
	v_and_b32_e32 v40, 7, v40
	v_lshlrev_b32_e32 v181, 24, v181
	s_delay_alu instid0(VALU_DEP_3) | instskip(NEXT) | instid1(VALU_DEP_2)
	v_lshl_add_u32 v183, v183, 23, 0x3b800000
	v_dual_cndmask_b32 v182, v182, v40 :: v_dual_and_b32 v181, 0x80000000, v181
	s_delay_alu instid0(VALU_DEP_1) | instskip(NEXT) | instid1(VALU_DEP_1)
	v_lshlrev_b32_e32 v182, 20, v182
	v_or3_b32 v182, v181, v183, v182
.LBB4_7424:                             ;   in Loop: Header=BB4_6538 Depth=3
	s_or_b32 exec_lo, exec_lo, s17
	v_and_b32_e32 v183, 0xff, v180
	s_mov_b32 s13, 0
	s_mov_b32 s31, exec_lo
                                        ; implicit-def: $sgpr17
	s_delay_alu instid0(VALU_DEP_1)
	v_cmpx_lt_i16_e64 0x7f, v183
	s_xor_b32 s31, exec_lo, s31
	s_cbranch_execnz .LBB4_7956
; %bb.7425:                             ;   in Loop: Header=BB4_6538 Depth=3
	s_or_saveexec_b32 s31, s31
	v_mov_b32_e32 v181, s17
	s_xor_b32 exec_lo, exec_lo, s31
	s_cbranch_execnz .LBB4_7959
.LBB4_7426:                             ;   in Loop: Header=BB4_6538 Depth=3
	s_or_b32 exec_lo, exec_lo, s31
	s_and_saveexec_b32 s17, s13
	s_cbranch_execz .LBB4_7428
.LBB4_7427:                             ;   in Loop: Header=BB4_6538 Depth=3
	v_bfe_u32 v181, v11, 16, 3
	v_bfe_u32 v41, v11, 19, 4
	s_delay_alu instid0(VALU_DEP_2) | instskip(NEXT) | instid1(VALU_DEP_2)
	v_clz_i32_u32_e32 v183, v181
	v_cmp_eq_u32_e32 vcc_lo, 0, v41
	s_delay_alu instid0(VALU_DEP_2) | instskip(NEXT) | instid1(VALU_DEP_1)
	v_min_u32_e32 v183, 32, v183
	v_subrev_nc_u32_e32 v40, 28, v183
	v_sub_nc_u32_e32 v183, 29, v183
	s_delay_alu instid0(VALU_DEP_1) | instskip(SKIP_1) | instid1(VALU_DEP_2)
	v_dual_cndmask_b32 v183, v41, v183 :: v_dual_lshlrev_b32 v40, v40, v180
	v_lshlrev_b32_e32 v180, 24, v180
	v_and_b32_e32 v40, 7, v40
	s_delay_alu instid0(VALU_DEP_3) | instskip(NEXT) | instid1(VALU_DEP_3)
	v_lshl_add_u32 v183, v183, 23, 0x3b800000
	v_and_b32_e32 v180, 0x80000000, v180
	s_delay_alu instid0(VALU_DEP_3) | instskip(NEXT) | instid1(VALU_DEP_1)
	v_cndmask_b32_e32 v181, v181, v40, vcc_lo
	v_lshlrev_b32_e32 v181, 20, v181
	s_delay_alu instid0(VALU_DEP_1)
	v_or3_b32 v181, v180, v183, v181
.LBB4_7428:                             ;   in Loop: Header=BB4_6538 Depth=3
	s_or_b32 exec_lo, exec_lo, s17
	s_delay_alu instid0(VALU_DEP_1) | instskip(NEXT) | instid1(VALU_DEP_1)
	v_dual_max_f32 v180, v181, v181 :: v_dual_max_f32 v181, v182, v182
	v_min_f32_e32 v182, v181, v180
.LBB4_7429:                             ;   in Loop: Header=BB4_6538 Depth=3
	s_delay_alu instid0(VALU_DEP_1) | instskip(NEXT) | instid1(VALU_DEP_1)
	v_and_b32_e32 v180, 0x7f800000, v182
	v_cmp_ne_u32_e32 vcc_lo, 0x7f800000, v180
	v_mov_b32_e32 v180, 0x80
	s_and_saveexec_b32 s17, vcc_lo
	s_cbranch_execz .LBB4_7437
; %bb.7430:                             ;   in Loop: Header=BB4_6538 Depth=3
	v_mov_b32_e32 v180, 0
	s_mov_b32 s31, exec_lo
	v_cmpx_ne_u32_e32 0, v182
	s_cbranch_execz .LBB4_7436
; %bb.7431:                             ;   in Loop: Header=BB4_6538 Depth=3
	v_bfe_u32 v180, v182, 23, 8
	v_and_b32_e32 v181, 0x7fffff, v182
	s_delay_alu instid0(VALU_DEP_2) | instskip(SKIP_1) | instid1(VALU_DEP_3)
	v_sub_nc_u32_e32 v183, 0x78, v180
	v_cmp_gt_u32_e32 vcc_lo, 0x79, v180
	v_or_b32_e32 v40, 0x800000, v181
	s_delay_alu instid0(VALU_DEP_3) | instskip(SKIP_2) | instid1(VALU_DEP_3)
	v_cndmask_b32_e32 v183, 0, v183, vcc_lo
	v_cmp_eq_u32_e32 vcc_lo, 0, v180
	v_add_nc_u32_e32 v180, 0xffffff89, v180
	v_cndmask_b32_e64 v183, v183, 0x77, vcc_lo
	v_cndmask_b32_e32 v181, v40, v181, vcc_lo
	s_delay_alu instid0(VALU_DEP_3) | instskip(NEXT) | instid1(VALU_DEP_3)
	v_cndmask_b32_e64 v180, v180, 0xffffff8a, vcc_lo
	v_lshl_add_u32 v40, 0x100000, v183, -1
	s_delay_alu instid0(VALU_DEP_3) | instskip(SKIP_1) | instid1(VALU_DEP_4)
	v_lshrrev_b32_e32 v41, v183, v181
	v_lshlrev_b32_e64 v43, v183, 0x80000
	v_add_nc_u32_e32 v183, v183, v180
	s_delay_alu instid0(VALU_DEP_4) | instskip(NEXT) | instid1(VALU_DEP_4)
	v_and_b32_e32 v181, v40, v181
	v_bfe_u32 v42, v41, 20, 1
	s_delay_alu instid0(VALU_DEP_2) | instskip(NEXT) | instid1(VALU_DEP_2)
	v_cmp_eq_u32_e64 s13, v181, v43
	v_add_nc_u32_e32 v40, -1, v42
	s_delay_alu instid0(VALU_DEP_1) | instskip(SKIP_2) | instid1(VALU_DEP_2)
	v_cndmask_b32_e64 v181, 0, v40, s13
	v_lshrrev_b32_e32 v40, 23, v41
	s_mov_b32 s13, exec_lo
	v_add_nc_u32_e32 v181, v181, v41
	s_delay_alu instid0(VALU_DEP_2) | instskip(NEXT) | instid1(VALU_DEP_2)
	v_xor_b32_e32 v40, 1, v40
	v_and_b32_e32 v180, 0xfffff, v181
	s_delay_alu instid0(VALU_DEP_1) | instskip(NEXT) | instid1(VALU_DEP_3)
	v_add_nc_u32_e32 v181, v180, v41
                                        ; implicit-def: $vgpr180
	v_cmpx_ne_u32_e64 v183, v40
	s_xor_b32 s13, exec_lo, s13
; %bb.7432:                             ;   in Loop: Header=BB4_6538 Depth=3
	s_delay_alu instid0(VALU_DEP_2) | instskip(SKIP_2) | instid1(VALU_DEP_2)
	v_cmp_lt_u32_e32 vcc_lo, 0xffffff, v181
	v_sub_nc_u32_e32 v180, v183, v40
	v_cndmask_b32_e64 v183, 0, 1, vcc_lo
	v_add_co_ci_u32_e32 v180, vcc_lo, 0, v180, vcc_lo
	s_delay_alu instid0(VALU_DEP_2)
	v_lshrrev_b32_e32 v181, v183, v181
; %bb.7433:                             ;   in Loop: Header=BB4_6538 Depth=3
	s_and_not1_saveexec_b32 s13, s13
; %bb.7434:                             ;   in Loop: Header=BB4_6538 Depth=3
	s_delay_alu instid0(VALU_DEP_1)
	v_bfe_u32 v180, v181, 23, 1
; %bb.7435:                             ;   in Loop: Header=BB4_6538 Depth=3
	s_or_b32 exec_lo, exec_lo, s13
	v_lshrrev_b32_e32 v181, 20, v181
	s_delay_alu instid0(VALU_DEP_2) | instskip(SKIP_2) | instid1(VALU_DEP_2)
	v_cmp_gt_i32_e32 vcc_lo, 16, v180
	v_lshrrev_b32_e32 v182, 24, v182
	v_min_i32_e32 v183, 15, v180
	v_dual_cndmask_b32 v181, 7, v181 :: v_dual_and_b32 v182, 0x80, v182
	s_delay_alu instid0(VALU_DEP_1) | instskip(SKIP_1) | instid1(VALU_DEP_2)
	v_or_b32_e32 v180, v180, v181
	v_and_b32_e32 v40, 7, v181
	v_cmp_ne_u32_e32 vcc_lo, 0, v180
	v_lshlrev_b32_e32 v183, 3, v183
	s_delay_alu instid0(VALU_DEP_1) | instskip(NEXT) | instid1(VALU_DEP_1)
	v_and_b32_e32 v183, 0xf8, v183
	v_or3_b32 v181, v183, v182, v40
	s_delay_alu instid0(VALU_DEP_1)
	v_cndmask_b32_e32 v180, 0, v181, vcc_lo
.LBB4_7436:                             ;   in Loop: Header=BB4_6538 Depth=3
	s_or_b32 exec_lo, exec_lo, s31
.LBB4_7437:                             ;   in Loop: Header=BB4_6538 Depth=3
	s_delay_alu instid0(SALU_CYCLE_1)
	s_or_b32 exec_lo, exec_lo, s17
	v_lshrrev_b32_e32 v182, 24, v15
	v_lshrrev_b32_e32 v181, 24, v11
	s_and_not1_b32 vcc_lo, exec_lo, s16
	s_cbranch_vccnz .LBB4_7447
; %bb.7438:                             ;   in Loop: Header=BB4_6538 Depth=3
	s_mov_b32 s13, 0
	s_mov_b32 s31, exec_lo
                                        ; implicit-def: $sgpr17
	v_cmpx_lt_i16_e64 0x7f, v182
	s_xor_b32 s31, exec_lo, s31
	s_cbranch_execnz .LBB4_7960
; %bb.7439:                             ;   in Loop: Header=BB4_6538 Depth=3
	s_or_saveexec_b32 s31, s31
	v_mov_b32_e32 v183, s17
	s_xor_b32 exec_lo, exec_lo, s31
	s_cbranch_execnz .LBB4_7963
.LBB4_7440:                             ;   in Loop: Header=BB4_6538 Depth=3
	s_or_b32 exec_lo, exec_lo, s31
	s_and_saveexec_b32 s17, s13
	s_cbranch_execz .LBB4_7442
.LBB4_7441:                             ;   in Loop: Header=BB4_6538 Depth=3
	v_bfe_u32 v183, v15, 24, 3
	v_bfe_u32 v42, v15, 27, 4
	s_delay_alu instid0(VALU_DEP_2) | instskip(NEXT) | instid1(VALU_DEP_2)
	v_clz_i32_u32_e32 v40, v183
	v_cmp_eq_u32_e32 vcc_lo, 0, v42
	s_delay_alu instid0(VALU_DEP_2) | instskip(NEXT) | instid1(VALU_DEP_1)
	v_min_u32_e32 v40, 32, v40
	v_subrev_nc_u32_e32 v41, 28, v40
	v_sub_nc_u32_e32 v40, 29, v40
	s_delay_alu instid0(VALU_DEP_1) | instskip(NEXT) | instid1(VALU_DEP_1)
	v_dual_cndmask_b32 v40, v42, v40 :: v_dual_lshlrev_b32 v41, v41, v182
	v_and_b32_e32 v41, 7, v41
	s_delay_alu instid0(VALU_DEP_2) | instskip(NEXT) | instid1(VALU_DEP_2)
	v_lshl_add_u32 v40, v40, 23, 0x3b800000
	v_cndmask_b32_e32 v183, v183, v41, vcc_lo
	v_and_b32_e32 v41, 0x80000000, v15
	s_delay_alu instid0(VALU_DEP_2) | instskip(NEXT) | instid1(VALU_DEP_1)
	v_lshlrev_b32_e32 v183, 20, v183
	v_or3_b32 v183, v41, v40, v183
.LBB4_7442:                             ;   in Loop: Header=BB4_6538 Depth=3
	s_or_b32 exec_lo, exec_lo, s17
	s_mov_b32 s13, 0
	s_mov_b32 s31, exec_lo
                                        ; implicit-def: $sgpr17
	v_cmpx_lt_i16_e64 0x7f, v181
	s_xor_b32 s31, exec_lo, s31
	s_cbranch_execnz .LBB4_7964
; %bb.7443:                             ;   in Loop: Header=BB4_6538 Depth=3
	s_or_saveexec_b32 s31, s31
	v_mov_b32_e32 v40, s17
	s_xor_b32 exec_lo, exec_lo, s31
	s_cbranch_execnz .LBB4_7967
.LBB4_7444:                             ;   in Loop: Header=BB4_6538 Depth=3
	s_or_b32 exec_lo, exec_lo, s31
	s_and_saveexec_b32 s17, s13
	s_cbranch_execz .LBB4_7446
.LBB4_7445:                             ;   in Loop: Header=BB4_6538 Depth=3
	v_bfe_u32 v40, v11, 24, 3
	v_bfe_u32 v43, v11, 27, 4
	s_delay_alu instid0(VALU_DEP_2) | instskip(NEXT) | instid1(VALU_DEP_2)
	v_clz_i32_u32_e32 v41, v40
	v_cmp_eq_u32_e32 vcc_lo, 0, v43
	s_delay_alu instid0(VALU_DEP_2) | instskip(NEXT) | instid1(VALU_DEP_1)
	v_min_u32_e32 v41, 32, v41
	v_subrev_nc_u32_e32 v42, 28, v41
	v_sub_nc_u32_e32 v41, 29, v41
	s_delay_alu instid0(VALU_DEP_2) | instskip(NEXT) | instid1(VALU_DEP_1)
	v_lshlrev_b32_e32 v42, v42, v181
	v_dual_cndmask_b32 v41, v43, v41 :: v_dual_and_b32 v42, 7, v42
	s_delay_alu instid0(VALU_DEP_1) | instskip(NEXT) | instid1(VALU_DEP_2)
	v_lshl_add_u32 v41, v41, 23, 0x3b800000
	v_cndmask_b32_e32 v40, v40, v42, vcc_lo
	v_and_b32_e32 v42, 0x80000000, v11
	s_delay_alu instid0(VALU_DEP_2) | instskip(NEXT) | instid1(VALU_DEP_1)
	v_lshlrev_b32_e32 v40, 20, v40
	v_or3_b32 v40, v42, v41, v40
.LBB4_7446:                             ;   in Loop: Header=BB4_6538 Depth=3
	s_or_b32 exec_lo, exec_lo, s17
	s_delay_alu instid0(VALU_DEP_1) | instskip(SKIP_1) | instid1(VALU_DEP_1)
	v_dual_max_f32 v40, v40, v40 :: v_dual_max_f32 v183, v183, v183
	s_mov_b32 s13, 0
	v_max_f32_e32 v183, v183, v40
	s_branch .LBB4_7448
.LBB4_7447:                             ;   in Loop: Header=BB4_6538 Depth=3
	s_mov_b32 s13, -1
                                        ; implicit-def: $vgpr183
.LBB4_7448:                             ;   in Loop: Header=BB4_6538 Depth=3
	s_delay_alu instid0(SALU_CYCLE_1)
	s_and_b32 vcc_lo, exec_lo, s13
	s_cbranch_vccz .LBB4_7458
; %bb.7449:                             ;   in Loop: Header=BB4_6538 Depth=3
	s_mov_b32 s13, 0
	s_mov_b32 s31, exec_lo
                                        ; implicit-def: $sgpr17
	v_cmpx_lt_i16_e64 0x7f, v182
	s_xor_b32 s31, exec_lo, s31
	s_cbranch_execnz .LBB4_7968
; %bb.7450:                             ;   in Loop: Header=BB4_6538 Depth=3
	s_or_saveexec_b32 s31, s31
	v_mov_b32_e32 v183, s17
	s_xor_b32 exec_lo, exec_lo, s31
	s_cbranch_execnz .LBB4_7971
.LBB4_7451:                             ;   in Loop: Header=BB4_6538 Depth=3
	s_or_b32 exec_lo, exec_lo, s31
	s_and_saveexec_b32 s17, s13
	s_cbranch_execz .LBB4_7453
.LBB4_7452:                             ;   in Loop: Header=BB4_6538 Depth=3
	v_bfe_u32 v183, v15, 24, 3
	s_delay_alu instid0(VALU_DEP_1) | instskip(NEXT) | instid1(VALU_DEP_1)
	v_clz_i32_u32_e32 v40, v183
	v_min_u32_e32 v40, 32, v40
	s_delay_alu instid0(VALU_DEP_1) | instskip(SKIP_1) | instid1(VALU_DEP_2)
	v_subrev_nc_u32_e32 v41, 28, v40
	v_sub_nc_u32_e32 v40, 29, v40
	v_lshlrev_b32_e32 v182, v41, v182
	v_bfe_u32 v41, v15, 27, 4
	v_and_b32_e32 v15, 0x80000000, v15
	s_delay_alu instid0(VALU_DEP_3) | instskip(NEXT) | instid1(VALU_DEP_3)
	v_and_b32_e32 v182, 7, v182
	v_cmp_eq_u32_e32 vcc_lo, 0, v41
	v_cndmask_b32_e32 v40, v41, v40, vcc_lo
	s_delay_alu instid0(VALU_DEP_3) | instskip(NEXT) | instid1(VALU_DEP_2)
	v_cndmask_b32_e32 v182, v183, v182, vcc_lo
	v_lshl_add_u32 v183, v40, 23, 0x3b800000
	s_delay_alu instid0(VALU_DEP_2) | instskip(NEXT) | instid1(VALU_DEP_1)
	v_lshlrev_b32_e32 v182, 20, v182
	v_or3_b32 v183, v15, v183, v182
.LBB4_7453:                             ;   in Loop: Header=BB4_6538 Depth=3
	s_or_b32 exec_lo, exec_lo, s17
	s_mov_b32 s13, 0
	s_mov_b32 s31, exec_lo
                                        ; implicit-def: $sgpr17
	v_cmpx_lt_i16_e64 0x7f, v181
	s_xor_b32 s31, exec_lo, s31
	s_cbranch_execnz .LBB4_7972
; %bb.7454:                             ;   in Loop: Header=BB4_6538 Depth=3
	s_or_saveexec_b32 s31, s31
	v_mov_b32_e32 v15, s17
	s_xor_b32 exec_lo, exec_lo, s31
	s_cbranch_execnz .LBB4_7975
.LBB4_7455:                             ;   in Loop: Header=BB4_6538 Depth=3
	s_or_b32 exec_lo, exec_lo, s31
	s_and_saveexec_b32 s17, s13
	s_cbranch_execz .LBB4_7457
.LBB4_7456:                             ;   in Loop: Header=BB4_6538 Depth=3
	v_bfe_u32 v15, v11, 24, 3
	s_delay_alu instid0(VALU_DEP_1) | instskip(NEXT) | instid1(VALU_DEP_1)
	v_clz_i32_u32_e32 v182, v15
	v_min_u32_e32 v182, 32, v182
	s_delay_alu instid0(VALU_DEP_1) | instskip(SKIP_1) | instid1(VALU_DEP_2)
	v_subrev_nc_u32_e32 v40, 28, v182
	v_sub_nc_u32_e32 v182, 29, v182
	v_lshlrev_b32_e32 v181, v40, v181
	v_bfe_u32 v40, v11, 27, 4
	v_and_b32_e32 v11, 0x80000000, v11
	s_delay_alu instid0(VALU_DEP_2) | instskip(NEXT) | instid1(VALU_DEP_4)
	v_cmp_eq_u32_e32 vcc_lo, 0, v40
	v_dual_cndmask_b32 v182, v40, v182 :: v_dual_and_b32 v181, 7, v181
	s_delay_alu instid0(VALU_DEP_1) | instskip(NEXT) | instid1(VALU_DEP_2)
	v_cndmask_b32_e32 v15, v15, v181, vcc_lo
	v_lshl_add_u32 v181, v182, 23, 0x3b800000
	s_delay_alu instid0(VALU_DEP_2) | instskip(NEXT) | instid1(VALU_DEP_1)
	v_lshlrev_b32_e32 v15, 20, v15
	v_or3_b32 v15, v11, v181, v15
.LBB4_7457:                             ;   in Loop: Header=BB4_6538 Depth=3
	s_or_b32 exec_lo, exec_lo, s17
	s_delay_alu instid0(VALU_DEP_1) | instskip(SKIP_1) | instid1(VALU_DEP_1)
	v_max_f32_e32 v11, v15, v15
	v_max_f32_e32 v15, v183, v183
	v_min_f32_e32 v183, v15, v11
.LBB4_7458:                             ;   in Loop: Header=BB4_6538 Depth=3
	s_delay_alu instid0(VALU_DEP_1) | instskip(NEXT) | instid1(VALU_DEP_1)
	v_and_b32_e32 v11, 0x7f800000, v183
	v_cmp_ne_u32_e32 vcc_lo, 0x7f800000, v11
	v_mov_b32_e32 v11, 0x8000
	s_and_saveexec_b32 s17, vcc_lo
	s_cbranch_execz .LBB4_6537
; %bb.7459:                             ;   in Loop: Header=BB4_6538 Depth=3
	v_mov_b32_e32 v11, 0
	s_mov_b32 s31, exec_lo
	v_cmpx_ne_u32_e32 0, v183
	s_cbranch_execz .LBB4_6536
; %bb.7460:                             ;   in Loop: Header=BB4_6538 Depth=3
	v_bfe_u32 v11, v183, 23, 8
	v_and_b32_e32 v15, 0x7fffff, v183
	s_delay_alu instid0(VALU_DEP_2) | instskip(SKIP_1) | instid1(VALU_DEP_3)
	v_sub_nc_u32_e32 v181, 0x78, v11
	v_cmp_gt_u32_e32 vcc_lo, 0x79, v11
	v_or_b32_e32 v182, 0x800000, v15
	s_delay_alu instid0(VALU_DEP_3) | instskip(SKIP_2) | instid1(VALU_DEP_3)
	v_cndmask_b32_e32 v181, 0, v181, vcc_lo
	v_cmp_eq_u32_e32 vcc_lo, 0, v11
	v_add_nc_u32_e32 v11, 0xffffff89, v11
	v_cndmask_b32_e64 v181, v181, 0x77, vcc_lo
	v_cndmask_b32_e32 v15, v182, v15, vcc_lo
	s_delay_alu instid0(VALU_DEP_3) | instskip(NEXT) | instid1(VALU_DEP_3)
	v_cndmask_b32_e64 v11, v11, 0xffffff8a, vcc_lo
	v_lshl_add_u32 v182, 0x100000, v181, -1
	s_delay_alu instid0(VALU_DEP_3) | instskip(SKIP_1) | instid1(VALU_DEP_4)
	v_lshrrev_b32_e32 v40, v181, v15
	v_lshlrev_b32_e64 v42, v181, 0x80000
	v_add_nc_u32_e32 v181, v181, v11
	s_delay_alu instid0(VALU_DEP_4) | instskip(NEXT) | instid1(VALU_DEP_4)
	v_and_b32_e32 v15, v182, v15
	v_bfe_u32 v41, v40, 20, 1
	s_delay_alu instid0(VALU_DEP_2) | instskip(NEXT) | instid1(VALU_DEP_2)
	v_cmp_eq_u32_e64 s13, v15, v42
	v_add_nc_u32_e32 v182, -1, v41
	s_delay_alu instid0(VALU_DEP_1) | instskip(SKIP_2) | instid1(VALU_DEP_2)
	v_cndmask_b32_e64 v15, 0, v182, s13
	v_lshrrev_b32_e32 v182, 23, v40
	s_mov_b32 s13, exec_lo
	v_add_nc_u32_e32 v15, v15, v40
	s_delay_alu instid0(VALU_DEP_2) | instskip(NEXT) | instid1(VALU_DEP_2)
	v_xor_b32_e32 v182, 1, v182
	v_and_b32_e32 v11, 0xfffff, v15
	s_delay_alu instid0(VALU_DEP_1) | instskip(NEXT) | instid1(VALU_DEP_3)
	v_add_nc_u32_e32 v15, v11, v40
                                        ; implicit-def: $vgpr11
	v_cmpx_ne_u32_e64 v181, v182
	s_xor_b32 s13, exec_lo, s13
; %bb.7461:                             ;   in Loop: Header=BB4_6538 Depth=3
	s_delay_alu instid0(VALU_DEP_2) | instskip(SKIP_2) | instid1(VALU_DEP_2)
	v_cmp_lt_u32_e32 vcc_lo, 0xffffff, v15
	v_sub_nc_u32_e32 v11, v181, v182
	v_cndmask_b32_e64 v181, 0, 1, vcc_lo
	v_add_co_ci_u32_e32 v11, vcc_lo, 0, v11, vcc_lo
	s_delay_alu instid0(VALU_DEP_2)
	v_lshrrev_b32_e32 v15, v181, v15
; %bb.7462:                             ;   in Loop: Header=BB4_6538 Depth=3
	s_and_not1_saveexec_b32 s13, s13
	s_cbranch_execz .LBB4_6535
; %bb.7463:                             ;   in Loop: Header=BB4_6538 Depth=3
	s_delay_alu instid0(VALU_DEP_1)
	v_bfe_u32 v11, v15, 23, 1
	s_branch .LBB4_6535
.LBB4_7464:                             ;   in Loop: Header=BB4_6538 Depth=3
	s_mov_b32 s13, -1
	s_mov_b32 s34, exec_lo
                                        ; implicit-def: $sgpr17
	v_cmpx_eq_u16_e64 0x80, v149
; %bb.7465:                             ;   in Loop: Header=BB4_6538 Depth=3
	s_mov_b32 s17, 0x7f800001
	s_xor_b32 s13, exec_lo, -1
; %bb.7466:                             ;   in Loop: Header=BB4_6538 Depth=3
	s_or_b32 exec_lo, exec_lo, s34
	s_delay_alu instid0(SALU_CYCLE_1)
	s_and_b32 s13, s13, exec_lo
                                        ; implicit-def: $vgpr149
	s_or_saveexec_b32 s31, s31
	v_mov_b32_e32 v85, s17
	s_xor_b32 exec_lo, exec_lo, s31
	s_cbranch_execz .LBB4_6541
.LBB4_7467:                             ;   in Loop: Header=BB4_6538 Depth=3
	v_cmp_ne_u16_e64 vcc_lo, 0, v149
	v_mov_b32_e32 v85, 0
	s_and_not1_b32 s13, s13, exec_lo
	s_delay_alu instid0(VALU_DEP_2) | instskip(NEXT) | instid1(SALU_CYCLE_1)
	s_and_b32 s17, vcc_lo, exec_lo
	s_or_b32 s13, s13, s17
	s_or_b32 exec_lo, exec_lo, s31
	s_and_saveexec_b32 s17, s13
	s_cbranch_execnz .LBB4_6542
	s_branch .LBB4_6543
.LBB4_7468:                             ;   in Loop: Header=BB4_6538 Depth=3
	s_mov_b32 s13, -1
	s_mov_b32 s34, exec_lo
                                        ; implicit-def: $sgpr17
	v_cmpx_eq_u16_e64 0x80, v150
; %bb.7469:                             ;   in Loop: Header=BB4_6538 Depth=3
	s_mov_b32 s17, 0x7f800001
	s_xor_b32 s13, exec_lo, -1
; %bb.7470:                             ;   in Loop: Header=BB4_6538 Depth=3
	s_or_b32 exec_lo, exec_lo, s34
	s_delay_alu instid0(SALU_CYCLE_1)
	s_and_b32 s13, s13, exec_lo
                                        ; implicit-def: $vgpr150
	s_or_saveexec_b32 s31, s31
	v_mov_b32_e32 v149, s17
	s_xor_b32 exec_lo, exec_lo, s31
	s_cbranch_execz .LBB4_6545
.LBB4_7471:                             ;   in Loop: Header=BB4_6538 Depth=3
	v_cmp_ne_u16_e64 vcc_lo, 0, v150
	v_mov_b32_e32 v149, 0
	s_and_not1_b32 s13, s13, exec_lo
	s_delay_alu instid0(VALU_DEP_2) | instskip(NEXT) | instid1(SALU_CYCLE_1)
	s_and_b32 s17, vcc_lo, exec_lo
	s_or_b32 s13, s13, s17
	s_or_b32 exec_lo, exec_lo, s31
	s_and_saveexec_b32 s17, s13
	s_cbranch_execnz .LBB4_6546
	s_branch .LBB4_6547
.LBB4_7472:                             ;   in Loop: Header=BB4_6538 Depth=3
	s_mov_b32 s13, -1
	s_mov_b32 s34, exec_lo
                                        ; implicit-def: $sgpr17
	v_cmpx_eq_u16_e64 0x80, v149
; %bb.7473:                             ;   in Loop: Header=BB4_6538 Depth=3
	s_mov_b32 s17, 0x7f800001
	s_xor_b32 s13, exec_lo, -1
; %bb.7474:                             ;   in Loop: Header=BB4_6538 Depth=3
	s_or_b32 exec_lo, exec_lo, s34
	s_delay_alu instid0(SALU_CYCLE_1)
	s_and_b32 s13, s13, exec_lo
                                        ; implicit-def: $vgpr149
	s_or_saveexec_b32 s31, s31
	v_mov_b32_e32 v85, s17
	s_xor_b32 exec_lo, exec_lo, s31
	s_cbranch_execz .LBB4_6552
.LBB4_7475:                             ;   in Loop: Header=BB4_6538 Depth=3
	v_cmp_ne_u16_e64 vcc_lo, 0, v149
	v_mov_b32_e32 v85, 0
	s_and_not1_b32 s13, s13, exec_lo
	s_delay_alu instid0(VALU_DEP_2) | instskip(NEXT) | instid1(SALU_CYCLE_1)
	s_and_b32 s17, vcc_lo, exec_lo
	s_or_b32 s13, s13, s17
	s_or_b32 exec_lo, exec_lo, s31
	s_and_saveexec_b32 s17, s13
	s_cbranch_execnz .LBB4_6553
	s_branch .LBB4_6554
.LBB4_7476:                             ;   in Loop: Header=BB4_6538 Depth=3
	s_mov_b32 s13, -1
	s_mov_b32 s34, exec_lo
                                        ; implicit-def: $sgpr17
	v_cmpx_eq_u16_e64 0x80, v150
; %bb.7477:                             ;   in Loop: Header=BB4_6538 Depth=3
	s_mov_b32 s17, 0x7f800001
	s_xor_b32 s13, exec_lo, -1
; %bb.7478:                             ;   in Loop: Header=BB4_6538 Depth=3
	s_or_b32 exec_lo, exec_lo, s34
	s_delay_alu instid0(SALU_CYCLE_1)
	s_and_b32 s13, s13, exec_lo
                                        ; implicit-def: $vgpr150
	s_or_saveexec_b32 s31, s31
	v_mov_b32_e32 v149, s17
	s_xor_b32 exec_lo, exec_lo, s31
	s_cbranch_execz .LBB4_6556
.LBB4_7479:                             ;   in Loop: Header=BB4_6538 Depth=3
	v_cmp_ne_u16_e64 vcc_lo, 0, v150
	v_mov_b32_e32 v149, 0
	s_and_not1_b32 s13, s13, exec_lo
	s_delay_alu instid0(VALU_DEP_2) | instskip(NEXT) | instid1(SALU_CYCLE_1)
	s_and_b32 s17, vcc_lo, exec_lo
	s_or_b32 s13, s13, s17
	s_or_b32 exec_lo, exec_lo, s31
	s_and_saveexec_b32 s17, s13
	s_cbranch_execnz .LBB4_6557
	s_branch .LBB4_6558
.LBB4_7480:                             ;   in Loop: Header=BB4_6538 Depth=3
	s_mov_b32 s13, -1
	s_mov_b32 s34, exec_lo
                                        ; implicit-def: $sgpr17
	v_cmpx_eq_u16_e64 0x80, v150
; %bb.7481:                             ;   in Loop: Header=BB4_6538 Depth=3
	s_mov_b32 s17, 0x7f800001
	s_xor_b32 s13, exec_lo, -1
; %bb.7482:                             ;   in Loop: Header=BB4_6538 Depth=3
	s_or_b32 exec_lo, exec_lo, s34
	s_delay_alu instid0(SALU_CYCLE_1)
	s_and_b32 s13, s13, exec_lo
	s_or_saveexec_b32 s31, s31
	v_mov_b32_e32 v151, s17
	s_xor_b32 exec_lo, exec_lo, s31
	s_cbranch_execz .LBB4_6570
.LBB4_7483:                             ;   in Loop: Header=BB4_6538 Depth=3
	v_cmp_ne_u16_e64 vcc_lo, 0, v150
	v_mov_b32_e32 v151, 0
	s_and_not1_b32 s13, s13, exec_lo
	s_delay_alu instid0(VALU_DEP_2) | instskip(NEXT) | instid1(SALU_CYCLE_1)
	s_and_b32 s17, vcc_lo, exec_lo
	s_or_b32 s13, s13, s17
	s_or_b32 exec_lo, exec_lo, s31
	s_and_saveexec_b32 s17, s13
	s_cbranch_execnz .LBB4_6571
	s_branch .LBB4_6572
.LBB4_7484:                             ;   in Loop: Header=BB4_6538 Depth=3
	s_mov_b32 s13, -1
	s_mov_b32 s34, exec_lo
                                        ; implicit-def: $sgpr17
	v_cmpx_eq_u16_e64 0x80, v149
; %bb.7485:                             ;   in Loop: Header=BB4_6538 Depth=3
	s_mov_b32 s17, 0x7f800001
	s_xor_b32 s13, exec_lo, -1
; %bb.7486:                             ;   in Loop: Header=BB4_6538 Depth=3
	s_or_b32 exec_lo, exec_lo, s34
	s_delay_alu instid0(SALU_CYCLE_1)
	s_and_b32 s13, s13, exec_lo
	s_or_saveexec_b32 s31, s31
	v_mov_b32_e32 v160, s17
	s_xor_b32 exec_lo, exec_lo, s31
	s_cbranch_execz .LBB4_6574
.LBB4_7487:                             ;   in Loop: Header=BB4_6538 Depth=3
	v_cmp_ne_u16_e64 vcc_lo, 0, v149
	v_mov_b32_e32 v160, 0
	s_and_not1_b32 s13, s13, exec_lo
	s_delay_alu instid0(VALU_DEP_2) | instskip(NEXT) | instid1(SALU_CYCLE_1)
	s_and_b32 s17, vcc_lo, exec_lo
	s_or_b32 s13, s13, s17
	s_or_b32 exec_lo, exec_lo, s31
	s_and_saveexec_b32 s17, s13
	s_cbranch_execnz .LBB4_6575
	s_branch .LBB4_6576
.LBB4_7488:                             ;   in Loop: Header=BB4_6538 Depth=3
	s_mov_b32 s13, -1
	s_mov_b32 s34, exec_lo
                                        ; implicit-def: $sgpr17
	v_cmpx_eq_u16_e64 0x80, v150
; %bb.7489:                             ;   in Loop: Header=BB4_6538 Depth=3
	s_mov_b32 s17, 0x7f800001
	s_xor_b32 s13, exec_lo, -1
; %bb.7490:                             ;   in Loop: Header=BB4_6538 Depth=3
	s_or_b32 exec_lo, exec_lo, s34
	s_delay_alu instid0(SALU_CYCLE_1)
	s_and_b32 s13, s13, exec_lo
	s_or_saveexec_b32 s31, s31
	v_mov_b32_e32 v151, s17
	s_xor_b32 exec_lo, exec_lo, s31
	s_cbranch_execz .LBB4_6581
.LBB4_7491:                             ;   in Loop: Header=BB4_6538 Depth=3
	v_cmp_ne_u16_e64 vcc_lo, 0, v150
	v_mov_b32_e32 v151, 0
	s_and_not1_b32 s13, s13, exec_lo
	s_delay_alu instid0(VALU_DEP_2) | instskip(NEXT) | instid1(SALU_CYCLE_1)
	s_and_b32 s17, vcc_lo, exec_lo
	s_or_b32 s13, s13, s17
	s_or_b32 exec_lo, exec_lo, s31
	s_and_saveexec_b32 s17, s13
	s_cbranch_execnz .LBB4_6582
	s_branch .LBB4_6583
.LBB4_7492:                             ;   in Loop: Header=BB4_6538 Depth=3
	s_mov_b32 s13, -1
	s_mov_b32 s34, exec_lo
                                        ; implicit-def: $sgpr17
	v_cmpx_eq_u16_e64 0x80, v149
; %bb.7493:                             ;   in Loop: Header=BB4_6538 Depth=3
	s_mov_b32 s17, 0x7f800001
	s_xor_b32 s13, exec_lo, -1
; %bb.7494:                             ;   in Loop: Header=BB4_6538 Depth=3
	s_or_b32 exec_lo, exec_lo, s34
	s_delay_alu instid0(SALU_CYCLE_1)
	s_and_b32 s13, s13, exec_lo
	s_or_saveexec_b32 s31, s31
	v_mov_b32_e32 v150, s17
	s_xor_b32 exec_lo, exec_lo, s31
	s_cbranch_execz .LBB4_6585
.LBB4_7495:                             ;   in Loop: Header=BB4_6538 Depth=3
	v_cmp_ne_u16_e64 vcc_lo, 0, v149
	v_mov_b32_e32 v150, 0
	s_and_not1_b32 s13, s13, exec_lo
	s_delay_alu instid0(VALU_DEP_2) | instskip(NEXT) | instid1(SALU_CYCLE_1)
	s_and_b32 s17, vcc_lo, exec_lo
	s_or_b32 s13, s13, s17
	s_or_b32 exec_lo, exec_lo, s31
	s_and_saveexec_b32 s17, s13
	s_cbranch_execnz .LBB4_6586
	s_branch .LBB4_6587
.LBB4_7496:                             ;   in Loop: Header=BB4_6538 Depth=3
	s_mov_b32 s13, -1
	s_mov_b32 s34, exec_lo
                                        ; implicit-def: $sgpr17
	v_cmpx_eq_u16_e64 0x80, v161
; %bb.7497:                             ;   in Loop: Header=BB4_6538 Depth=3
	s_mov_b32 s17, 0x7f800001
	s_xor_b32 s13, exec_lo, -1
; %bb.7498:                             ;   in Loop: Header=BB4_6538 Depth=3
	s_or_b32 exec_lo, exec_lo, s34
	s_delay_alu instid0(SALU_CYCLE_1)
	s_and_b32 s13, s13, exec_lo
                                        ; implicit-def: $vgpr161
	s_or_saveexec_b32 s31, s31
	v_mov_b32_e32 v160, s17
	s_xor_b32 exec_lo, exec_lo, s31
	s_cbranch_execz .LBB4_6599
.LBB4_7499:                             ;   in Loop: Header=BB4_6538 Depth=3
	v_cmp_ne_u16_e64 vcc_lo, 0, v161
	v_mov_b32_e32 v160, 0
	s_and_not1_b32 s13, s13, exec_lo
	s_delay_alu instid0(VALU_DEP_2) | instskip(NEXT) | instid1(SALU_CYCLE_1)
	s_and_b32 s17, vcc_lo, exec_lo
	s_or_b32 s13, s13, s17
	s_or_b32 exec_lo, exec_lo, s31
	s_and_saveexec_b32 s17, s13
	s_cbranch_execnz .LBB4_6600
	s_branch .LBB4_6601
.LBB4_7500:                             ;   in Loop: Header=BB4_6538 Depth=3
	s_mov_b32 s13, -1
	s_mov_b32 s34, exec_lo
                                        ; implicit-def: $sgpr17
	v_cmpx_eq_u16_e64 0x80, v162
; %bb.7501:                             ;   in Loop: Header=BB4_6538 Depth=3
	s_mov_b32 s17, 0x7f800001
	s_xor_b32 s13, exec_lo, -1
; %bb.7502:                             ;   in Loop: Header=BB4_6538 Depth=3
	s_or_b32 exec_lo, exec_lo, s34
	s_delay_alu instid0(SALU_CYCLE_1)
	s_and_b32 s13, s13, exec_lo
                                        ; implicit-def: $vgpr162
	s_or_saveexec_b32 s31, s31
	v_mov_b32_e32 v161, s17
	s_xor_b32 exec_lo, exec_lo, s31
	s_cbranch_execz .LBB4_6603
.LBB4_7503:                             ;   in Loop: Header=BB4_6538 Depth=3
	v_cmp_ne_u16_e64 vcc_lo, 0, v162
	v_mov_b32_e32 v161, 0
	s_and_not1_b32 s13, s13, exec_lo
	s_delay_alu instid0(VALU_DEP_2) | instskip(NEXT) | instid1(SALU_CYCLE_1)
	s_and_b32 s17, vcc_lo, exec_lo
	s_or_b32 s13, s13, s17
	s_or_b32 exec_lo, exec_lo, s31
	s_and_saveexec_b32 s17, s13
	s_cbranch_execnz .LBB4_6604
	s_branch .LBB4_6605
.LBB4_7504:                             ;   in Loop: Header=BB4_6538 Depth=3
	s_mov_b32 s13, -1
	s_mov_b32 s34, exec_lo
                                        ; implicit-def: $sgpr17
	v_cmpx_eq_u16_e64 0x80, v161
; %bb.7505:                             ;   in Loop: Header=BB4_6538 Depth=3
	s_mov_b32 s17, 0x7f800001
	s_xor_b32 s13, exec_lo, -1
; %bb.7506:                             ;   in Loop: Header=BB4_6538 Depth=3
	s_or_b32 exec_lo, exec_lo, s34
	s_delay_alu instid0(SALU_CYCLE_1)
	s_and_b32 s13, s13, exec_lo
                                        ; implicit-def: $vgpr161
	s_or_saveexec_b32 s31, s31
	v_mov_b32_e32 v160, s17
	s_xor_b32 exec_lo, exec_lo, s31
	s_cbranch_execz .LBB4_6610
.LBB4_7507:                             ;   in Loop: Header=BB4_6538 Depth=3
	v_cmp_ne_u16_e64 vcc_lo, 0, v161
	v_mov_b32_e32 v160, 0
	s_and_not1_b32 s13, s13, exec_lo
	s_delay_alu instid0(VALU_DEP_2) | instskip(NEXT) | instid1(SALU_CYCLE_1)
	s_and_b32 s17, vcc_lo, exec_lo
	s_or_b32 s13, s13, s17
	s_or_b32 exec_lo, exec_lo, s31
	s_and_saveexec_b32 s17, s13
	s_cbranch_execnz .LBB4_6611
	s_branch .LBB4_6612
.LBB4_7508:                             ;   in Loop: Header=BB4_6538 Depth=3
	s_mov_b32 s13, -1
	s_mov_b32 s34, exec_lo
                                        ; implicit-def: $sgpr17
	v_cmpx_eq_u16_e64 0x80, v161
; %bb.7509:                             ;   in Loop: Header=BB4_6538 Depth=3
	s_mov_b32 s17, 0x7f800001
	s_xor_b32 s13, exec_lo, -1
; %bb.7510:                             ;   in Loop: Header=BB4_6538 Depth=3
	s_or_b32 exec_lo, exec_lo, s34
	s_delay_alu instid0(SALU_CYCLE_1)
	s_and_b32 s13, s13, exec_lo
                                        ; implicit-def: $vgpr161
	s_or_saveexec_b32 s31, s31
	v_mov_b32_e32 v151, s17
	s_xor_b32 exec_lo, exec_lo, s31
	s_cbranch_execz .LBB4_6614
.LBB4_7511:                             ;   in Loop: Header=BB4_6538 Depth=3
	v_cmp_ne_u16_e64 vcc_lo, 0, v161
	v_mov_b32_e32 v151, 0
	s_and_not1_b32 s13, s13, exec_lo
	s_delay_alu instid0(VALU_DEP_2) | instskip(NEXT) | instid1(SALU_CYCLE_1)
	s_and_b32 s17, vcc_lo, exec_lo
	s_or_b32 s13, s13, s17
	s_or_b32 exec_lo, exec_lo, s31
	s_and_saveexec_b32 s17, s13
	s_cbranch_execnz .LBB4_6615
	s_branch .LBB4_6616
.LBB4_7512:                             ;   in Loop: Header=BB4_6538 Depth=3
	s_mov_b32 s13, -1
	s_mov_b32 s34, exec_lo
                                        ; implicit-def: $sgpr17
	v_cmpx_eq_u16_e64 0x80, v160
; %bb.7513:                             ;   in Loop: Header=BB4_6538 Depth=3
	s_mov_b32 s17, 0x7f800001
	s_xor_b32 s13, exec_lo, -1
; %bb.7514:                             ;   in Loop: Header=BB4_6538 Depth=3
	s_or_b32 exec_lo, exec_lo, s34
	s_delay_alu instid0(SALU_CYCLE_1)
	s_and_b32 s13, s13, exec_lo
	s_or_saveexec_b32 s31, s31
	v_mov_b32_e32 v161, s17
	s_xor_b32 exec_lo, exec_lo, s31
	s_cbranch_execz .LBB4_6628
.LBB4_7515:                             ;   in Loop: Header=BB4_6538 Depth=3
	v_cmp_ne_u16_e64 vcc_lo, 0, v160
	v_mov_b32_e32 v161, 0
	s_and_not1_b32 s13, s13, exec_lo
	s_delay_alu instid0(VALU_DEP_2) | instskip(NEXT) | instid1(SALU_CYCLE_1)
	s_and_b32 s17, vcc_lo, exec_lo
	s_or_b32 s13, s13, s17
	s_or_b32 exec_lo, exec_lo, s31
	s_and_saveexec_b32 s17, s13
	s_cbranch_execnz .LBB4_6629
	s_branch .LBB4_6630
.LBB4_7516:                             ;   in Loop: Header=BB4_6538 Depth=3
	s_mov_b32 s13, -1
	s_mov_b32 s34, exec_lo
                                        ; implicit-def: $sgpr17
	v_cmpx_eq_u16_e64 0x80, v151
; %bb.7517:                             ;   in Loop: Header=BB4_6538 Depth=3
	s_mov_b32 s17, 0x7f800001
	s_xor_b32 s13, exec_lo, -1
; %bb.7518:                             ;   in Loop: Header=BB4_6538 Depth=3
	s_or_b32 exec_lo, exec_lo, s34
	s_delay_alu instid0(SALU_CYCLE_1)
	s_and_b32 s13, s13, exec_lo
	s_or_saveexec_b32 s31, s31
	v_mov_b32_e32 v162, s17
	s_xor_b32 exec_lo, exec_lo, s31
	s_cbranch_execz .LBB4_6632
.LBB4_7519:                             ;   in Loop: Header=BB4_6538 Depth=3
	v_cmp_ne_u16_e64 vcc_lo, 0, v151
	v_mov_b32_e32 v162, 0
	s_and_not1_b32 s13, s13, exec_lo
	s_delay_alu instid0(VALU_DEP_2) | instskip(NEXT) | instid1(SALU_CYCLE_1)
	s_and_b32 s17, vcc_lo, exec_lo
	s_or_b32 s13, s13, s17
	s_or_b32 exec_lo, exec_lo, s31
	s_and_saveexec_b32 s17, s13
	s_cbranch_execnz .LBB4_6633
	s_branch .LBB4_6634
.LBB4_7520:                             ;   in Loop: Header=BB4_6538 Depth=3
	s_mov_b32 s13, -1
	s_mov_b32 s34, exec_lo
                                        ; implicit-def: $sgpr17
	v_cmpx_eq_u16_e64 0x80, v160
; %bb.7521:                             ;   in Loop: Header=BB4_6538 Depth=3
	s_mov_b32 s17, 0x7f800001
	s_xor_b32 s13, exec_lo, -1
; %bb.7522:                             ;   in Loop: Header=BB4_6538 Depth=3
	s_or_b32 exec_lo, exec_lo, s34
	s_delay_alu instid0(SALU_CYCLE_1)
	s_and_b32 s13, s13, exec_lo
	s_or_saveexec_b32 s31, s31
	v_mov_b32_e32 v161, s17
	s_xor_b32 exec_lo, exec_lo, s31
	s_cbranch_execz .LBB4_6639
.LBB4_7523:                             ;   in Loop: Header=BB4_6538 Depth=3
	v_cmp_ne_u16_e64 vcc_lo, 0, v160
	v_mov_b32_e32 v161, 0
	s_and_not1_b32 s13, s13, exec_lo
	s_delay_alu instid0(VALU_DEP_2) | instskip(NEXT) | instid1(SALU_CYCLE_1)
	s_and_b32 s17, vcc_lo, exec_lo
	s_or_b32 s13, s13, s17
	s_or_b32 exec_lo, exec_lo, s31
	s_and_saveexec_b32 s17, s13
	s_cbranch_execnz .LBB4_6640
	s_branch .LBB4_6641
.LBB4_7524:                             ;   in Loop: Header=BB4_6538 Depth=3
	s_mov_b32 s13, -1
	s_mov_b32 s34, exec_lo
                                        ; implicit-def: $sgpr17
	v_cmpx_eq_u16_e64 0x80, v151
; %bb.7525:                             ;   in Loop: Header=BB4_6538 Depth=3
	s_mov_b32 s17, 0x7f800001
	s_xor_b32 s13, exec_lo, -1
; %bb.7526:                             ;   in Loop: Header=BB4_6538 Depth=3
	s_or_b32 exec_lo, exec_lo, s34
	s_delay_alu instid0(SALU_CYCLE_1)
	s_and_b32 s13, s13, exec_lo
	s_or_saveexec_b32 s31, s31
	v_mov_b32_e32 v20, s17
	s_xor_b32 exec_lo, exec_lo, s31
	s_cbranch_execz .LBB4_6643
.LBB4_7527:                             ;   in Loop: Header=BB4_6538 Depth=3
	v_cmp_ne_u16_e64 vcc_lo, 0, v151
	v_mov_b32_e32 v20, 0
	s_and_not1_b32 s13, s13, exec_lo
	s_delay_alu instid0(VALU_DEP_2) | instskip(NEXT) | instid1(SALU_CYCLE_1)
	s_and_b32 s17, vcc_lo, exec_lo
	s_or_b32 s13, s13, s17
	s_or_b32 exec_lo, exec_lo, s31
	s_and_saveexec_b32 s17, s13
	s_cbranch_execnz .LBB4_6644
	s_branch .LBB4_6645
.LBB4_7528:                             ;   in Loop: Header=BB4_6538 Depth=3
	s_mov_b32 s13, -1
	s_mov_b32 s34, exec_lo
                                        ; implicit-def: $sgpr17
	v_cmpx_eq_u16_e64 0x80, v151
; %bb.7529:                             ;   in Loop: Header=BB4_6538 Depth=3
	s_mov_b32 s17, 0x7f800001
	s_xor_b32 s13, exec_lo, -1
; %bb.7530:                             ;   in Loop: Header=BB4_6538 Depth=3
	s_or_b32 exec_lo, exec_lo, s34
	s_delay_alu instid0(SALU_CYCLE_1)
	s_and_b32 s13, s13, exec_lo
                                        ; implicit-def: $vgpr151
	s_or_saveexec_b32 s31, s31
	v_mov_b32_e32 v20, s17
	s_xor_b32 exec_lo, exec_lo, s31
	s_cbranch_execz .LBB4_6657
.LBB4_7531:                             ;   in Loop: Header=BB4_6538 Depth=3
	v_cmp_ne_u16_e64 vcc_lo, 0, v151
	v_mov_b32_e32 v20, 0
	s_and_not1_b32 s13, s13, exec_lo
	s_delay_alu instid0(VALU_DEP_2) | instskip(NEXT) | instid1(SALU_CYCLE_1)
	s_and_b32 s17, vcc_lo, exec_lo
	s_or_b32 s13, s13, s17
	s_or_b32 exec_lo, exec_lo, s31
	s_and_saveexec_b32 s17, s13
	s_cbranch_execnz .LBB4_6658
	s_branch .LBB4_6659
.LBB4_7532:                             ;   in Loop: Header=BB4_6538 Depth=3
	s_mov_b32 s13, -1
	s_mov_b32 s34, exec_lo
                                        ; implicit-def: $sgpr17
	v_cmpx_eq_u16_e64 0x80, v160
; %bb.7533:                             ;   in Loop: Header=BB4_6538 Depth=3
	s_mov_b32 s17, 0x7f800001
	s_xor_b32 s13, exec_lo, -1
; %bb.7534:                             ;   in Loop: Header=BB4_6538 Depth=3
	s_or_b32 exec_lo, exec_lo, s34
	s_delay_alu instid0(SALU_CYCLE_1)
	s_and_b32 s13, s13, exec_lo
                                        ; implicit-def: $vgpr160
	s_or_saveexec_b32 s31, s31
	v_mov_b32_e32 v151, s17
	s_xor_b32 exec_lo, exec_lo, s31
	s_cbranch_execz .LBB4_6661
.LBB4_7535:                             ;   in Loop: Header=BB4_6538 Depth=3
	v_cmp_ne_u16_e64 vcc_lo, 0, v160
	v_mov_b32_e32 v151, 0
	s_and_not1_b32 s13, s13, exec_lo
	s_delay_alu instid0(VALU_DEP_2) | instskip(NEXT) | instid1(SALU_CYCLE_1)
	s_and_b32 s17, vcc_lo, exec_lo
	s_or_b32 s13, s13, s17
	s_or_b32 exec_lo, exec_lo, s31
	s_and_saveexec_b32 s17, s13
	s_cbranch_execnz .LBB4_6662
	s_branch .LBB4_6663
.LBB4_7536:                             ;   in Loop: Header=BB4_6538 Depth=3
	s_mov_b32 s13, -1
	s_mov_b32 s34, exec_lo
                                        ; implicit-def: $sgpr17
	v_cmpx_eq_u16_e64 0x80, v151
; %bb.7537:                             ;   in Loop: Header=BB4_6538 Depth=3
	s_mov_b32 s17, 0x7f800001
	s_xor_b32 s13, exec_lo, -1
; %bb.7538:                             ;   in Loop: Header=BB4_6538 Depth=3
	s_or_b32 exec_lo, exec_lo, s34
	s_delay_alu instid0(SALU_CYCLE_1)
	s_and_b32 s13, s13, exec_lo
                                        ; implicit-def: $vgpr151
	s_or_saveexec_b32 s31, s31
	v_mov_b32_e32 v20, s17
	s_xor_b32 exec_lo, exec_lo, s31
	s_cbranch_execz .LBB4_6668
.LBB4_7539:                             ;   in Loop: Header=BB4_6538 Depth=3
	v_cmp_ne_u16_e64 vcc_lo, 0, v151
	v_mov_b32_e32 v20, 0
	s_and_not1_b32 s13, s13, exec_lo
	s_delay_alu instid0(VALU_DEP_2) | instskip(NEXT) | instid1(SALU_CYCLE_1)
	s_and_b32 s17, vcc_lo, exec_lo
	s_or_b32 s13, s13, s17
	s_or_b32 exec_lo, exec_lo, s31
	s_and_saveexec_b32 s17, s13
	s_cbranch_execnz .LBB4_6669
	s_branch .LBB4_6670
.LBB4_7540:                             ;   in Loop: Header=BB4_6538 Depth=3
	s_mov_b32 s13, -1
	s_mov_b32 s34, exec_lo
                                        ; implicit-def: $sgpr17
	v_cmpx_eq_u16_e64 0x80, v160
; %bb.7541:                             ;   in Loop: Header=BB4_6538 Depth=3
	s_mov_b32 s17, 0x7f800001
	s_xor_b32 s13, exec_lo, -1
; %bb.7542:                             ;   in Loop: Header=BB4_6538 Depth=3
	s_or_b32 exec_lo, exec_lo, s34
	s_delay_alu instid0(SALU_CYCLE_1)
	s_and_b32 s13, s13, exec_lo
                                        ; implicit-def: $vgpr160
	s_or_saveexec_b32 s31, s31
	v_mov_b32_e32 v151, s17
	s_xor_b32 exec_lo, exec_lo, s31
	s_cbranch_execz .LBB4_6672
.LBB4_7543:                             ;   in Loop: Header=BB4_6538 Depth=3
	v_cmp_ne_u16_e64 vcc_lo, 0, v160
	v_mov_b32_e32 v151, 0
	s_and_not1_b32 s13, s13, exec_lo
	s_delay_alu instid0(VALU_DEP_2) | instskip(NEXT) | instid1(SALU_CYCLE_1)
	s_and_b32 s17, vcc_lo, exec_lo
	s_or_b32 s13, s13, s17
	s_or_b32 exec_lo, exec_lo, s31
	s_and_saveexec_b32 s17, s13
	s_cbranch_execnz .LBB4_6673
	s_branch .LBB4_6674
.LBB4_7544:                             ;   in Loop: Header=BB4_6538 Depth=3
	s_mov_b32 s13, -1
	s_mov_b32 s34, exec_lo
                                        ; implicit-def: $sgpr17
	v_cmpx_eq_u16_e64 0x80, v160
; %bb.7545:                             ;   in Loop: Header=BB4_6538 Depth=3
	s_mov_b32 s17, 0x7f800001
	s_xor_b32 s13, exec_lo, -1
; %bb.7546:                             ;   in Loop: Header=BB4_6538 Depth=3
	s_or_b32 exec_lo, exec_lo, s34
	s_delay_alu instid0(SALU_CYCLE_1)
	s_and_b32 s13, s13, exec_lo
	s_or_saveexec_b32 s31, s31
	v_mov_b32_e32 v161, s17
	s_xor_b32 exec_lo, exec_lo, s31
	s_cbranch_execz .LBB4_6686
.LBB4_7547:                             ;   in Loop: Header=BB4_6538 Depth=3
	v_cmp_ne_u16_e64 vcc_lo, 0, v160
	v_mov_b32_e32 v161, 0
	s_and_not1_b32 s13, s13, exec_lo
	s_delay_alu instid0(VALU_DEP_2) | instskip(NEXT) | instid1(SALU_CYCLE_1)
	s_and_b32 s17, vcc_lo, exec_lo
	s_or_b32 s13, s13, s17
	s_or_b32 exec_lo, exec_lo, s31
	s_and_saveexec_b32 s17, s13
	s_cbranch_execnz .LBB4_6687
	s_branch .LBB4_6688
.LBB4_7548:                             ;   in Loop: Header=BB4_6538 Depth=3
	s_mov_b32 s13, -1
	s_mov_b32 s34, exec_lo
                                        ; implicit-def: $sgpr17
	v_cmpx_eq_u16_e64 0x80, v151
; %bb.7549:                             ;   in Loop: Header=BB4_6538 Depth=3
	s_mov_b32 s17, 0x7f800001
	s_xor_b32 s13, exec_lo, -1
; %bb.7550:                             ;   in Loop: Header=BB4_6538 Depth=3
	s_or_b32 exec_lo, exec_lo, s34
	s_delay_alu instid0(SALU_CYCLE_1)
	s_and_b32 s13, s13, exec_lo
	s_or_saveexec_b32 s31, s31
	v_mov_b32_e32 v162, s17
	s_xor_b32 exec_lo, exec_lo, s31
	s_cbranch_execz .LBB4_6690
.LBB4_7551:                             ;   in Loop: Header=BB4_6538 Depth=3
	v_cmp_ne_u16_e64 vcc_lo, 0, v151
	v_mov_b32_e32 v162, 0
	s_and_not1_b32 s13, s13, exec_lo
	s_delay_alu instid0(VALU_DEP_2) | instskip(NEXT) | instid1(SALU_CYCLE_1)
	s_and_b32 s17, vcc_lo, exec_lo
	s_or_b32 s13, s13, s17
	s_or_b32 exec_lo, exec_lo, s31
	s_and_saveexec_b32 s17, s13
	s_cbranch_execnz .LBB4_6691
	s_branch .LBB4_6692
.LBB4_7552:                             ;   in Loop: Header=BB4_6538 Depth=3
	s_mov_b32 s13, -1
	s_mov_b32 s34, exec_lo
                                        ; implicit-def: $sgpr17
	v_cmpx_eq_u16_e64 0x80, v160
; %bb.7553:                             ;   in Loop: Header=BB4_6538 Depth=3
	s_mov_b32 s17, 0x7f800001
	s_xor_b32 s13, exec_lo, -1
; %bb.7554:                             ;   in Loop: Header=BB4_6538 Depth=3
	s_or_b32 exec_lo, exec_lo, s34
	s_delay_alu instid0(SALU_CYCLE_1)
	s_and_b32 s13, s13, exec_lo
	s_or_saveexec_b32 s31, s31
	v_mov_b32_e32 v161, s17
	s_xor_b32 exec_lo, exec_lo, s31
	s_cbranch_execz .LBB4_6697
.LBB4_7555:                             ;   in Loop: Header=BB4_6538 Depth=3
	v_cmp_ne_u16_e64 vcc_lo, 0, v160
	v_mov_b32_e32 v161, 0
	s_and_not1_b32 s13, s13, exec_lo
	s_delay_alu instid0(VALU_DEP_2) | instskip(NEXT) | instid1(SALU_CYCLE_1)
	s_and_b32 s17, vcc_lo, exec_lo
	s_or_b32 s13, s13, s17
	s_or_b32 exec_lo, exec_lo, s31
	s_and_saveexec_b32 s17, s13
	s_cbranch_execnz .LBB4_6698
	s_branch .LBB4_6699
.LBB4_7556:                             ;   in Loop: Header=BB4_6538 Depth=3
	s_mov_b32 s13, -1
	s_mov_b32 s34, exec_lo
                                        ; implicit-def: $sgpr17
	v_cmpx_eq_u16_e64 0x80, v151
; %bb.7557:                             ;   in Loop: Header=BB4_6538 Depth=3
	s_mov_b32 s17, 0x7f800001
	s_xor_b32 s13, exec_lo, -1
; %bb.7558:                             ;   in Loop: Header=BB4_6538 Depth=3
	s_or_b32 exec_lo, exec_lo, s34
	s_delay_alu instid0(SALU_CYCLE_1)
	s_and_b32 s13, s13, exec_lo
	s_or_saveexec_b32 s31, s31
	v_mov_b32_e32 v160, s17
	s_xor_b32 exec_lo, exec_lo, s31
	s_cbranch_execz .LBB4_6701
.LBB4_7559:                             ;   in Loop: Header=BB4_6538 Depth=3
	v_cmp_ne_u16_e64 vcc_lo, 0, v151
	v_mov_b32_e32 v160, 0
	s_and_not1_b32 s13, s13, exec_lo
	s_delay_alu instid0(VALU_DEP_2) | instskip(NEXT) | instid1(SALU_CYCLE_1)
	s_and_b32 s17, vcc_lo, exec_lo
	s_or_b32 s13, s13, s17
	s_or_b32 exec_lo, exec_lo, s31
	s_and_saveexec_b32 s17, s13
	s_cbranch_execnz .LBB4_6702
	s_branch .LBB4_6703
.LBB4_7560:                             ;   in Loop: Header=BB4_6538 Depth=3
	s_mov_b32 s13, -1
	s_mov_b32 s34, exec_lo
                                        ; implicit-def: $sgpr17
	v_cmpx_eq_u16_e64 0x80, v163
; %bb.7561:                             ;   in Loop: Header=BB4_6538 Depth=3
	s_mov_b32 s17, 0x7f800001
	s_xor_b32 s13, exec_lo, -1
; %bb.7562:                             ;   in Loop: Header=BB4_6538 Depth=3
	s_or_b32 exec_lo, exec_lo, s34
	s_delay_alu instid0(SALU_CYCLE_1)
	s_and_b32 s13, s13, exec_lo
                                        ; implicit-def: $vgpr163
	s_or_saveexec_b32 s31, s31
	v_mov_b32_e32 v162, s17
	s_xor_b32 exec_lo, exec_lo, s31
	s_cbranch_execz .LBB4_6715
.LBB4_7563:                             ;   in Loop: Header=BB4_6538 Depth=3
	v_cmp_ne_u16_e64 vcc_lo, 0, v163
	v_mov_b32_e32 v162, 0
	s_and_not1_b32 s13, s13, exec_lo
	s_delay_alu instid0(VALU_DEP_2) | instskip(NEXT) | instid1(SALU_CYCLE_1)
	s_and_b32 s17, vcc_lo, exec_lo
	s_or_b32 s13, s13, s17
	s_or_b32 exec_lo, exec_lo, s31
	s_and_saveexec_b32 s17, s13
	s_cbranch_execnz .LBB4_6716
	s_branch .LBB4_6717
.LBB4_7564:                             ;   in Loop: Header=BB4_6538 Depth=3
	s_mov_b32 s13, -1
	s_mov_b32 s34, exec_lo
                                        ; implicit-def: $sgpr17
	v_cmpx_eq_u16_e64 0x80, v164
; %bb.7565:                             ;   in Loop: Header=BB4_6538 Depth=3
	s_mov_b32 s17, 0x7f800001
	s_xor_b32 s13, exec_lo, -1
; %bb.7566:                             ;   in Loop: Header=BB4_6538 Depth=3
	s_or_b32 exec_lo, exec_lo, s34
	s_delay_alu instid0(SALU_CYCLE_1)
	s_and_b32 s13, s13, exec_lo
                                        ; implicit-def: $vgpr164
	s_or_saveexec_b32 s31, s31
	v_mov_b32_e32 v163, s17
	s_xor_b32 exec_lo, exec_lo, s31
	s_cbranch_execz .LBB4_6719
.LBB4_7567:                             ;   in Loop: Header=BB4_6538 Depth=3
	v_cmp_ne_u16_e64 vcc_lo, 0, v164
	v_mov_b32_e32 v163, 0
	s_and_not1_b32 s13, s13, exec_lo
	s_delay_alu instid0(VALU_DEP_2) | instskip(NEXT) | instid1(SALU_CYCLE_1)
	s_and_b32 s17, vcc_lo, exec_lo
	s_or_b32 s13, s13, s17
	s_or_b32 exec_lo, exec_lo, s31
	s_and_saveexec_b32 s17, s13
	s_cbranch_execnz .LBB4_6720
	s_branch .LBB4_6721
.LBB4_7568:                             ;   in Loop: Header=BB4_6538 Depth=3
	s_mov_b32 s13, -1
	s_mov_b32 s34, exec_lo
                                        ; implicit-def: $sgpr17
	v_cmpx_eq_u16_e64 0x80, v163
; %bb.7569:                             ;   in Loop: Header=BB4_6538 Depth=3
	s_mov_b32 s17, 0x7f800001
	s_xor_b32 s13, exec_lo, -1
; %bb.7570:                             ;   in Loop: Header=BB4_6538 Depth=3
	s_or_b32 exec_lo, exec_lo, s34
	s_delay_alu instid0(SALU_CYCLE_1)
	s_and_b32 s13, s13, exec_lo
                                        ; implicit-def: $vgpr163
	s_or_saveexec_b32 s31, s31
	v_mov_b32_e32 v162, s17
	s_xor_b32 exec_lo, exec_lo, s31
	s_cbranch_execz .LBB4_6726
.LBB4_7571:                             ;   in Loop: Header=BB4_6538 Depth=3
	v_cmp_ne_u16_e64 vcc_lo, 0, v163
	v_mov_b32_e32 v162, 0
	s_and_not1_b32 s13, s13, exec_lo
	s_delay_alu instid0(VALU_DEP_2) | instskip(NEXT) | instid1(SALU_CYCLE_1)
	s_and_b32 s17, vcc_lo, exec_lo
	s_or_b32 s13, s13, s17
	s_or_b32 exec_lo, exec_lo, s31
	s_and_saveexec_b32 s17, s13
	s_cbranch_execnz .LBB4_6727
	s_branch .LBB4_6728
.LBB4_7572:                             ;   in Loop: Header=BB4_6538 Depth=3
	s_mov_b32 s13, -1
	s_mov_b32 s34, exec_lo
                                        ; implicit-def: $sgpr17
	v_cmpx_eq_u16_e64 0x80, v163
; %bb.7573:                             ;   in Loop: Header=BB4_6538 Depth=3
	s_mov_b32 s17, 0x7f800001
	s_xor_b32 s13, exec_lo, -1
; %bb.7574:                             ;   in Loop: Header=BB4_6538 Depth=3
	s_or_b32 exec_lo, exec_lo, s34
	s_delay_alu instid0(SALU_CYCLE_1)
	s_and_b32 s13, s13, exec_lo
                                        ; implicit-def: $vgpr163
	s_or_saveexec_b32 s31, s31
	v_mov_b32_e32 v161, s17
	s_xor_b32 exec_lo, exec_lo, s31
	s_cbranch_execz .LBB4_6730
.LBB4_7575:                             ;   in Loop: Header=BB4_6538 Depth=3
	v_cmp_ne_u16_e64 vcc_lo, 0, v163
	v_mov_b32_e32 v161, 0
	s_and_not1_b32 s13, s13, exec_lo
	s_delay_alu instid0(VALU_DEP_2) | instskip(NEXT) | instid1(SALU_CYCLE_1)
	s_and_b32 s17, vcc_lo, exec_lo
	s_or_b32 s13, s13, s17
	s_or_b32 exec_lo, exec_lo, s31
	s_and_saveexec_b32 s17, s13
	s_cbranch_execnz .LBB4_6731
	s_branch .LBB4_6732
.LBB4_7576:                             ;   in Loop: Header=BB4_6538 Depth=3
	s_mov_b32 s13, -1
	s_mov_b32 s34, exec_lo
                                        ; implicit-def: $sgpr17
	v_cmpx_eq_u16_e64 0x80, v162
; %bb.7577:                             ;   in Loop: Header=BB4_6538 Depth=3
	s_mov_b32 s17, 0x7f800001
	s_xor_b32 s13, exec_lo, -1
; %bb.7578:                             ;   in Loop: Header=BB4_6538 Depth=3
	s_or_b32 exec_lo, exec_lo, s34
	s_delay_alu instid0(SALU_CYCLE_1)
	s_and_b32 s13, s13, exec_lo
	s_or_saveexec_b32 s31, s31
	v_mov_b32_e32 v163, s17
	s_xor_b32 exec_lo, exec_lo, s31
	s_cbranch_execz .LBB4_6744
.LBB4_7579:                             ;   in Loop: Header=BB4_6538 Depth=3
	v_cmp_ne_u16_e64 vcc_lo, 0, v162
	v_mov_b32_e32 v163, 0
	s_and_not1_b32 s13, s13, exec_lo
	s_delay_alu instid0(VALU_DEP_2) | instskip(NEXT) | instid1(SALU_CYCLE_1)
	s_and_b32 s17, vcc_lo, exec_lo
	s_or_b32 s13, s13, s17
	s_or_b32 exec_lo, exec_lo, s31
	s_and_saveexec_b32 s17, s13
	s_cbranch_execnz .LBB4_6745
	s_branch .LBB4_6746
.LBB4_7580:                             ;   in Loop: Header=BB4_6538 Depth=3
	s_mov_b32 s13, -1
	s_mov_b32 s34, exec_lo
                                        ; implicit-def: $sgpr17
	v_cmpx_eq_u16_e64 0x80, v161
; %bb.7581:                             ;   in Loop: Header=BB4_6538 Depth=3
	s_mov_b32 s17, 0x7f800001
	s_xor_b32 s13, exec_lo, -1
; %bb.7582:                             ;   in Loop: Header=BB4_6538 Depth=3
	s_or_b32 exec_lo, exec_lo, s34
	s_delay_alu instid0(SALU_CYCLE_1)
	s_and_b32 s13, s13, exec_lo
	s_or_saveexec_b32 s31, s31
	v_mov_b32_e32 v164, s17
	s_xor_b32 exec_lo, exec_lo, s31
	s_cbranch_execz .LBB4_6748
.LBB4_7583:                             ;   in Loop: Header=BB4_6538 Depth=3
	v_cmp_ne_u16_e64 vcc_lo, 0, v161
	v_mov_b32_e32 v164, 0
	s_and_not1_b32 s13, s13, exec_lo
	s_delay_alu instid0(VALU_DEP_2) | instskip(NEXT) | instid1(SALU_CYCLE_1)
	s_and_b32 s17, vcc_lo, exec_lo
	s_or_b32 s13, s13, s17
	s_or_b32 exec_lo, exec_lo, s31
	s_and_saveexec_b32 s17, s13
	s_cbranch_execnz .LBB4_6749
	s_branch .LBB4_6750
.LBB4_7584:                             ;   in Loop: Header=BB4_6538 Depth=3
	s_mov_b32 s13, -1
	s_mov_b32 s34, exec_lo
                                        ; implicit-def: $sgpr17
	v_cmpx_eq_u16_e64 0x80, v162
; %bb.7585:                             ;   in Loop: Header=BB4_6538 Depth=3
	s_mov_b32 s17, 0x7f800001
	s_xor_b32 s13, exec_lo, -1
; %bb.7586:                             ;   in Loop: Header=BB4_6538 Depth=3
	s_or_b32 exec_lo, exec_lo, s34
	s_delay_alu instid0(SALU_CYCLE_1)
	s_and_b32 s13, s13, exec_lo
	s_or_saveexec_b32 s31, s31
	v_mov_b32_e32 v163, s17
	s_xor_b32 exec_lo, exec_lo, s31
	s_cbranch_execz .LBB4_6755
.LBB4_7587:                             ;   in Loop: Header=BB4_6538 Depth=3
	v_cmp_ne_u16_e64 vcc_lo, 0, v162
	v_mov_b32_e32 v163, 0
	s_and_not1_b32 s13, s13, exec_lo
	s_delay_alu instid0(VALU_DEP_2) | instskip(NEXT) | instid1(SALU_CYCLE_1)
	s_and_b32 s17, vcc_lo, exec_lo
	s_or_b32 s13, s13, s17
	s_or_b32 exec_lo, exec_lo, s31
	s_and_saveexec_b32 s17, s13
	s_cbranch_execnz .LBB4_6756
	s_branch .LBB4_6757
.LBB4_7588:                             ;   in Loop: Header=BB4_6538 Depth=3
	s_mov_b32 s13, -1
	s_mov_b32 s34, exec_lo
                                        ; implicit-def: $sgpr17
	v_cmpx_eq_u16_e64 0x80, v161
; %bb.7589:                             ;   in Loop: Header=BB4_6538 Depth=3
	s_mov_b32 s17, 0x7f800001
	s_xor_b32 s13, exec_lo, -1
; %bb.7590:                             ;   in Loop: Header=BB4_6538 Depth=3
	s_or_b32 exec_lo, exec_lo, s34
	s_delay_alu instid0(SALU_CYCLE_1)
	s_and_b32 s13, s13, exec_lo
	s_or_saveexec_b32 s31, s31
	v_mov_b32_e32 v21, s17
	s_xor_b32 exec_lo, exec_lo, s31
	s_cbranch_execz .LBB4_6759
.LBB4_7591:                             ;   in Loop: Header=BB4_6538 Depth=3
	v_cmp_ne_u16_e64 vcc_lo, 0, v161
	v_mov_b32_e32 v21, 0
	s_and_not1_b32 s13, s13, exec_lo
	s_delay_alu instid0(VALU_DEP_2) | instskip(NEXT) | instid1(SALU_CYCLE_1)
	s_and_b32 s17, vcc_lo, exec_lo
	s_or_b32 s13, s13, s17
	s_or_b32 exec_lo, exec_lo, s31
	s_and_saveexec_b32 s17, s13
	s_cbranch_execnz .LBB4_6760
	s_branch .LBB4_6761
.LBB4_7592:                             ;   in Loop: Header=BB4_6538 Depth=3
	s_mov_b32 s13, -1
	s_mov_b32 s34, exec_lo
                                        ; implicit-def: $sgpr17
	v_cmpx_eq_u16_e64 0x80, v161
; %bb.7593:                             ;   in Loop: Header=BB4_6538 Depth=3
	s_mov_b32 s17, 0x7f800001
	s_xor_b32 s13, exec_lo, -1
; %bb.7594:                             ;   in Loop: Header=BB4_6538 Depth=3
	s_or_b32 exec_lo, exec_lo, s34
	s_delay_alu instid0(SALU_CYCLE_1)
	s_and_b32 s13, s13, exec_lo
                                        ; implicit-def: $vgpr161
	s_or_saveexec_b32 s31, s31
	v_mov_b32_e32 v21, s17
	s_xor_b32 exec_lo, exec_lo, s31
	s_cbranch_execz .LBB4_6773
.LBB4_7595:                             ;   in Loop: Header=BB4_6538 Depth=3
	v_cmp_ne_u16_e64 vcc_lo, 0, v161
	v_mov_b32_e32 v21, 0
	s_and_not1_b32 s13, s13, exec_lo
	s_delay_alu instid0(VALU_DEP_2) | instskip(NEXT) | instid1(SALU_CYCLE_1)
	s_and_b32 s17, vcc_lo, exec_lo
	s_or_b32 s13, s13, s17
	s_or_b32 exec_lo, exec_lo, s31
	s_and_saveexec_b32 s17, s13
	s_cbranch_execnz .LBB4_6774
	s_branch .LBB4_6775
.LBB4_7596:                             ;   in Loop: Header=BB4_6538 Depth=3
	s_mov_b32 s13, -1
	s_mov_b32 s34, exec_lo
                                        ; implicit-def: $sgpr17
	v_cmpx_eq_u16_e64 0x80, v162
; %bb.7597:                             ;   in Loop: Header=BB4_6538 Depth=3
	s_mov_b32 s17, 0x7f800001
	s_xor_b32 s13, exec_lo, -1
; %bb.7598:                             ;   in Loop: Header=BB4_6538 Depth=3
	s_or_b32 exec_lo, exec_lo, s34
	s_delay_alu instid0(SALU_CYCLE_1)
	s_and_b32 s13, s13, exec_lo
                                        ; implicit-def: $vgpr162
	s_or_saveexec_b32 s31, s31
	v_mov_b32_e32 v161, s17
	s_xor_b32 exec_lo, exec_lo, s31
	s_cbranch_execz .LBB4_6777
.LBB4_7599:                             ;   in Loop: Header=BB4_6538 Depth=3
	v_cmp_ne_u16_e64 vcc_lo, 0, v162
	v_mov_b32_e32 v161, 0
	s_and_not1_b32 s13, s13, exec_lo
	s_delay_alu instid0(VALU_DEP_2) | instskip(NEXT) | instid1(SALU_CYCLE_1)
	s_and_b32 s17, vcc_lo, exec_lo
	s_or_b32 s13, s13, s17
	s_or_b32 exec_lo, exec_lo, s31
	s_and_saveexec_b32 s17, s13
	s_cbranch_execnz .LBB4_6778
	s_branch .LBB4_6779
.LBB4_7600:                             ;   in Loop: Header=BB4_6538 Depth=3
	s_mov_b32 s13, -1
	s_mov_b32 s34, exec_lo
                                        ; implicit-def: $sgpr17
	v_cmpx_eq_u16_e64 0x80, v161
; %bb.7601:                             ;   in Loop: Header=BB4_6538 Depth=3
	s_mov_b32 s17, 0x7f800001
	s_xor_b32 s13, exec_lo, -1
; %bb.7602:                             ;   in Loop: Header=BB4_6538 Depth=3
	s_or_b32 exec_lo, exec_lo, s34
	s_delay_alu instid0(SALU_CYCLE_1)
	s_and_b32 s13, s13, exec_lo
                                        ; implicit-def: $vgpr161
	s_or_saveexec_b32 s31, s31
	v_mov_b32_e32 v21, s17
	s_xor_b32 exec_lo, exec_lo, s31
	s_cbranch_execz .LBB4_6784
.LBB4_7603:                             ;   in Loop: Header=BB4_6538 Depth=3
	v_cmp_ne_u16_e64 vcc_lo, 0, v161
	v_mov_b32_e32 v21, 0
	s_and_not1_b32 s13, s13, exec_lo
	s_delay_alu instid0(VALU_DEP_2) | instskip(NEXT) | instid1(SALU_CYCLE_1)
	s_and_b32 s17, vcc_lo, exec_lo
	s_or_b32 s13, s13, s17
	s_or_b32 exec_lo, exec_lo, s31
	s_and_saveexec_b32 s17, s13
	s_cbranch_execnz .LBB4_6785
	s_branch .LBB4_6786
.LBB4_7604:                             ;   in Loop: Header=BB4_6538 Depth=3
	s_mov_b32 s13, -1
	s_mov_b32 s34, exec_lo
                                        ; implicit-def: $sgpr17
	v_cmpx_eq_u16_e64 0x80, v162
; %bb.7605:                             ;   in Loop: Header=BB4_6538 Depth=3
	s_mov_b32 s17, 0x7f800001
	s_xor_b32 s13, exec_lo, -1
; %bb.7606:                             ;   in Loop: Header=BB4_6538 Depth=3
	s_or_b32 exec_lo, exec_lo, s34
	s_delay_alu instid0(SALU_CYCLE_1)
	s_and_b32 s13, s13, exec_lo
                                        ; implicit-def: $vgpr162
	s_or_saveexec_b32 s31, s31
	v_mov_b32_e32 v161, s17
	s_xor_b32 exec_lo, exec_lo, s31
	s_cbranch_execz .LBB4_6788
.LBB4_7607:                             ;   in Loop: Header=BB4_6538 Depth=3
	v_cmp_ne_u16_e64 vcc_lo, 0, v162
	v_mov_b32_e32 v161, 0
	s_and_not1_b32 s13, s13, exec_lo
	s_delay_alu instid0(VALU_DEP_2) | instskip(NEXT) | instid1(SALU_CYCLE_1)
	s_and_b32 s17, vcc_lo, exec_lo
	s_or_b32 s13, s13, s17
	s_or_b32 exec_lo, exec_lo, s31
	s_and_saveexec_b32 s17, s13
	s_cbranch_execnz .LBB4_6789
	s_branch .LBB4_6790
.LBB4_7608:                             ;   in Loop: Header=BB4_6538 Depth=3
	s_mov_b32 s13, -1
	s_mov_b32 s34, exec_lo
                                        ; implicit-def: $sgpr17
	v_cmpx_eq_u16_e64 0x80, v162
; %bb.7609:                             ;   in Loop: Header=BB4_6538 Depth=3
	s_mov_b32 s17, 0x7f800001
	s_xor_b32 s13, exec_lo, -1
; %bb.7610:                             ;   in Loop: Header=BB4_6538 Depth=3
	s_or_b32 exec_lo, exec_lo, s34
	s_delay_alu instid0(SALU_CYCLE_1)
	s_and_b32 s13, s13, exec_lo
	s_or_saveexec_b32 s31, s31
	v_mov_b32_e32 v163, s17
	s_xor_b32 exec_lo, exec_lo, s31
	s_cbranch_execz .LBB4_6802
.LBB4_7611:                             ;   in Loop: Header=BB4_6538 Depth=3
	v_cmp_ne_u16_e64 vcc_lo, 0, v162
	v_mov_b32_e32 v163, 0
	s_and_not1_b32 s13, s13, exec_lo
	s_delay_alu instid0(VALU_DEP_2) | instskip(NEXT) | instid1(SALU_CYCLE_1)
	s_and_b32 s17, vcc_lo, exec_lo
	s_or_b32 s13, s13, s17
	s_or_b32 exec_lo, exec_lo, s31
	s_and_saveexec_b32 s17, s13
	s_cbranch_execnz .LBB4_6803
	s_branch .LBB4_6804
.LBB4_7612:                             ;   in Loop: Header=BB4_6538 Depth=3
	s_mov_b32 s13, -1
	s_mov_b32 s34, exec_lo
                                        ; implicit-def: $sgpr17
	v_cmpx_eq_u16_e64 0x80, v161
; %bb.7613:                             ;   in Loop: Header=BB4_6538 Depth=3
	s_mov_b32 s17, 0x7f800001
	s_xor_b32 s13, exec_lo, -1
; %bb.7614:                             ;   in Loop: Header=BB4_6538 Depth=3
	s_or_b32 exec_lo, exec_lo, s34
	s_delay_alu instid0(SALU_CYCLE_1)
	s_and_b32 s13, s13, exec_lo
	s_or_saveexec_b32 s31, s31
	v_mov_b32_e32 v164, s17
	s_xor_b32 exec_lo, exec_lo, s31
	s_cbranch_execz .LBB4_6806
.LBB4_7615:                             ;   in Loop: Header=BB4_6538 Depth=3
	v_cmp_ne_u16_e64 vcc_lo, 0, v161
	v_mov_b32_e32 v164, 0
	s_and_not1_b32 s13, s13, exec_lo
	s_delay_alu instid0(VALU_DEP_2) | instskip(NEXT) | instid1(SALU_CYCLE_1)
	s_and_b32 s17, vcc_lo, exec_lo
	s_or_b32 s13, s13, s17
	s_or_b32 exec_lo, exec_lo, s31
	s_and_saveexec_b32 s17, s13
	s_cbranch_execnz .LBB4_6807
	s_branch .LBB4_6808
.LBB4_7616:                             ;   in Loop: Header=BB4_6538 Depth=3
	s_mov_b32 s13, -1
	s_mov_b32 s34, exec_lo
                                        ; implicit-def: $sgpr17
	v_cmpx_eq_u16_e64 0x80, v162
; %bb.7617:                             ;   in Loop: Header=BB4_6538 Depth=3
	s_mov_b32 s17, 0x7f800001
	s_xor_b32 s13, exec_lo, -1
; %bb.7618:                             ;   in Loop: Header=BB4_6538 Depth=3
	s_or_b32 exec_lo, exec_lo, s34
	s_delay_alu instid0(SALU_CYCLE_1)
	s_and_b32 s13, s13, exec_lo
	s_or_saveexec_b32 s31, s31
	v_mov_b32_e32 v163, s17
	s_xor_b32 exec_lo, exec_lo, s31
	s_cbranch_execz .LBB4_6813
.LBB4_7619:                             ;   in Loop: Header=BB4_6538 Depth=3
	v_cmp_ne_u16_e64 vcc_lo, 0, v162
	v_mov_b32_e32 v163, 0
	s_and_not1_b32 s13, s13, exec_lo
	s_delay_alu instid0(VALU_DEP_2) | instskip(NEXT) | instid1(SALU_CYCLE_1)
	s_and_b32 s17, vcc_lo, exec_lo
	s_or_b32 s13, s13, s17
	s_or_b32 exec_lo, exec_lo, s31
	s_and_saveexec_b32 s17, s13
	s_cbranch_execnz .LBB4_6814
	s_branch .LBB4_6815
.LBB4_7620:                             ;   in Loop: Header=BB4_6538 Depth=3
	s_mov_b32 s13, -1
	s_mov_b32 s34, exec_lo
                                        ; implicit-def: $sgpr17
	v_cmpx_eq_u16_e64 0x80, v161
; %bb.7621:                             ;   in Loop: Header=BB4_6538 Depth=3
	s_mov_b32 s17, 0x7f800001
	s_xor_b32 s13, exec_lo, -1
; %bb.7622:                             ;   in Loop: Header=BB4_6538 Depth=3
	s_or_b32 exec_lo, exec_lo, s34
	s_delay_alu instid0(SALU_CYCLE_1)
	s_and_b32 s13, s13, exec_lo
	s_or_saveexec_b32 s31, s31
	v_mov_b32_e32 v162, s17
	s_xor_b32 exec_lo, exec_lo, s31
	s_cbranch_execz .LBB4_6817
.LBB4_7623:                             ;   in Loop: Header=BB4_6538 Depth=3
	v_cmp_ne_u16_e64 vcc_lo, 0, v161
	v_mov_b32_e32 v162, 0
	s_and_not1_b32 s13, s13, exec_lo
	s_delay_alu instid0(VALU_DEP_2) | instskip(NEXT) | instid1(SALU_CYCLE_1)
	s_and_b32 s17, vcc_lo, exec_lo
	s_or_b32 s13, s13, s17
	s_or_b32 exec_lo, exec_lo, s31
	s_and_saveexec_b32 s17, s13
	s_cbranch_execnz .LBB4_6818
	s_branch .LBB4_6819
.LBB4_7624:                             ;   in Loop: Header=BB4_6538 Depth=3
	s_mov_b32 s13, -1
	s_mov_b32 s34, exec_lo
                                        ; implicit-def: $sgpr17
	v_cmpx_eq_u16_e64 0x80, v165
; %bb.7625:                             ;   in Loop: Header=BB4_6538 Depth=3
	s_mov_b32 s17, 0x7f800001
	s_xor_b32 s13, exec_lo, -1
; %bb.7626:                             ;   in Loop: Header=BB4_6538 Depth=3
	s_or_b32 exec_lo, exec_lo, s34
	s_delay_alu instid0(SALU_CYCLE_1)
	s_and_b32 s13, s13, exec_lo
                                        ; implicit-def: $vgpr165
	s_or_saveexec_b32 s31, s31
	v_mov_b32_e32 v164, s17
	s_xor_b32 exec_lo, exec_lo, s31
	s_cbranch_execz .LBB4_6831
.LBB4_7627:                             ;   in Loop: Header=BB4_6538 Depth=3
	v_cmp_ne_u16_e64 vcc_lo, 0, v165
	v_mov_b32_e32 v164, 0
	s_and_not1_b32 s13, s13, exec_lo
	s_delay_alu instid0(VALU_DEP_2) | instskip(NEXT) | instid1(SALU_CYCLE_1)
	s_and_b32 s17, vcc_lo, exec_lo
	s_or_b32 s13, s13, s17
	s_or_b32 exec_lo, exec_lo, s31
	s_and_saveexec_b32 s17, s13
	s_cbranch_execnz .LBB4_6832
	s_branch .LBB4_6833
.LBB4_7628:                             ;   in Loop: Header=BB4_6538 Depth=3
	s_mov_b32 s13, -1
	s_mov_b32 s34, exec_lo
                                        ; implicit-def: $sgpr17
	v_cmpx_eq_u16_e64 0x80, v166
; %bb.7629:                             ;   in Loop: Header=BB4_6538 Depth=3
	s_mov_b32 s17, 0x7f800001
	s_xor_b32 s13, exec_lo, -1
; %bb.7630:                             ;   in Loop: Header=BB4_6538 Depth=3
	s_or_b32 exec_lo, exec_lo, s34
	s_delay_alu instid0(SALU_CYCLE_1)
	s_and_b32 s13, s13, exec_lo
                                        ; implicit-def: $vgpr166
	s_or_saveexec_b32 s31, s31
	v_mov_b32_e32 v165, s17
	s_xor_b32 exec_lo, exec_lo, s31
	s_cbranch_execz .LBB4_6835
.LBB4_7631:                             ;   in Loop: Header=BB4_6538 Depth=3
	v_cmp_ne_u16_e64 vcc_lo, 0, v166
	v_mov_b32_e32 v165, 0
	s_and_not1_b32 s13, s13, exec_lo
	s_delay_alu instid0(VALU_DEP_2) | instskip(NEXT) | instid1(SALU_CYCLE_1)
	s_and_b32 s17, vcc_lo, exec_lo
	s_or_b32 s13, s13, s17
	s_or_b32 exec_lo, exec_lo, s31
	s_and_saveexec_b32 s17, s13
	s_cbranch_execnz .LBB4_6836
	s_branch .LBB4_6837
.LBB4_7632:                             ;   in Loop: Header=BB4_6538 Depth=3
	s_mov_b32 s13, -1
	s_mov_b32 s34, exec_lo
                                        ; implicit-def: $sgpr17
	v_cmpx_eq_u16_e64 0x80, v165
; %bb.7633:                             ;   in Loop: Header=BB4_6538 Depth=3
	s_mov_b32 s17, 0x7f800001
	s_xor_b32 s13, exec_lo, -1
; %bb.7634:                             ;   in Loop: Header=BB4_6538 Depth=3
	s_or_b32 exec_lo, exec_lo, s34
	s_delay_alu instid0(SALU_CYCLE_1)
	s_and_b32 s13, s13, exec_lo
                                        ; implicit-def: $vgpr165
	s_or_saveexec_b32 s31, s31
	v_mov_b32_e32 v164, s17
	s_xor_b32 exec_lo, exec_lo, s31
	s_cbranch_execz .LBB4_6842
.LBB4_7635:                             ;   in Loop: Header=BB4_6538 Depth=3
	v_cmp_ne_u16_e64 vcc_lo, 0, v165
	v_mov_b32_e32 v164, 0
	s_and_not1_b32 s13, s13, exec_lo
	s_delay_alu instid0(VALU_DEP_2) | instskip(NEXT) | instid1(SALU_CYCLE_1)
	s_and_b32 s17, vcc_lo, exec_lo
	s_or_b32 s13, s13, s17
	s_or_b32 exec_lo, exec_lo, s31
	s_and_saveexec_b32 s17, s13
	s_cbranch_execnz .LBB4_6843
	s_branch .LBB4_6844
.LBB4_7636:                             ;   in Loop: Header=BB4_6538 Depth=3
	s_mov_b32 s13, -1
	s_mov_b32 s34, exec_lo
                                        ; implicit-def: $sgpr17
	v_cmpx_eq_u16_e64 0x80, v165
; %bb.7637:                             ;   in Loop: Header=BB4_6538 Depth=3
	s_mov_b32 s17, 0x7f800001
	s_xor_b32 s13, exec_lo, -1
; %bb.7638:                             ;   in Loop: Header=BB4_6538 Depth=3
	s_or_b32 exec_lo, exec_lo, s34
	s_delay_alu instid0(SALU_CYCLE_1)
	s_and_b32 s13, s13, exec_lo
                                        ; implicit-def: $vgpr165
	s_or_saveexec_b32 s31, s31
	v_mov_b32_e32 v163, s17
	s_xor_b32 exec_lo, exec_lo, s31
	s_cbranch_execz .LBB4_6846
.LBB4_7639:                             ;   in Loop: Header=BB4_6538 Depth=3
	v_cmp_ne_u16_e64 vcc_lo, 0, v165
	v_mov_b32_e32 v163, 0
	s_and_not1_b32 s13, s13, exec_lo
	s_delay_alu instid0(VALU_DEP_2) | instskip(NEXT) | instid1(SALU_CYCLE_1)
	s_and_b32 s17, vcc_lo, exec_lo
	s_or_b32 s13, s13, s17
	s_or_b32 exec_lo, exec_lo, s31
	s_and_saveexec_b32 s17, s13
	s_cbranch_execnz .LBB4_6847
	s_branch .LBB4_6848
.LBB4_7640:                             ;   in Loop: Header=BB4_6538 Depth=3
	s_mov_b32 s13, -1
	s_mov_b32 s34, exec_lo
                                        ; implicit-def: $sgpr17
	v_cmpx_eq_u16_e64 0x80, v164
; %bb.7641:                             ;   in Loop: Header=BB4_6538 Depth=3
	s_mov_b32 s17, 0x7f800001
	s_xor_b32 s13, exec_lo, -1
; %bb.7642:                             ;   in Loop: Header=BB4_6538 Depth=3
	s_or_b32 exec_lo, exec_lo, s34
	s_delay_alu instid0(SALU_CYCLE_1)
	s_and_b32 s13, s13, exec_lo
	s_or_saveexec_b32 s31, s31
	v_mov_b32_e32 v165, s17
	s_xor_b32 exec_lo, exec_lo, s31
	s_cbranch_execz .LBB4_6860
.LBB4_7643:                             ;   in Loop: Header=BB4_6538 Depth=3
	v_cmp_ne_u16_e64 vcc_lo, 0, v164
	v_mov_b32_e32 v165, 0
	s_and_not1_b32 s13, s13, exec_lo
	s_delay_alu instid0(VALU_DEP_2) | instskip(NEXT) | instid1(SALU_CYCLE_1)
	s_and_b32 s17, vcc_lo, exec_lo
	s_or_b32 s13, s13, s17
	s_or_b32 exec_lo, exec_lo, s31
	s_and_saveexec_b32 s17, s13
	s_cbranch_execnz .LBB4_6861
	s_branch .LBB4_6862
.LBB4_7644:                             ;   in Loop: Header=BB4_6538 Depth=3
	s_mov_b32 s13, -1
	s_mov_b32 s34, exec_lo
                                        ; implicit-def: $sgpr17
	v_cmpx_eq_u16_e64 0x80, v163
; %bb.7645:                             ;   in Loop: Header=BB4_6538 Depth=3
	s_mov_b32 s17, 0x7f800001
	s_xor_b32 s13, exec_lo, -1
; %bb.7646:                             ;   in Loop: Header=BB4_6538 Depth=3
	s_or_b32 exec_lo, exec_lo, s34
	s_delay_alu instid0(SALU_CYCLE_1)
	s_and_b32 s13, s13, exec_lo
	s_or_saveexec_b32 s31, s31
	v_mov_b32_e32 v166, s17
	s_xor_b32 exec_lo, exec_lo, s31
	s_cbranch_execz .LBB4_6864
.LBB4_7647:                             ;   in Loop: Header=BB4_6538 Depth=3
	v_cmp_ne_u16_e64 vcc_lo, 0, v163
	v_mov_b32_e32 v166, 0
	s_and_not1_b32 s13, s13, exec_lo
	s_delay_alu instid0(VALU_DEP_2) | instskip(NEXT) | instid1(SALU_CYCLE_1)
	s_and_b32 s17, vcc_lo, exec_lo
	s_or_b32 s13, s13, s17
	s_or_b32 exec_lo, exec_lo, s31
	s_and_saveexec_b32 s17, s13
	s_cbranch_execnz .LBB4_6865
	s_branch .LBB4_6866
.LBB4_7648:                             ;   in Loop: Header=BB4_6538 Depth=3
	s_mov_b32 s13, -1
	s_mov_b32 s34, exec_lo
                                        ; implicit-def: $sgpr17
	v_cmpx_eq_u16_e64 0x80, v164
; %bb.7649:                             ;   in Loop: Header=BB4_6538 Depth=3
	s_mov_b32 s17, 0x7f800001
	s_xor_b32 s13, exec_lo, -1
; %bb.7650:                             ;   in Loop: Header=BB4_6538 Depth=3
	s_or_b32 exec_lo, exec_lo, s34
	s_delay_alu instid0(SALU_CYCLE_1)
	s_and_b32 s13, s13, exec_lo
	s_or_saveexec_b32 s31, s31
	v_mov_b32_e32 v165, s17
	s_xor_b32 exec_lo, exec_lo, s31
	s_cbranch_execz .LBB4_6871
.LBB4_7651:                             ;   in Loop: Header=BB4_6538 Depth=3
	v_cmp_ne_u16_e64 vcc_lo, 0, v164
	v_mov_b32_e32 v165, 0
	s_and_not1_b32 s13, s13, exec_lo
	s_delay_alu instid0(VALU_DEP_2) | instskip(NEXT) | instid1(SALU_CYCLE_1)
	s_and_b32 s17, vcc_lo, exec_lo
	s_or_b32 s13, s13, s17
	s_or_b32 exec_lo, exec_lo, s31
	s_and_saveexec_b32 s17, s13
	s_cbranch_execnz .LBB4_6872
	s_branch .LBB4_6873
.LBB4_7652:                             ;   in Loop: Header=BB4_6538 Depth=3
	s_mov_b32 s13, -1
	s_mov_b32 s34, exec_lo
                                        ; implicit-def: $sgpr17
	v_cmpx_eq_u16_e64 0x80, v163
; %bb.7653:                             ;   in Loop: Header=BB4_6538 Depth=3
	s_mov_b32 s17, 0x7f800001
	s_xor_b32 s13, exec_lo, -1
; %bb.7654:                             ;   in Loop: Header=BB4_6538 Depth=3
	s_or_b32 exec_lo, exec_lo, s34
	s_delay_alu instid0(SALU_CYCLE_1)
	s_and_b32 s13, s13, exec_lo
	s_or_saveexec_b32 s31, s31
	v_mov_b32_e32 v22, s17
	s_xor_b32 exec_lo, exec_lo, s31
	s_cbranch_execz .LBB4_6875
.LBB4_7655:                             ;   in Loop: Header=BB4_6538 Depth=3
	v_cmp_ne_u16_e64 vcc_lo, 0, v163
	v_mov_b32_e32 v22, 0
	s_and_not1_b32 s13, s13, exec_lo
	s_delay_alu instid0(VALU_DEP_2) | instskip(NEXT) | instid1(SALU_CYCLE_1)
	s_and_b32 s17, vcc_lo, exec_lo
	s_or_b32 s13, s13, s17
	s_or_b32 exec_lo, exec_lo, s31
	s_and_saveexec_b32 s17, s13
	s_cbranch_execnz .LBB4_6876
	s_branch .LBB4_6877
.LBB4_7656:                             ;   in Loop: Header=BB4_6538 Depth=3
	s_mov_b32 s13, -1
	s_mov_b32 s34, exec_lo
                                        ; implicit-def: $sgpr17
	v_cmpx_eq_u16_e64 0x80, v163
; %bb.7657:                             ;   in Loop: Header=BB4_6538 Depth=3
	s_mov_b32 s17, 0x7f800001
	s_xor_b32 s13, exec_lo, -1
; %bb.7658:                             ;   in Loop: Header=BB4_6538 Depth=3
	s_or_b32 exec_lo, exec_lo, s34
	s_delay_alu instid0(SALU_CYCLE_1)
	s_and_b32 s13, s13, exec_lo
                                        ; implicit-def: $vgpr163
	s_or_saveexec_b32 s31, s31
	v_mov_b32_e32 v22, s17
	s_xor_b32 exec_lo, exec_lo, s31
	s_cbranch_execz .LBB4_6889
.LBB4_7659:                             ;   in Loop: Header=BB4_6538 Depth=3
	v_cmp_ne_u16_e64 vcc_lo, 0, v163
	v_mov_b32_e32 v22, 0
	s_and_not1_b32 s13, s13, exec_lo
	s_delay_alu instid0(VALU_DEP_2) | instskip(NEXT) | instid1(SALU_CYCLE_1)
	s_and_b32 s17, vcc_lo, exec_lo
	s_or_b32 s13, s13, s17
	s_or_b32 exec_lo, exec_lo, s31
	s_and_saveexec_b32 s17, s13
	s_cbranch_execnz .LBB4_6890
	s_branch .LBB4_6891
.LBB4_7660:                             ;   in Loop: Header=BB4_6538 Depth=3
	s_mov_b32 s13, -1
	s_mov_b32 s34, exec_lo
                                        ; implicit-def: $sgpr17
	v_cmpx_eq_u16_e64 0x80, v164
; %bb.7661:                             ;   in Loop: Header=BB4_6538 Depth=3
	s_mov_b32 s17, 0x7f800001
	s_xor_b32 s13, exec_lo, -1
; %bb.7662:                             ;   in Loop: Header=BB4_6538 Depth=3
	s_or_b32 exec_lo, exec_lo, s34
	s_delay_alu instid0(SALU_CYCLE_1)
	s_and_b32 s13, s13, exec_lo
                                        ; implicit-def: $vgpr164
	s_or_saveexec_b32 s31, s31
	v_mov_b32_e32 v163, s17
	s_xor_b32 exec_lo, exec_lo, s31
	s_cbranch_execz .LBB4_6893
.LBB4_7663:                             ;   in Loop: Header=BB4_6538 Depth=3
	v_cmp_ne_u16_e64 vcc_lo, 0, v164
	v_mov_b32_e32 v163, 0
	s_and_not1_b32 s13, s13, exec_lo
	s_delay_alu instid0(VALU_DEP_2) | instskip(NEXT) | instid1(SALU_CYCLE_1)
	s_and_b32 s17, vcc_lo, exec_lo
	s_or_b32 s13, s13, s17
	s_or_b32 exec_lo, exec_lo, s31
	s_and_saveexec_b32 s17, s13
	s_cbranch_execnz .LBB4_6894
	s_branch .LBB4_6895
.LBB4_7664:                             ;   in Loop: Header=BB4_6538 Depth=3
	s_mov_b32 s13, -1
	s_mov_b32 s34, exec_lo
                                        ; implicit-def: $sgpr17
	v_cmpx_eq_u16_e64 0x80, v163
; %bb.7665:                             ;   in Loop: Header=BB4_6538 Depth=3
	s_mov_b32 s17, 0x7f800001
	s_xor_b32 s13, exec_lo, -1
; %bb.7666:                             ;   in Loop: Header=BB4_6538 Depth=3
	s_or_b32 exec_lo, exec_lo, s34
	s_delay_alu instid0(SALU_CYCLE_1)
	s_and_b32 s13, s13, exec_lo
                                        ; implicit-def: $vgpr163
	s_or_saveexec_b32 s31, s31
	v_mov_b32_e32 v22, s17
	s_xor_b32 exec_lo, exec_lo, s31
	s_cbranch_execz .LBB4_6900
.LBB4_7667:                             ;   in Loop: Header=BB4_6538 Depth=3
	v_cmp_ne_u16_e64 vcc_lo, 0, v163
	v_mov_b32_e32 v22, 0
	s_and_not1_b32 s13, s13, exec_lo
	s_delay_alu instid0(VALU_DEP_2) | instskip(NEXT) | instid1(SALU_CYCLE_1)
	s_and_b32 s17, vcc_lo, exec_lo
	s_or_b32 s13, s13, s17
	s_or_b32 exec_lo, exec_lo, s31
	s_and_saveexec_b32 s17, s13
	s_cbranch_execnz .LBB4_6901
	s_branch .LBB4_6902
.LBB4_7668:                             ;   in Loop: Header=BB4_6538 Depth=3
	s_mov_b32 s13, -1
	s_mov_b32 s34, exec_lo
                                        ; implicit-def: $sgpr17
	v_cmpx_eq_u16_e64 0x80, v164
; %bb.7669:                             ;   in Loop: Header=BB4_6538 Depth=3
	s_mov_b32 s17, 0x7f800001
	s_xor_b32 s13, exec_lo, -1
; %bb.7670:                             ;   in Loop: Header=BB4_6538 Depth=3
	s_or_b32 exec_lo, exec_lo, s34
	s_delay_alu instid0(SALU_CYCLE_1)
	s_and_b32 s13, s13, exec_lo
                                        ; implicit-def: $vgpr164
	s_or_saveexec_b32 s31, s31
	v_mov_b32_e32 v163, s17
	s_xor_b32 exec_lo, exec_lo, s31
	s_cbranch_execz .LBB4_6904
.LBB4_7671:                             ;   in Loop: Header=BB4_6538 Depth=3
	v_cmp_ne_u16_e64 vcc_lo, 0, v164
	v_mov_b32_e32 v163, 0
	s_and_not1_b32 s13, s13, exec_lo
	s_delay_alu instid0(VALU_DEP_2) | instskip(NEXT) | instid1(SALU_CYCLE_1)
	s_and_b32 s17, vcc_lo, exec_lo
	s_or_b32 s13, s13, s17
	s_or_b32 exec_lo, exec_lo, s31
	s_and_saveexec_b32 s17, s13
	s_cbranch_execnz .LBB4_6905
	s_branch .LBB4_6906
.LBB4_7672:                             ;   in Loop: Header=BB4_6538 Depth=3
	s_mov_b32 s13, -1
	s_mov_b32 s34, exec_lo
                                        ; implicit-def: $sgpr17
	v_cmpx_eq_u16_e64 0x80, v164
; %bb.7673:                             ;   in Loop: Header=BB4_6538 Depth=3
	s_mov_b32 s17, 0x7f800001
	s_xor_b32 s13, exec_lo, -1
; %bb.7674:                             ;   in Loop: Header=BB4_6538 Depth=3
	s_or_b32 exec_lo, exec_lo, s34
	s_delay_alu instid0(SALU_CYCLE_1)
	s_and_b32 s13, s13, exec_lo
	s_or_saveexec_b32 s31, s31
	v_mov_b32_e32 v165, s17
	s_xor_b32 exec_lo, exec_lo, s31
	s_cbranch_execz .LBB4_6918
.LBB4_7675:                             ;   in Loop: Header=BB4_6538 Depth=3
	v_cmp_ne_u16_e64 vcc_lo, 0, v164
	v_mov_b32_e32 v165, 0
	s_and_not1_b32 s13, s13, exec_lo
	s_delay_alu instid0(VALU_DEP_2) | instskip(NEXT) | instid1(SALU_CYCLE_1)
	s_and_b32 s17, vcc_lo, exec_lo
	s_or_b32 s13, s13, s17
	s_or_b32 exec_lo, exec_lo, s31
	s_and_saveexec_b32 s17, s13
	s_cbranch_execnz .LBB4_6919
	s_branch .LBB4_6920
.LBB4_7676:                             ;   in Loop: Header=BB4_6538 Depth=3
	s_mov_b32 s13, -1
	s_mov_b32 s34, exec_lo
                                        ; implicit-def: $sgpr17
	v_cmpx_eq_u16_e64 0x80, v163
; %bb.7677:                             ;   in Loop: Header=BB4_6538 Depth=3
	s_mov_b32 s17, 0x7f800001
	s_xor_b32 s13, exec_lo, -1
; %bb.7678:                             ;   in Loop: Header=BB4_6538 Depth=3
	s_or_b32 exec_lo, exec_lo, s34
	s_delay_alu instid0(SALU_CYCLE_1)
	s_and_b32 s13, s13, exec_lo
	s_or_saveexec_b32 s31, s31
	v_mov_b32_e32 v166, s17
	s_xor_b32 exec_lo, exec_lo, s31
	s_cbranch_execz .LBB4_6922
.LBB4_7679:                             ;   in Loop: Header=BB4_6538 Depth=3
	v_cmp_ne_u16_e64 vcc_lo, 0, v163
	v_mov_b32_e32 v166, 0
	s_and_not1_b32 s13, s13, exec_lo
	s_delay_alu instid0(VALU_DEP_2) | instskip(NEXT) | instid1(SALU_CYCLE_1)
	s_and_b32 s17, vcc_lo, exec_lo
	s_or_b32 s13, s13, s17
	s_or_b32 exec_lo, exec_lo, s31
	s_and_saveexec_b32 s17, s13
	s_cbranch_execnz .LBB4_6923
	s_branch .LBB4_6924
.LBB4_7680:                             ;   in Loop: Header=BB4_6538 Depth=3
	s_mov_b32 s13, -1
	s_mov_b32 s34, exec_lo
                                        ; implicit-def: $sgpr17
	v_cmpx_eq_u16_e64 0x80, v164
; %bb.7681:                             ;   in Loop: Header=BB4_6538 Depth=3
	s_mov_b32 s17, 0x7f800001
	s_xor_b32 s13, exec_lo, -1
; %bb.7682:                             ;   in Loop: Header=BB4_6538 Depth=3
	s_or_b32 exec_lo, exec_lo, s34
	s_delay_alu instid0(SALU_CYCLE_1)
	s_and_b32 s13, s13, exec_lo
	s_or_saveexec_b32 s31, s31
	v_mov_b32_e32 v165, s17
	s_xor_b32 exec_lo, exec_lo, s31
	s_cbranch_execz .LBB4_6929
.LBB4_7683:                             ;   in Loop: Header=BB4_6538 Depth=3
	v_cmp_ne_u16_e64 vcc_lo, 0, v164
	v_mov_b32_e32 v165, 0
	s_and_not1_b32 s13, s13, exec_lo
	s_delay_alu instid0(VALU_DEP_2) | instskip(NEXT) | instid1(SALU_CYCLE_1)
	s_and_b32 s17, vcc_lo, exec_lo
	s_or_b32 s13, s13, s17
	s_or_b32 exec_lo, exec_lo, s31
	s_and_saveexec_b32 s17, s13
	s_cbranch_execnz .LBB4_6930
	s_branch .LBB4_6931
.LBB4_7684:                             ;   in Loop: Header=BB4_6538 Depth=3
	s_mov_b32 s13, -1
	s_mov_b32 s34, exec_lo
                                        ; implicit-def: $sgpr17
	v_cmpx_eq_u16_e64 0x80, v163
; %bb.7685:                             ;   in Loop: Header=BB4_6538 Depth=3
	s_mov_b32 s17, 0x7f800001
	s_xor_b32 s13, exec_lo, -1
; %bb.7686:                             ;   in Loop: Header=BB4_6538 Depth=3
	s_or_b32 exec_lo, exec_lo, s34
	s_delay_alu instid0(SALU_CYCLE_1)
	s_and_b32 s13, s13, exec_lo
	s_or_saveexec_b32 s31, s31
	v_mov_b32_e32 v164, s17
	s_xor_b32 exec_lo, exec_lo, s31
	s_cbranch_execz .LBB4_6933
.LBB4_7687:                             ;   in Loop: Header=BB4_6538 Depth=3
	v_cmp_ne_u16_e64 vcc_lo, 0, v163
	v_mov_b32_e32 v164, 0
	s_and_not1_b32 s13, s13, exec_lo
	s_delay_alu instid0(VALU_DEP_2) | instskip(NEXT) | instid1(SALU_CYCLE_1)
	s_and_b32 s17, vcc_lo, exec_lo
	s_or_b32 s13, s13, s17
	s_or_b32 exec_lo, exec_lo, s31
	s_and_saveexec_b32 s17, s13
	s_cbranch_execnz .LBB4_6934
	s_branch .LBB4_6935
.LBB4_7688:                             ;   in Loop: Header=BB4_6538 Depth=3
	s_mov_b32 s13, -1
	s_mov_b32 s34, exec_lo
                                        ; implicit-def: $sgpr17
	v_cmpx_eq_u16_e64 0x80, v167
; %bb.7689:                             ;   in Loop: Header=BB4_6538 Depth=3
	s_mov_b32 s17, 0x7f800001
	s_xor_b32 s13, exec_lo, -1
; %bb.7690:                             ;   in Loop: Header=BB4_6538 Depth=3
	s_or_b32 exec_lo, exec_lo, s34
	s_delay_alu instid0(SALU_CYCLE_1)
	s_and_b32 s13, s13, exec_lo
                                        ; implicit-def: $vgpr167
	s_or_saveexec_b32 s31, s31
	v_mov_b32_e32 v166, s17
	s_xor_b32 exec_lo, exec_lo, s31
	s_cbranch_execz .LBB4_6947
.LBB4_7691:                             ;   in Loop: Header=BB4_6538 Depth=3
	v_cmp_ne_u16_e64 vcc_lo, 0, v167
	v_mov_b32_e32 v166, 0
	s_and_not1_b32 s13, s13, exec_lo
	s_delay_alu instid0(VALU_DEP_2) | instskip(NEXT) | instid1(SALU_CYCLE_1)
	s_and_b32 s17, vcc_lo, exec_lo
	s_or_b32 s13, s13, s17
	s_or_b32 exec_lo, exec_lo, s31
	s_and_saveexec_b32 s17, s13
	s_cbranch_execnz .LBB4_6948
	s_branch .LBB4_6949
.LBB4_7692:                             ;   in Loop: Header=BB4_6538 Depth=3
	s_mov_b32 s13, -1
	s_mov_b32 s34, exec_lo
                                        ; implicit-def: $sgpr17
	v_cmpx_eq_u16_e64 0x80, v176
; %bb.7693:                             ;   in Loop: Header=BB4_6538 Depth=3
	s_mov_b32 s17, 0x7f800001
	s_xor_b32 s13, exec_lo, -1
; %bb.7694:                             ;   in Loop: Header=BB4_6538 Depth=3
	s_or_b32 exec_lo, exec_lo, s34
	s_delay_alu instid0(SALU_CYCLE_1)
	s_and_b32 s13, s13, exec_lo
                                        ; implicit-def: $vgpr176
	s_or_saveexec_b32 s31, s31
	v_mov_b32_e32 v167, s17
	s_xor_b32 exec_lo, exec_lo, s31
	s_cbranch_execz .LBB4_6951
.LBB4_7695:                             ;   in Loop: Header=BB4_6538 Depth=3
	v_cmp_ne_u16_e64 vcc_lo, 0, v176
	v_mov_b32_e32 v167, 0
	s_and_not1_b32 s13, s13, exec_lo
	s_delay_alu instid0(VALU_DEP_2) | instskip(NEXT) | instid1(SALU_CYCLE_1)
	s_and_b32 s17, vcc_lo, exec_lo
	s_or_b32 s13, s13, s17
	s_or_b32 exec_lo, exec_lo, s31
	s_and_saveexec_b32 s17, s13
	s_cbranch_execnz .LBB4_6952
	s_branch .LBB4_6953
.LBB4_7696:                             ;   in Loop: Header=BB4_6538 Depth=3
	s_mov_b32 s13, -1
	s_mov_b32 s34, exec_lo
                                        ; implicit-def: $sgpr17
	v_cmpx_eq_u16_e64 0x80, v167
; %bb.7697:                             ;   in Loop: Header=BB4_6538 Depth=3
	s_mov_b32 s17, 0x7f800001
	s_xor_b32 s13, exec_lo, -1
; %bb.7698:                             ;   in Loop: Header=BB4_6538 Depth=3
	s_or_b32 exec_lo, exec_lo, s34
	s_delay_alu instid0(SALU_CYCLE_1)
	s_and_b32 s13, s13, exec_lo
                                        ; implicit-def: $vgpr167
	s_or_saveexec_b32 s31, s31
	v_mov_b32_e32 v166, s17
	s_xor_b32 exec_lo, exec_lo, s31
	s_cbranch_execz .LBB4_6958
.LBB4_7699:                             ;   in Loop: Header=BB4_6538 Depth=3
	v_cmp_ne_u16_e64 vcc_lo, 0, v167
	v_mov_b32_e32 v166, 0
	s_and_not1_b32 s13, s13, exec_lo
	s_delay_alu instid0(VALU_DEP_2) | instskip(NEXT) | instid1(SALU_CYCLE_1)
	s_and_b32 s17, vcc_lo, exec_lo
	s_or_b32 s13, s13, s17
	s_or_b32 exec_lo, exec_lo, s31
	s_and_saveexec_b32 s17, s13
	s_cbranch_execnz .LBB4_6959
	s_branch .LBB4_6960
.LBB4_7700:                             ;   in Loop: Header=BB4_6538 Depth=3
	s_mov_b32 s13, -1
	s_mov_b32 s34, exec_lo
                                        ; implicit-def: $sgpr17
	v_cmpx_eq_u16_e64 0x80, v167
; %bb.7701:                             ;   in Loop: Header=BB4_6538 Depth=3
	s_mov_b32 s17, 0x7f800001
	s_xor_b32 s13, exec_lo, -1
; %bb.7702:                             ;   in Loop: Header=BB4_6538 Depth=3
	s_or_b32 exec_lo, exec_lo, s34
	s_delay_alu instid0(SALU_CYCLE_1)
	s_and_b32 s13, s13, exec_lo
                                        ; implicit-def: $vgpr167
	s_or_saveexec_b32 s31, s31
	v_mov_b32_e32 v165, s17
	s_xor_b32 exec_lo, exec_lo, s31
	s_cbranch_execz .LBB4_6962
.LBB4_7703:                             ;   in Loop: Header=BB4_6538 Depth=3
	v_cmp_ne_u16_e64 vcc_lo, 0, v167
	v_mov_b32_e32 v165, 0
	s_and_not1_b32 s13, s13, exec_lo
	s_delay_alu instid0(VALU_DEP_2) | instskip(NEXT) | instid1(SALU_CYCLE_1)
	s_and_b32 s17, vcc_lo, exec_lo
	s_or_b32 s13, s13, s17
	s_or_b32 exec_lo, exec_lo, s31
	s_and_saveexec_b32 s17, s13
	s_cbranch_execnz .LBB4_6963
	s_branch .LBB4_6964
.LBB4_7704:                             ;   in Loop: Header=BB4_6538 Depth=3
	s_mov_b32 s13, -1
	s_mov_b32 s34, exec_lo
                                        ; implicit-def: $sgpr17
	v_cmpx_eq_u16_e64 0x80, v166
; %bb.7705:                             ;   in Loop: Header=BB4_6538 Depth=3
	s_mov_b32 s17, 0x7f800001
	s_xor_b32 s13, exec_lo, -1
; %bb.7706:                             ;   in Loop: Header=BB4_6538 Depth=3
	s_or_b32 exec_lo, exec_lo, s34
	s_delay_alu instid0(SALU_CYCLE_1)
	s_and_b32 s13, s13, exec_lo
	s_or_saveexec_b32 s31, s31
	v_mov_b32_e32 v167, s17
	s_xor_b32 exec_lo, exec_lo, s31
	s_cbranch_execz .LBB4_6976
.LBB4_7707:                             ;   in Loop: Header=BB4_6538 Depth=3
	v_cmp_ne_u16_e64 vcc_lo, 0, v166
	v_mov_b32_e32 v167, 0
	s_and_not1_b32 s13, s13, exec_lo
	s_delay_alu instid0(VALU_DEP_2) | instskip(NEXT) | instid1(SALU_CYCLE_1)
	s_and_b32 s17, vcc_lo, exec_lo
	s_or_b32 s13, s13, s17
	s_or_b32 exec_lo, exec_lo, s31
	s_and_saveexec_b32 s17, s13
	s_cbranch_execnz .LBB4_6977
	s_branch .LBB4_6978
.LBB4_7708:                             ;   in Loop: Header=BB4_6538 Depth=3
	s_mov_b32 s13, -1
	s_mov_b32 s34, exec_lo
                                        ; implicit-def: $sgpr17
	v_cmpx_eq_u16_e64 0x80, v165
; %bb.7709:                             ;   in Loop: Header=BB4_6538 Depth=3
	s_mov_b32 s17, 0x7f800001
	s_xor_b32 s13, exec_lo, -1
; %bb.7710:                             ;   in Loop: Header=BB4_6538 Depth=3
	s_or_b32 exec_lo, exec_lo, s34
	s_delay_alu instid0(SALU_CYCLE_1)
	s_and_b32 s13, s13, exec_lo
	s_or_saveexec_b32 s31, s31
	v_mov_b32_e32 v176, s17
	s_xor_b32 exec_lo, exec_lo, s31
	s_cbranch_execz .LBB4_6980
.LBB4_7711:                             ;   in Loop: Header=BB4_6538 Depth=3
	v_cmp_ne_u16_e64 vcc_lo, 0, v165
	v_mov_b32_e32 v176, 0
	s_and_not1_b32 s13, s13, exec_lo
	s_delay_alu instid0(VALU_DEP_2) | instskip(NEXT) | instid1(SALU_CYCLE_1)
	s_and_b32 s17, vcc_lo, exec_lo
	s_or_b32 s13, s13, s17
	s_or_b32 exec_lo, exec_lo, s31
	s_and_saveexec_b32 s17, s13
	s_cbranch_execnz .LBB4_6981
	s_branch .LBB4_6982
.LBB4_7712:                             ;   in Loop: Header=BB4_6538 Depth=3
	s_mov_b32 s13, -1
	s_mov_b32 s34, exec_lo
                                        ; implicit-def: $sgpr17
	v_cmpx_eq_u16_e64 0x80, v166
; %bb.7713:                             ;   in Loop: Header=BB4_6538 Depth=3
	s_mov_b32 s17, 0x7f800001
	s_xor_b32 s13, exec_lo, -1
; %bb.7714:                             ;   in Loop: Header=BB4_6538 Depth=3
	s_or_b32 exec_lo, exec_lo, s34
	s_delay_alu instid0(SALU_CYCLE_1)
	s_and_b32 s13, s13, exec_lo
	s_or_saveexec_b32 s31, s31
	v_mov_b32_e32 v167, s17
	s_xor_b32 exec_lo, exec_lo, s31
	s_cbranch_execz .LBB4_6987
.LBB4_7715:                             ;   in Loop: Header=BB4_6538 Depth=3
	v_cmp_ne_u16_e64 vcc_lo, 0, v166
	v_mov_b32_e32 v167, 0
	s_and_not1_b32 s13, s13, exec_lo
	s_delay_alu instid0(VALU_DEP_2) | instskip(NEXT) | instid1(SALU_CYCLE_1)
	s_and_b32 s17, vcc_lo, exec_lo
	s_or_b32 s13, s13, s17
	s_or_b32 exec_lo, exec_lo, s31
	s_and_saveexec_b32 s17, s13
	s_cbranch_execnz .LBB4_6988
	s_branch .LBB4_6989
.LBB4_7716:                             ;   in Loop: Header=BB4_6538 Depth=3
	s_mov_b32 s13, -1
	s_mov_b32 s34, exec_lo
                                        ; implicit-def: $sgpr17
	v_cmpx_eq_u16_e64 0x80, v165
; %bb.7717:                             ;   in Loop: Header=BB4_6538 Depth=3
	s_mov_b32 s17, 0x7f800001
	s_xor_b32 s13, exec_lo, -1
; %bb.7718:                             ;   in Loop: Header=BB4_6538 Depth=3
	s_or_b32 exec_lo, exec_lo, s34
	s_delay_alu instid0(SALU_CYCLE_1)
	s_and_b32 s13, s13, exec_lo
	s_or_saveexec_b32 s31, s31
	v_mov_b32_e32 v23, s17
	s_xor_b32 exec_lo, exec_lo, s31
	s_cbranch_execz .LBB4_6991
.LBB4_7719:                             ;   in Loop: Header=BB4_6538 Depth=3
	v_cmp_ne_u16_e64 vcc_lo, 0, v165
	v_mov_b32_e32 v23, 0
	s_and_not1_b32 s13, s13, exec_lo
	s_delay_alu instid0(VALU_DEP_2) | instskip(NEXT) | instid1(SALU_CYCLE_1)
	s_and_b32 s17, vcc_lo, exec_lo
	s_or_b32 s13, s13, s17
	s_or_b32 exec_lo, exec_lo, s31
	s_and_saveexec_b32 s17, s13
	s_cbranch_execnz .LBB4_6992
	s_branch .LBB4_6993
.LBB4_7720:                             ;   in Loop: Header=BB4_6538 Depth=3
	s_mov_b32 s13, -1
	s_mov_b32 s34, exec_lo
                                        ; implicit-def: $sgpr17
	v_cmpx_eq_u16_e64 0x80, v165
; %bb.7721:                             ;   in Loop: Header=BB4_6538 Depth=3
	s_mov_b32 s17, 0x7f800001
	s_xor_b32 s13, exec_lo, -1
; %bb.7722:                             ;   in Loop: Header=BB4_6538 Depth=3
	s_or_b32 exec_lo, exec_lo, s34
	s_delay_alu instid0(SALU_CYCLE_1)
	s_and_b32 s13, s13, exec_lo
                                        ; implicit-def: $vgpr165
	s_or_saveexec_b32 s31, s31
	v_mov_b32_e32 v23, s17
	s_xor_b32 exec_lo, exec_lo, s31
	s_cbranch_execz .LBB4_7005
.LBB4_7723:                             ;   in Loop: Header=BB4_6538 Depth=3
	v_cmp_ne_u16_e64 vcc_lo, 0, v165
	v_mov_b32_e32 v23, 0
	s_and_not1_b32 s13, s13, exec_lo
	s_delay_alu instid0(VALU_DEP_2) | instskip(NEXT) | instid1(SALU_CYCLE_1)
	s_and_b32 s17, vcc_lo, exec_lo
	s_or_b32 s13, s13, s17
	s_or_b32 exec_lo, exec_lo, s31
	s_and_saveexec_b32 s17, s13
	s_cbranch_execnz .LBB4_7006
	s_branch .LBB4_7007
.LBB4_7724:                             ;   in Loop: Header=BB4_6538 Depth=3
	s_mov_b32 s13, -1
	s_mov_b32 s34, exec_lo
                                        ; implicit-def: $sgpr17
	v_cmpx_eq_u16_e64 0x80, v166
; %bb.7725:                             ;   in Loop: Header=BB4_6538 Depth=3
	s_mov_b32 s17, 0x7f800001
	s_xor_b32 s13, exec_lo, -1
; %bb.7726:                             ;   in Loop: Header=BB4_6538 Depth=3
	s_or_b32 exec_lo, exec_lo, s34
	s_delay_alu instid0(SALU_CYCLE_1)
	s_and_b32 s13, s13, exec_lo
                                        ; implicit-def: $vgpr166
	s_or_saveexec_b32 s31, s31
	v_mov_b32_e32 v165, s17
	s_xor_b32 exec_lo, exec_lo, s31
	s_cbranch_execz .LBB4_7009
.LBB4_7727:                             ;   in Loop: Header=BB4_6538 Depth=3
	v_cmp_ne_u16_e64 vcc_lo, 0, v166
	v_mov_b32_e32 v165, 0
	s_and_not1_b32 s13, s13, exec_lo
	s_delay_alu instid0(VALU_DEP_2) | instskip(NEXT) | instid1(SALU_CYCLE_1)
	s_and_b32 s17, vcc_lo, exec_lo
	s_or_b32 s13, s13, s17
	s_or_b32 exec_lo, exec_lo, s31
	s_and_saveexec_b32 s17, s13
	s_cbranch_execnz .LBB4_7010
	s_branch .LBB4_7011
.LBB4_7728:                             ;   in Loop: Header=BB4_6538 Depth=3
	s_mov_b32 s13, -1
	s_mov_b32 s34, exec_lo
                                        ; implicit-def: $sgpr17
	v_cmpx_eq_u16_e64 0x80, v165
; %bb.7729:                             ;   in Loop: Header=BB4_6538 Depth=3
	s_mov_b32 s17, 0x7f800001
	s_xor_b32 s13, exec_lo, -1
; %bb.7730:                             ;   in Loop: Header=BB4_6538 Depth=3
	s_or_b32 exec_lo, exec_lo, s34
	s_delay_alu instid0(SALU_CYCLE_1)
	s_and_b32 s13, s13, exec_lo
                                        ; implicit-def: $vgpr165
	s_or_saveexec_b32 s31, s31
	v_mov_b32_e32 v23, s17
	s_xor_b32 exec_lo, exec_lo, s31
	s_cbranch_execz .LBB4_7016
.LBB4_7731:                             ;   in Loop: Header=BB4_6538 Depth=3
	v_cmp_ne_u16_e64 vcc_lo, 0, v165
	v_mov_b32_e32 v23, 0
	s_and_not1_b32 s13, s13, exec_lo
	s_delay_alu instid0(VALU_DEP_2) | instskip(NEXT) | instid1(SALU_CYCLE_1)
	s_and_b32 s17, vcc_lo, exec_lo
	s_or_b32 s13, s13, s17
	s_or_b32 exec_lo, exec_lo, s31
	s_and_saveexec_b32 s17, s13
	s_cbranch_execnz .LBB4_7017
	s_branch .LBB4_7018
.LBB4_7732:                             ;   in Loop: Header=BB4_6538 Depth=3
	s_mov_b32 s13, -1
	s_mov_b32 s34, exec_lo
                                        ; implicit-def: $sgpr17
	v_cmpx_eq_u16_e64 0x80, v166
; %bb.7733:                             ;   in Loop: Header=BB4_6538 Depth=3
	s_mov_b32 s17, 0x7f800001
	s_xor_b32 s13, exec_lo, -1
; %bb.7734:                             ;   in Loop: Header=BB4_6538 Depth=3
	s_or_b32 exec_lo, exec_lo, s34
	s_delay_alu instid0(SALU_CYCLE_1)
	s_and_b32 s13, s13, exec_lo
                                        ; implicit-def: $vgpr166
	s_or_saveexec_b32 s31, s31
	v_mov_b32_e32 v165, s17
	s_xor_b32 exec_lo, exec_lo, s31
	s_cbranch_execz .LBB4_7020
.LBB4_7735:                             ;   in Loop: Header=BB4_6538 Depth=3
	v_cmp_ne_u16_e64 vcc_lo, 0, v166
	v_mov_b32_e32 v165, 0
	s_and_not1_b32 s13, s13, exec_lo
	s_delay_alu instid0(VALU_DEP_2) | instskip(NEXT) | instid1(SALU_CYCLE_1)
	s_and_b32 s17, vcc_lo, exec_lo
	s_or_b32 s13, s13, s17
	s_or_b32 exec_lo, exec_lo, s31
	s_and_saveexec_b32 s17, s13
	s_cbranch_execnz .LBB4_7021
	s_branch .LBB4_7022
.LBB4_7736:                             ;   in Loop: Header=BB4_6538 Depth=3
	s_mov_b32 s13, -1
	s_mov_b32 s34, exec_lo
                                        ; implicit-def: $sgpr17
	v_cmpx_eq_u16_e64 0x80, v166
; %bb.7737:                             ;   in Loop: Header=BB4_6538 Depth=3
	s_mov_b32 s17, 0x7f800001
	s_xor_b32 s13, exec_lo, -1
; %bb.7738:                             ;   in Loop: Header=BB4_6538 Depth=3
	s_or_b32 exec_lo, exec_lo, s34
	s_delay_alu instid0(SALU_CYCLE_1)
	s_and_b32 s13, s13, exec_lo
	s_or_saveexec_b32 s31, s31
	v_mov_b32_e32 v167, s17
	s_xor_b32 exec_lo, exec_lo, s31
	s_cbranch_execz .LBB4_7034
.LBB4_7739:                             ;   in Loop: Header=BB4_6538 Depth=3
	v_cmp_ne_u16_e64 vcc_lo, 0, v166
	v_mov_b32_e32 v167, 0
	s_and_not1_b32 s13, s13, exec_lo
	s_delay_alu instid0(VALU_DEP_2) | instskip(NEXT) | instid1(SALU_CYCLE_1)
	s_and_b32 s17, vcc_lo, exec_lo
	s_or_b32 s13, s13, s17
	s_or_b32 exec_lo, exec_lo, s31
	s_and_saveexec_b32 s17, s13
	s_cbranch_execnz .LBB4_7035
	s_branch .LBB4_7036
.LBB4_7740:                             ;   in Loop: Header=BB4_6538 Depth=3
	s_mov_b32 s13, -1
	s_mov_b32 s34, exec_lo
                                        ; implicit-def: $sgpr17
	v_cmpx_eq_u16_e64 0x80, v165
; %bb.7741:                             ;   in Loop: Header=BB4_6538 Depth=3
	s_mov_b32 s17, 0x7f800001
	s_xor_b32 s13, exec_lo, -1
; %bb.7742:                             ;   in Loop: Header=BB4_6538 Depth=3
	s_or_b32 exec_lo, exec_lo, s34
	s_delay_alu instid0(SALU_CYCLE_1)
	s_and_b32 s13, s13, exec_lo
	s_or_saveexec_b32 s31, s31
	v_mov_b32_e32 v176, s17
	s_xor_b32 exec_lo, exec_lo, s31
	s_cbranch_execz .LBB4_7038
.LBB4_7743:                             ;   in Loop: Header=BB4_6538 Depth=3
	v_cmp_ne_u16_e64 vcc_lo, 0, v165
	v_mov_b32_e32 v176, 0
	s_and_not1_b32 s13, s13, exec_lo
	s_delay_alu instid0(VALU_DEP_2) | instskip(NEXT) | instid1(SALU_CYCLE_1)
	s_and_b32 s17, vcc_lo, exec_lo
	s_or_b32 s13, s13, s17
	s_or_b32 exec_lo, exec_lo, s31
	s_and_saveexec_b32 s17, s13
	s_cbranch_execnz .LBB4_7039
	s_branch .LBB4_7040
.LBB4_7744:                             ;   in Loop: Header=BB4_6538 Depth=3
	s_mov_b32 s13, -1
	s_mov_b32 s34, exec_lo
                                        ; implicit-def: $sgpr17
	v_cmpx_eq_u16_e64 0x80, v166
; %bb.7745:                             ;   in Loop: Header=BB4_6538 Depth=3
	s_mov_b32 s17, 0x7f800001
	s_xor_b32 s13, exec_lo, -1
; %bb.7746:                             ;   in Loop: Header=BB4_6538 Depth=3
	s_or_b32 exec_lo, exec_lo, s34
	s_delay_alu instid0(SALU_CYCLE_1)
	s_and_b32 s13, s13, exec_lo
	s_or_saveexec_b32 s31, s31
	v_mov_b32_e32 v167, s17
	s_xor_b32 exec_lo, exec_lo, s31
	s_cbranch_execz .LBB4_7045
.LBB4_7747:                             ;   in Loop: Header=BB4_6538 Depth=3
	v_cmp_ne_u16_e64 vcc_lo, 0, v166
	v_mov_b32_e32 v167, 0
	s_and_not1_b32 s13, s13, exec_lo
	s_delay_alu instid0(VALU_DEP_2) | instskip(NEXT) | instid1(SALU_CYCLE_1)
	s_and_b32 s17, vcc_lo, exec_lo
	s_or_b32 s13, s13, s17
	s_or_b32 exec_lo, exec_lo, s31
	s_and_saveexec_b32 s17, s13
	s_cbranch_execnz .LBB4_7046
	s_branch .LBB4_7047
.LBB4_7748:                             ;   in Loop: Header=BB4_6538 Depth=3
	s_mov_b32 s13, -1
	s_mov_b32 s34, exec_lo
                                        ; implicit-def: $sgpr17
	v_cmpx_eq_u16_e64 0x80, v165
; %bb.7749:                             ;   in Loop: Header=BB4_6538 Depth=3
	s_mov_b32 s17, 0x7f800001
	s_xor_b32 s13, exec_lo, -1
; %bb.7750:                             ;   in Loop: Header=BB4_6538 Depth=3
	s_or_b32 exec_lo, exec_lo, s34
	s_delay_alu instid0(SALU_CYCLE_1)
	s_and_b32 s13, s13, exec_lo
	s_or_saveexec_b32 s31, s31
	v_mov_b32_e32 v166, s17
	s_xor_b32 exec_lo, exec_lo, s31
	s_cbranch_execz .LBB4_7049
.LBB4_7751:                             ;   in Loop: Header=BB4_6538 Depth=3
	v_cmp_ne_u16_e64 vcc_lo, 0, v165
	v_mov_b32_e32 v166, 0
	s_and_not1_b32 s13, s13, exec_lo
	s_delay_alu instid0(VALU_DEP_2) | instskip(NEXT) | instid1(SALU_CYCLE_1)
	s_and_b32 s17, vcc_lo, exec_lo
	s_or_b32 s13, s13, s17
	s_or_b32 exec_lo, exec_lo, s31
	s_and_saveexec_b32 s17, s13
	s_cbranch_execnz .LBB4_7050
	s_branch .LBB4_7051
.LBB4_7752:                             ;   in Loop: Header=BB4_6538 Depth=3
	s_mov_b32 s13, -1
	s_mov_b32 s34, exec_lo
                                        ; implicit-def: $sgpr17
	v_cmpx_eq_u16_e64 0x80, v177
; %bb.7753:                             ;   in Loop: Header=BB4_6538 Depth=3
	s_mov_b32 s17, 0x7f800001
	s_xor_b32 s13, exec_lo, -1
; %bb.7754:                             ;   in Loop: Header=BB4_6538 Depth=3
	s_or_b32 exec_lo, exec_lo, s34
	s_delay_alu instid0(SALU_CYCLE_1)
	s_and_b32 s13, s13, exec_lo
                                        ; implicit-def: $vgpr177
	s_or_saveexec_b32 s31, s31
	v_mov_b32_e32 v176, s17
	s_xor_b32 exec_lo, exec_lo, s31
	s_cbranch_execz .LBB4_7063
.LBB4_7755:                             ;   in Loop: Header=BB4_6538 Depth=3
	v_cmp_ne_u16_e64 vcc_lo, 0, v177
	v_mov_b32_e32 v176, 0
	s_and_not1_b32 s13, s13, exec_lo
	s_delay_alu instid0(VALU_DEP_2) | instskip(NEXT) | instid1(SALU_CYCLE_1)
	s_and_b32 s17, vcc_lo, exec_lo
	s_or_b32 s13, s13, s17
	s_or_b32 exec_lo, exec_lo, s31
	s_and_saveexec_b32 s17, s13
	s_cbranch_execnz .LBB4_7064
	s_branch .LBB4_7065
.LBB4_7756:                             ;   in Loop: Header=BB4_6538 Depth=3
	s_mov_b32 s13, -1
	s_mov_b32 s34, exec_lo
                                        ; implicit-def: $sgpr17
	v_cmpx_eq_u16_e64 0x80, v178
; %bb.7757:                             ;   in Loop: Header=BB4_6538 Depth=3
	s_mov_b32 s17, 0x7f800001
	s_xor_b32 s13, exec_lo, -1
; %bb.7758:                             ;   in Loop: Header=BB4_6538 Depth=3
	s_or_b32 exec_lo, exec_lo, s34
	s_delay_alu instid0(SALU_CYCLE_1)
	s_and_b32 s13, s13, exec_lo
                                        ; implicit-def: $vgpr178
	s_or_saveexec_b32 s31, s31
	v_mov_b32_e32 v177, s17
	s_xor_b32 exec_lo, exec_lo, s31
	s_cbranch_execz .LBB4_7067
.LBB4_7759:                             ;   in Loop: Header=BB4_6538 Depth=3
	v_cmp_ne_u16_e64 vcc_lo, 0, v178
	v_mov_b32_e32 v177, 0
	s_and_not1_b32 s13, s13, exec_lo
	s_delay_alu instid0(VALU_DEP_2) | instskip(NEXT) | instid1(SALU_CYCLE_1)
	s_and_b32 s17, vcc_lo, exec_lo
	s_or_b32 s13, s13, s17
	s_or_b32 exec_lo, exec_lo, s31
	s_and_saveexec_b32 s17, s13
	s_cbranch_execnz .LBB4_7068
	s_branch .LBB4_7069
.LBB4_7760:                             ;   in Loop: Header=BB4_6538 Depth=3
	s_mov_b32 s13, -1
	s_mov_b32 s34, exec_lo
                                        ; implicit-def: $sgpr17
	v_cmpx_eq_u16_e64 0x80, v177
; %bb.7761:                             ;   in Loop: Header=BB4_6538 Depth=3
	s_mov_b32 s17, 0x7f800001
	s_xor_b32 s13, exec_lo, -1
; %bb.7762:                             ;   in Loop: Header=BB4_6538 Depth=3
	s_or_b32 exec_lo, exec_lo, s34
	s_delay_alu instid0(SALU_CYCLE_1)
	s_and_b32 s13, s13, exec_lo
                                        ; implicit-def: $vgpr177
	s_or_saveexec_b32 s31, s31
	v_mov_b32_e32 v176, s17
	s_xor_b32 exec_lo, exec_lo, s31
	s_cbranch_execz .LBB4_7074
.LBB4_7763:                             ;   in Loop: Header=BB4_6538 Depth=3
	v_cmp_ne_u16_e64 vcc_lo, 0, v177
	v_mov_b32_e32 v176, 0
	s_and_not1_b32 s13, s13, exec_lo
	s_delay_alu instid0(VALU_DEP_2) | instskip(NEXT) | instid1(SALU_CYCLE_1)
	s_and_b32 s17, vcc_lo, exec_lo
	s_or_b32 s13, s13, s17
	s_or_b32 exec_lo, exec_lo, s31
	s_and_saveexec_b32 s17, s13
	s_cbranch_execnz .LBB4_7075
	s_branch .LBB4_7076
.LBB4_7764:                             ;   in Loop: Header=BB4_6538 Depth=3
	s_mov_b32 s13, -1
	s_mov_b32 s34, exec_lo
                                        ; implicit-def: $sgpr17
	v_cmpx_eq_u16_e64 0x80, v177
; %bb.7765:                             ;   in Loop: Header=BB4_6538 Depth=3
	s_mov_b32 s17, 0x7f800001
	s_xor_b32 s13, exec_lo, -1
; %bb.7766:                             ;   in Loop: Header=BB4_6538 Depth=3
	s_or_b32 exec_lo, exec_lo, s34
	s_delay_alu instid0(SALU_CYCLE_1)
	s_and_b32 s13, s13, exec_lo
                                        ; implicit-def: $vgpr177
	s_or_saveexec_b32 s31, s31
	v_mov_b32_e32 v167, s17
	s_xor_b32 exec_lo, exec_lo, s31
	s_cbranch_execz .LBB4_7078
.LBB4_7767:                             ;   in Loop: Header=BB4_6538 Depth=3
	v_cmp_ne_u16_e64 vcc_lo, 0, v177
	v_mov_b32_e32 v167, 0
	s_and_not1_b32 s13, s13, exec_lo
	s_delay_alu instid0(VALU_DEP_2) | instskip(NEXT) | instid1(SALU_CYCLE_1)
	s_and_b32 s17, vcc_lo, exec_lo
	s_or_b32 s13, s13, s17
	s_or_b32 exec_lo, exec_lo, s31
	s_and_saveexec_b32 s17, s13
	s_cbranch_execnz .LBB4_7079
	s_branch .LBB4_7080
.LBB4_7768:                             ;   in Loop: Header=BB4_6538 Depth=3
	s_mov_b32 s13, -1
	s_mov_b32 s34, exec_lo
                                        ; implicit-def: $sgpr17
	v_cmpx_eq_u16_e64 0x80, v176
; %bb.7769:                             ;   in Loop: Header=BB4_6538 Depth=3
	s_mov_b32 s17, 0x7f800001
	s_xor_b32 s13, exec_lo, -1
; %bb.7770:                             ;   in Loop: Header=BB4_6538 Depth=3
	s_or_b32 exec_lo, exec_lo, s34
	s_delay_alu instid0(SALU_CYCLE_1)
	s_and_b32 s13, s13, exec_lo
	s_or_saveexec_b32 s31, s31
	v_mov_b32_e32 v177, s17
	s_xor_b32 exec_lo, exec_lo, s31
	s_cbranch_execz .LBB4_7092
.LBB4_7771:                             ;   in Loop: Header=BB4_6538 Depth=3
	v_cmp_ne_u16_e64 vcc_lo, 0, v176
	v_mov_b32_e32 v177, 0
	s_and_not1_b32 s13, s13, exec_lo
	s_delay_alu instid0(VALU_DEP_2) | instskip(NEXT) | instid1(SALU_CYCLE_1)
	s_and_b32 s17, vcc_lo, exec_lo
	s_or_b32 s13, s13, s17
	s_or_b32 exec_lo, exec_lo, s31
	s_and_saveexec_b32 s17, s13
	s_cbranch_execnz .LBB4_7093
	s_branch .LBB4_7094
.LBB4_7772:                             ;   in Loop: Header=BB4_6538 Depth=3
	s_mov_b32 s13, -1
	s_mov_b32 s34, exec_lo
                                        ; implicit-def: $sgpr17
	v_cmpx_eq_u16_e64 0x80, v167
; %bb.7773:                             ;   in Loop: Header=BB4_6538 Depth=3
	s_mov_b32 s17, 0x7f800001
	s_xor_b32 s13, exec_lo, -1
; %bb.7774:                             ;   in Loop: Header=BB4_6538 Depth=3
	s_or_b32 exec_lo, exec_lo, s34
	s_delay_alu instid0(SALU_CYCLE_1)
	s_and_b32 s13, s13, exec_lo
	s_or_saveexec_b32 s31, s31
	v_mov_b32_e32 v178, s17
	s_xor_b32 exec_lo, exec_lo, s31
	s_cbranch_execz .LBB4_7096
.LBB4_7775:                             ;   in Loop: Header=BB4_6538 Depth=3
	v_cmp_ne_u16_e64 vcc_lo, 0, v167
	v_mov_b32_e32 v178, 0
	s_and_not1_b32 s13, s13, exec_lo
	s_delay_alu instid0(VALU_DEP_2) | instskip(NEXT) | instid1(SALU_CYCLE_1)
	s_and_b32 s17, vcc_lo, exec_lo
	s_or_b32 s13, s13, s17
	s_or_b32 exec_lo, exec_lo, s31
	s_and_saveexec_b32 s17, s13
	s_cbranch_execnz .LBB4_7097
	s_branch .LBB4_7098
.LBB4_7776:                             ;   in Loop: Header=BB4_6538 Depth=3
	s_mov_b32 s13, -1
	s_mov_b32 s34, exec_lo
                                        ; implicit-def: $sgpr17
	v_cmpx_eq_u16_e64 0x80, v176
; %bb.7777:                             ;   in Loop: Header=BB4_6538 Depth=3
	s_mov_b32 s17, 0x7f800001
	s_xor_b32 s13, exec_lo, -1
; %bb.7778:                             ;   in Loop: Header=BB4_6538 Depth=3
	s_or_b32 exec_lo, exec_lo, s34
	s_delay_alu instid0(SALU_CYCLE_1)
	s_and_b32 s13, s13, exec_lo
	s_or_saveexec_b32 s31, s31
	v_mov_b32_e32 v177, s17
	s_xor_b32 exec_lo, exec_lo, s31
	s_cbranch_execz .LBB4_7103
.LBB4_7779:                             ;   in Loop: Header=BB4_6538 Depth=3
	v_cmp_ne_u16_e64 vcc_lo, 0, v176
	v_mov_b32_e32 v177, 0
	s_and_not1_b32 s13, s13, exec_lo
	s_delay_alu instid0(VALU_DEP_2) | instskip(NEXT) | instid1(SALU_CYCLE_1)
	s_and_b32 s17, vcc_lo, exec_lo
	s_or_b32 s13, s13, s17
	s_or_b32 exec_lo, exec_lo, s31
	s_and_saveexec_b32 s17, s13
	s_cbranch_execnz .LBB4_7104
	s_branch .LBB4_7105
.LBB4_7780:                             ;   in Loop: Header=BB4_6538 Depth=3
	s_mov_b32 s13, -1
	s_mov_b32 s34, exec_lo
                                        ; implicit-def: $sgpr17
	v_cmpx_eq_u16_e64 0x80, v167
; %bb.7781:                             ;   in Loop: Header=BB4_6538 Depth=3
	s_mov_b32 s17, 0x7f800001
	s_xor_b32 s13, exec_lo, -1
; %bb.7782:                             ;   in Loop: Header=BB4_6538 Depth=3
	s_or_b32 exec_lo, exec_lo, s34
	s_delay_alu instid0(SALU_CYCLE_1)
	s_and_b32 s13, s13, exec_lo
	s_or_saveexec_b32 s31, s31
	v_mov_b32_e32 v12, s17
	s_xor_b32 exec_lo, exec_lo, s31
	s_cbranch_execz .LBB4_7107
.LBB4_7783:                             ;   in Loop: Header=BB4_6538 Depth=3
	v_cmp_ne_u16_e64 vcc_lo, 0, v167
	v_mov_b32_e32 v12, 0
	s_and_not1_b32 s13, s13, exec_lo
	s_delay_alu instid0(VALU_DEP_2) | instskip(NEXT) | instid1(SALU_CYCLE_1)
	s_and_b32 s17, vcc_lo, exec_lo
	s_or_b32 s13, s13, s17
	s_or_b32 exec_lo, exec_lo, s31
	s_and_saveexec_b32 s17, s13
	s_cbranch_execnz .LBB4_7108
	s_branch .LBB4_7109
.LBB4_7784:                             ;   in Loop: Header=BB4_6538 Depth=3
	s_mov_b32 s13, -1
	s_mov_b32 s34, exec_lo
                                        ; implicit-def: $sgpr17
	v_cmpx_eq_u16_e64 0x80, v167
; %bb.7785:                             ;   in Loop: Header=BB4_6538 Depth=3
	s_mov_b32 s17, 0x7f800001
	s_xor_b32 s13, exec_lo, -1
; %bb.7786:                             ;   in Loop: Header=BB4_6538 Depth=3
	s_or_b32 exec_lo, exec_lo, s34
	s_delay_alu instid0(SALU_CYCLE_1)
	s_and_b32 s13, s13, exec_lo
                                        ; implicit-def: $vgpr167
	s_or_saveexec_b32 s31, s31
	v_mov_b32_e32 v12, s17
	s_xor_b32 exec_lo, exec_lo, s31
	s_cbranch_execz .LBB4_7121
.LBB4_7787:                             ;   in Loop: Header=BB4_6538 Depth=3
	v_cmp_ne_u16_e64 vcc_lo, 0, v167
	v_mov_b32_e32 v12, 0
	s_and_not1_b32 s13, s13, exec_lo
	s_delay_alu instid0(VALU_DEP_2) | instskip(NEXT) | instid1(SALU_CYCLE_1)
	s_and_b32 s17, vcc_lo, exec_lo
	s_or_b32 s13, s13, s17
	s_or_b32 exec_lo, exec_lo, s31
	s_and_saveexec_b32 s17, s13
	s_cbranch_execnz .LBB4_7122
	s_branch .LBB4_7123
.LBB4_7788:                             ;   in Loop: Header=BB4_6538 Depth=3
	s_mov_b32 s13, -1
	s_mov_b32 s34, exec_lo
                                        ; implicit-def: $sgpr17
	v_cmpx_eq_u16_e64 0x80, v176
; %bb.7789:                             ;   in Loop: Header=BB4_6538 Depth=3
	s_mov_b32 s17, 0x7f800001
	s_xor_b32 s13, exec_lo, -1
; %bb.7790:                             ;   in Loop: Header=BB4_6538 Depth=3
	s_or_b32 exec_lo, exec_lo, s34
	s_delay_alu instid0(SALU_CYCLE_1)
	s_and_b32 s13, s13, exec_lo
                                        ; implicit-def: $vgpr176
	s_or_saveexec_b32 s31, s31
	v_mov_b32_e32 v167, s17
	s_xor_b32 exec_lo, exec_lo, s31
	s_cbranch_execz .LBB4_7125
.LBB4_7791:                             ;   in Loop: Header=BB4_6538 Depth=3
	v_cmp_ne_u16_e64 vcc_lo, 0, v176
	v_mov_b32_e32 v167, 0
	s_and_not1_b32 s13, s13, exec_lo
	s_delay_alu instid0(VALU_DEP_2) | instskip(NEXT) | instid1(SALU_CYCLE_1)
	s_and_b32 s17, vcc_lo, exec_lo
	s_or_b32 s13, s13, s17
	s_or_b32 exec_lo, exec_lo, s31
	s_and_saveexec_b32 s17, s13
	s_cbranch_execnz .LBB4_7126
	s_branch .LBB4_7127
.LBB4_7792:                             ;   in Loop: Header=BB4_6538 Depth=3
	s_mov_b32 s13, -1
	s_mov_b32 s34, exec_lo
                                        ; implicit-def: $sgpr17
	v_cmpx_eq_u16_e64 0x80, v167
; %bb.7793:                             ;   in Loop: Header=BB4_6538 Depth=3
	s_mov_b32 s17, 0x7f800001
	s_xor_b32 s13, exec_lo, -1
; %bb.7794:                             ;   in Loop: Header=BB4_6538 Depth=3
	s_or_b32 exec_lo, exec_lo, s34
	s_delay_alu instid0(SALU_CYCLE_1)
	s_and_b32 s13, s13, exec_lo
                                        ; implicit-def: $vgpr167
	s_or_saveexec_b32 s31, s31
	v_mov_b32_e32 v12, s17
	s_xor_b32 exec_lo, exec_lo, s31
	s_cbranch_execz .LBB4_7132
.LBB4_7795:                             ;   in Loop: Header=BB4_6538 Depth=3
	v_cmp_ne_u16_e64 vcc_lo, 0, v167
	v_mov_b32_e32 v12, 0
	s_and_not1_b32 s13, s13, exec_lo
	s_delay_alu instid0(VALU_DEP_2) | instskip(NEXT) | instid1(SALU_CYCLE_1)
	s_and_b32 s17, vcc_lo, exec_lo
	s_or_b32 s13, s13, s17
	s_or_b32 exec_lo, exec_lo, s31
	s_and_saveexec_b32 s17, s13
	s_cbranch_execnz .LBB4_7133
	s_branch .LBB4_7134
.LBB4_7796:                             ;   in Loop: Header=BB4_6538 Depth=3
	s_mov_b32 s13, -1
	s_mov_b32 s34, exec_lo
                                        ; implicit-def: $sgpr17
	v_cmpx_eq_u16_e64 0x80, v176
; %bb.7797:                             ;   in Loop: Header=BB4_6538 Depth=3
	s_mov_b32 s17, 0x7f800001
	s_xor_b32 s13, exec_lo, -1
; %bb.7798:                             ;   in Loop: Header=BB4_6538 Depth=3
	s_or_b32 exec_lo, exec_lo, s34
	s_delay_alu instid0(SALU_CYCLE_1)
	s_and_b32 s13, s13, exec_lo
                                        ; implicit-def: $vgpr176
	s_or_saveexec_b32 s31, s31
	v_mov_b32_e32 v167, s17
	s_xor_b32 exec_lo, exec_lo, s31
	s_cbranch_execz .LBB4_7136
.LBB4_7799:                             ;   in Loop: Header=BB4_6538 Depth=3
	v_cmp_ne_u16_e64 vcc_lo, 0, v176
	v_mov_b32_e32 v167, 0
	s_and_not1_b32 s13, s13, exec_lo
	s_delay_alu instid0(VALU_DEP_2) | instskip(NEXT) | instid1(SALU_CYCLE_1)
	s_and_b32 s17, vcc_lo, exec_lo
	s_or_b32 s13, s13, s17
	s_or_b32 exec_lo, exec_lo, s31
	s_and_saveexec_b32 s17, s13
	s_cbranch_execnz .LBB4_7137
	s_branch .LBB4_7138
.LBB4_7800:                             ;   in Loop: Header=BB4_6538 Depth=3
	s_mov_b32 s13, -1
	s_mov_b32 s34, exec_lo
                                        ; implicit-def: $sgpr17
	v_cmpx_eq_u16_e64 0x80, v176
; %bb.7801:                             ;   in Loop: Header=BB4_6538 Depth=3
	s_mov_b32 s17, 0x7f800001
	s_xor_b32 s13, exec_lo, -1
; %bb.7802:                             ;   in Loop: Header=BB4_6538 Depth=3
	s_or_b32 exec_lo, exec_lo, s34
	s_delay_alu instid0(SALU_CYCLE_1)
	s_and_b32 s13, s13, exec_lo
	s_or_saveexec_b32 s31, s31
	v_mov_b32_e32 v177, s17
	s_xor_b32 exec_lo, exec_lo, s31
	s_cbranch_execz .LBB4_7150
.LBB4_7803:                             ;   in Loop: Header=BB4_6538 Depth=3
	v_cmp_ne_u16_e64 vcc_lo, 0, v176
	v_mov_b32_e32 v177, 0
	s_and_not1_b32 s13, s13, exec_lo
	s_delay_alu instid0(VALU_DEP_2) | instskip(NEXT) | instid1(SALU_CYCLE_1)
	s_and_b32 s17, vcc_lo, exec_lo
	s_or_b32 s13, s13, s17
	s_or_b32 exec_lo, exec_lo, s31
	s_and_saveexec_b32 s17, s13
	s_cbranch_execnz .LBB4_7151
	s_branch .LBB4_7152
.LBB4_7804:                             ;   in Loop: Header=BB4_6538 Depth=3
	s_mov_b32 s13, -1
	s_mov_b32 s34, exec_lo
                                        ; implicit-def: $sgpr17
	v_cmpx_eq_u16_e64 0x80, v167
; %bb.7805:                             ;   in Loop: Header=BB4_6538 Depth=3
	s_mov_b32 s17, 0x7f800001
	s_xor_b32 s13, exec_lo, -1
; %bb.7806:                             ;   in Loop: Header=BB4_6538 Depth=3
	s_or_b32 exec_lo, exec_lo, s34
	s_delay_alu instid0(SALU_CYCLE_1)
	s_and_b32 s13, s13, exec_lo
	s_or_saveexec_b32 s31, s31
	v_mov_b32_e32 v178, s17
	s_xor_b32 exec_lo, exec_lo, s31
	s_cbranch_execz .LBB4_7154
.LBB4_7807:                             ;   in Loop: Header=BB4_6538 Depth=3
	v_cmp_ne_u16_e64 vcc_lo, 0, v167
	v_mov_b32_e32 v178, 0
	s_and_not1_b32 s13, s13, exec_lo
	s_delay_alu instid0(VALU_DEP_2) | instskip(NEXT) | instid1(SALU_CYCLE_1)
	s_and_b32 s17, vcc_lo, exec_lo
	s_or_b32 s13, s13, s17
	s_or_b32 exec_lo, exec_lo, s31
	s_and_saveexec_b32 s17, s13
	s_cbranch_execnz .LBB4_7155
	s_branch .LBB4_7156
.LBB4_7808:                             ;   in Loop: Header=BB4_6538 Depth=3
	s_mov_b32 s13, -1
	s_mov_b32 s34, exec_lo
                                        ; implicit-def: $sgpr17
	v_cmpx_eq_u16_e64 0x80, v176
; %bb.7809:                             ;   in Loop: Header=BB4_6538 Depth=3
	s_mov_b32 s17, 0x7f800001
	s_xor_b32 s13, exec_lo, -1
; %bb.7810:                             ;   in Loop: Header=BB4_6538 Depth=3
	s_or_b32 exec_lo, exec_lo, s34
	s_delay_alu instid0(SALU_CYCLE_1)
	s_and_b32 s13, s13, exec_lo
	s_or_saveexec_b32 s31, s31
	v_mov_b32_e32 v177, s17
	s_xor_b32 exec_lo, exec_lo, s31
	s_cbranch_execz .LBB4_7161
.LBB4_7811:                             ;   in Loop: Header=BB4_6538 Depth=3
	v_cmp_ne_u16_e64 vcc_lo, 0, v176
	v_mov_b32_e32 v177, 0
	s_and_not1_b32 s13, s13, exec_lo
	s_delay_alu instid0(VALU_DEP_2) | instskip(NEXT) | instid1(SALU_CYCLE_1)
	s_and_b32 s17, vcc_lo, exec_lo
	s_or_b32 s13, s13, s17
	s_or_b32 exec_lo, exec_lo, s31
	s_and_saveexec_b32 s17, s13
	s_cbranch_execnz .LBB4_7162
	s_branch .LBB4_7163
.LBB4_7812:                             ;   in Loop: Header=BB4_6538 Depth=3
	s_mov_b32 s13, -1
	s_mov_b32 s34, exec_lo
                                        ; implicit-def: $sgpr17
	v_cmpx_eq_u16_e64 0x80, v167
; %bb.7813:                             ;   in Loop: Header=BB4_6538 Depth=3
	s_mov_b32 s17, 0x7f800001
	s_xor_b32 s13, exec_lo, -1
; %bb.7814:                             ;   in Loop: Header=BB4_6538 Depth=3
	s_or_b32 exec_lo, exec_lo, s34
	s_delay_alu instid0(SALU_CYCLE_1)
	s_and_b32 s13, s13, exec_lo
	s_or_saveexec_b32 s31, s31
	v_mov_b32_e32 v176, s17
	s_xor_b32 exec_lo, exec_lo, s31
	s_cbranch_execz .LBB4_7165
.LBB4_7815:                             ;   in Loop: Header=BB4_6538 Depth=3
	v_cmp_ne_u16_e64 vcc_lo, 0, v167
	v_mov_b32_e32 v176, 0
	s_and_not1_b32 s13, s13, exec_lo
	s_delay_alu instid0(VALU_DEP_2) | instskip(NEXT) | instid1(SALU_CYCLE_1)
	s_and_b32 s17, vcc_lo, exec_lo
	s_or_b32 s13, s13, s17
	s_or_b32 exec_lo, exec_lo, s31
	s_and_saveexec_b32 s17, s13
	s_cbranch_execnz .LBB4_7166
	s_branch .LBB4_7167
.LBB4_7816:                             ;   in Loop: Header=BB4_6538 Depth=3
	s_mov_b32 s13, -1
	s_mov_b32 s34, exec_lo
                                        ; implicit-def: $sgpr17
	v_cmpx_eq_u16_e64 0x80, v179
; %bb.7817:                             ;   in Loop: Header=BB4_6538 Depth=3
	s_mov_b32 s17, 0x7f800001
	s_xor_b32 s13, exec_lo, -1
; %bb.7818:                             ;   in Loop: Header=BB4_6538 Depth=3
	s_or_b32 exec_lo, exec_lo, s34
	s_delay_alu instid0(SALU_CYCLE_1)
	s_and_b32 s13, s13, exec_lo
                                        ; implicit-def: $vgpr179
	s_or_saveexec_b32 s31, s31
	v_mov_b32_e32 v178, s17
	s_xor_b32 exec_lo, exec_lo, s31
	s_cbranch_execz .LBB4_7179
.LBB4_7819:                             ;   in Loop: Header=BB4_6538 Depth=3
	v_cmp_ne_u16_e64 vcc_lo, 0, v179
	v_mov_b32_e32 v178, 0
	s_and_not1_b32 s13, s13, exec_lo
	s_delay_alu instid0(VALU_DEP_2) | instskip(NEXT) | instid1(SALU_CYCLE_1)
	s_and_b32 s17, vcc_lo, exec_lo
	s_or_b32 s13, s13, s17
	s_or_b32 exec_lo, exec_lo, s31
	s_and_saveexec_b32 s17, s13
	s_cbranch_execnz .LBB4_7180
	s_branch .LBB4_7181
.LBB4_7820:                             ;   in Loop: Header=BB4_6538 Depth=3
	s_mov_b32 s13, -1
	s_mov_b32 s34, exec_lo
                                        ; implicit-def: $sgpr17
	v_cmpx_eq_u16_e64 0x80, v180
; %bb.7821:                             ;   in Loop: Header=BB4_6538 Depth=3
	s_mov_b32 s17, 0x7f800001
	s_xor_b32 s13, exec_lo, -1
; %bb.7822:                             ;   in Loop: Header=BB4_6538 Depth=3
	s_or_b32 exec_lo, exec_lo, s34
	s_delay_alu instid0(SALU_CYCLE_1)
	s_and_b32 s13, s13, exec_lo
                                        ; implicit-def: $vgpr180
	s_or_saveexec_b32 s31, s31
	v_mov_b32_e32 v179, s17
	s_xor_b32 exec_lo, exec_lo, s31
	s_cbranch_execz .LBB4_7183
.LBB4_7823:                             ;   in Loop: Header=BB4_6538 Depth=3
	v_cmp_ne_u16_e64 vcc_lo, 0, v180
	v_mov_b32_e32 v179, 0
	s_and_not1_b32 s13, s13, exec_lo
	s_delay_alu instid0(VALU_DEP_2) | instskip(NEXT) | instid1(SALU_CYCLE_1)
	s_and_b32 s17, vcc_lo, exec_lo
	s_or_b32 s13, s13, s17
	s_or_b32 exec_lo, exec_lo, s31
	s_and_saveexec_b32 s17, s13
	s_cbranch_execnz .LBB4_7184
	s_branch .LBB4_7185
.LBB4_7824:                             ;   in Loop: Header=BB4_6538 Depth=3
	s_mov_b32 s13, -1
	s_mov_b32 s34, exec_lo
                                        ; implicit-def: $sgpr17
	v_cmpx_eq_u16_e64 0x80, v179
; %bb.7825:                             ;   in Loop: Header=BB4_6538 Depth=3
	s_mov_b32 s17, 0x7f800001
	s_xor_b32 s13, exec_lo, -1
; %bb.7826:                             ;   in Loop: Header=BB4_6538 Depth=3
	s_or_b32 exec_lo, exec_lo, s34
	s_delay_alu instid0(SALU_CYCLE_1)
	s_and_b32 s13, s13, exec_lo
                                        ; implicit-def: $vgpr179
	s_or_saveexec_b32 s31, s31
	v_mov_b32_e32 v178, s17
	s_xor_b32 exec_lo, exec_lo, s31
	s_cbranch_execz .LBB4_7190
.LBB4_7827:                             ;   in Loop: Header=BB4_6538 Depth=3
	v_cmp_ne_u16_e64 vcc_lo, 0, v179
	v_mov_b32_e32 v178, 0
	s_and_not1_b32 s13, s13, exec_lo
	s_delay_alu instid0(VALU_DEP_2) | instskip(NEXT) | instid1(SALU_CYCLE_1)
	s_and_b32 s17, vcc_lo, exec_lo
	s_or_b32 s13, s13, s17
	s_or_b32 exec_lo, exec_lo, s31
	s_and_saveexec_b32 s17, s13
	s_cbranch_execnz .LBB4_7191
	s_branch .LBB4_7192
.LBB4_7828:                             ;   in Loop: Header=BB4_6538 Depth=3
	s_mov_b32 s13, -1
	s_mov_b32 s34, exec_lo
                                        ; implicit-def: $sgpr17
	v_cmpx_eq_u16_e64 0x80, v179
; %bb.7829:                             ;   in Loop: Header=BB4_6538 Depth=3
	s_mov_b32 s17, 0x7f800001
	s_xor_b32 s13, exec_lo, -1
; %bb.7830:                             ;   in Loop: Header=BB4_6538 Depth=3
	s_or_b32 exec_lo, exec_lo, s34
	s_delay_alu instid0(SALU_CYCLE_1)
	s_and_b32 s13, s13, exec_lo
                                        ; implicit-def: $vgpr179
	s_or_saveexec_b32 s31, s31
	v_mov_b32_e32 v177, s17
	s_xor_b32 exec_lo, exec_lo, s31
	s_cbranch_execz .LBB4_7194
.LBB4_7831:                             ;   in Loop: Header=BB4_6538 Depth=3
	v_cmp_ne_u16_e64 vcc_lo, 0, v179
	v_mov_b32_e32 v177, 0
	s_and_not1_b32 s13, s13, exec_lo
	s_delay_alu instid0(VALU_DEP_2) | instskip(NEXT) | instid1(SALU_CYCLE_1)
	s_and_b32 s17, vcc_lo, exec_lo
	s_or_b32 s13, s13, s17
	s_or_b32 exec_lo, exec_lo, s31
	s_and_saveexec_b32 s17, s13
	s_cbranch_execnz .LBB4_7195
	s_branch .LBB4_7196
.LBB4_7832:                             ;   in Loop: Header=BB4_6538 Depth=3
	s_mov_b32 s13, -1
	s_mov_b32 s34, exec_lo
                                        ; implicit-def: $sgpr17
	v_cmpx_eq_u16_e64 0x80, v178
; %bb.7833:                             ;   in Loop: Header=BB4_6538 Depth=3
	s_mov_b32 s17, 0x7f800001
	s_xor_b32 s13, exec_lo, -1
; %bb.7834:                             ;   in Loop: Header=BB4_6538 Depth=3
	s_or_b32 exec_lo, exec_lo, s34
	s_delay_alu instid0(SALU_CYCLE_1)
	s_and_b32 s13, s13, exec_lo
	s_or_saveexec_b32 s31, s31
	v_mov_b32_e32 v179, s17
	s_xor_b32 exec_lo, exec_lo, s31
	s_cbranch_execz .LBB4_7208
.LBB4_7835:                             ;   in Loop: Header=BB4_6538 Depth=3
	v_cmp_ne_u16_e64 vcc_lo, 0, v178
	v_mov_b32_e32 v179, 0
	s_and_not1_b32 s13, s13, exec_lo
	s_delay_alu instid0(VALU_DEP_2) | instskip(NEXT) | instid1(SALU_CYCLE_1)
	s_and_b32 s17, vcc_lo, exec_lo
	s_or_b32 s13, s13, s17
	s_or_b32 exec_lo, exec_lo, s31
	s_and_saveexec_b32 s17, s13
	s_cbranch_execnz .LBB4_7209
	s_branch .LBB4_7210
.LBB4_7836:                             ;   in Loop: Header=BB4_6538 Depth=3
	s_mov_b32 s13, -1
	s_mov_b32 s34, exec_lo
                                        ; implicit-def: $sgpr17
	v_cmpx_eq_u16_e64 0x80, v177
; %bb.7837:                             ;   in Loop: Header=BB4_6538 Depth=3
	s_mov_b32 s17, 0x7f800001
	s_xor_b32 s13, exec_lo, -1
; %bb.7838:                             ;   in Loop: Header=BB4_6538 Depth=3
	s_or_b32 exec_lo, exec_lo, s34
	s_delay_alu instid0(SALU_CYCLE_1)
	s_and_b32 s13, s13, exec_lo
	s_or_saveexec_b32 s31, s31
	v_mov_b32_e32 v180, s17
	s_xor_b32 exec_lo, exec_lo, s31
	s_cbranch_execz .LBB4_7212
.LBB4_7839:                             ;   in Loop: Header=BB4_6538 Depth=3
	v_cmp_ne_u16_e64 vcc_lo, 0, v177
	v_mov_b32_e32 v180, 0
	s_and_not1_b32 s13, s13, exec_lo
	s_delay_alu instid0(VALU_DEP_2) | instskip(NEXT) | instid1(SALU_CYCLE_1)
	s_and_b32 s17, vcc_lo, exec_lo
	s_or_b32 s13, s13, s17
	s_or_b32 exec_lo, exec_lo, s31
	s_and_saveexec_b32 s17, s13
	s_cbranch_execnz .LBB4_7213
	s_branch .LBB4_7214
.LBB4_7840:                             ;   in Loop: Header=BB4_6538 Depth=3
	s_mov_b32 s13, -1
	s_mov_b32 s34, exec_lo
                                        ; implicit-def: $sgpr17
	v_cmpx_eq_u16_e64 0x80, v178
; %bb.7841:                             ;   in Loop: Header=BB4_6538 Depth=3
	s_mov_b32 s17, 0x7f800001
	s_xor_b32 s13, exec_lo, -1
; %bb.7842:                             ;   in Loop: Header=BB4_6538 Depth=3
	s_or_b32 exec_lo, exec_lo, s34
	s_delay_alu instid0(SALU_CYCLE_1)
	s_and_b32 s13, s13, exec_lo
	s_or_saveexec_b32 s31, s31
	v_mov_b32_e32 v179, s17
	s_xor_b32 exec_lo, exec_lo, s31
	s_cbranch_execz .LBB4_7219
.LBB4_7843:                             ;   in Loop: Header=BB4_6538 Depth=3
	v_cmp_ne_u16_e64 vcc_lo, 0, v178
	v_mov_b32_e32 v179, 0
	s_and_not1_b32 s13, s13, exec_lo
	s_delay_alu instid0(VALU_DEP_2) | instskip(NEXT) | instid1(SALU_CYCLE_1)
	s_and_b32 s17, vcc_lo, exec_lo
	s_or_b32 s13, s13, s17
	s_or_b32 exec_lo, exec_lo, s31
	s_and_saveexec_b32 s17, s13
	s_cbranch_execnz .LBB4_7220
	s_branch .LBB4_7221
.LBB4_7844:                             ;   in Loop: Header=BB4_6538 Depth=3
	s_mov_b32 s13, -1
	s_mov_b32 s34, exec_lo
                                        ; implicit-def: $sgpr17
	v_cmpx_eq_u16_e64 0x80, v177
; %bb.7845:                             ;   in Loop: Header=BB4_6538 Depth=3
	s_mov_b32 s17, 0x7f800001
	s_xor_b32 s13, exec_lo, -1
; %bb.7846:                             ;   in Loop: Header=BB4_6538 Depth=3
	s_or_b32 exec_lo, exec_lo, s34
	s_delay_alu instid0(SALU_CYCLE_1)
	s_and_b32 s13, s13, exec_lo
	s_or_saveexec_b32 s31, s31
	v_mov_b32_e32 v13, s17
	s_xor_b32 exec_lo, exec_lo, s31
	s_cbranch_execz .LBB4_7223
.LBB4_7847:                             ;   in Loop: Header=BB4_6538 Depth=3
	v_cmp_ne_u16_e64 vcc_lo, 0, v177
	v_mov_b32_e32 v13, 0
	s_and_not1_b32 s13, s13, exec_lo
	s_delay_alu instid0(VALU_DEP_2) | instskip(NEXT) | instid1(SALU_CYCLE_1)
	s_and_b32 s17, vcc_lo, exec_lo
	s_or_b32 s13, s13, s17
	s_or_b32 exec_lo, exec_lo, s31
	s_and_saveexec_b32 s17, s13
	s_cbranch_execnz .LBB4_7224
	s_branch .LBB4_7225
.LBB4_7848:                             ;   in Loop: Header=BB4_6538 Depth=3
	s_mov_b32 s13, -1
	s_mov_b32 s34, exec_lo
                                        ; implicit-def: $sgpr17
	v_cmpx_eq_u16_e64 0x80, v177
; %bb.7849:                             ;   in Loop: Header=BB4_6538 Depth=3
	s_mov_b32 s17, 0x7f800001
	s_xor_b32 s13, exec_lo, -1
; %bb.7850:                             ;   in Loop: Header=BB4_6538 Depth=3
	s_or_b32 exec_lo, exec_lo, s34
	s_delay_alu instid0(SALU_CYCLE_1)
	s_and_b32 s13, s13, exec_lo
                                        ; implicit-def: $vgpr177
	s_or_saveexec_b32 s31, s31
	v_mov_b32_e32 v13, s17
	s_xor_b32 exec_lo, exec_lo, s31
	s_cbranch_execz .LBB4_7237
.LBB4_7851:                             ;   in Loop: Header=BB4_6538 Depth=3
	v_cmp_ne_u16_e64 vcc_lo, 0, v177
	v_mov_b32_e32 v13, 0
	s_and_not1_b32 s13, s13, exec_lo
	s_delay_alu instid0(VALU_DEP_2) | instskip(NEXT) | instid1(SALU_CYCLE_1)
	s_and_b32 s17, vcc_lo, exec_lo
	s_or_b32 s13, s13, s17
	s_or_b32 exec_lo, exec_lo, s31
	s_and_saveexec_b32 s17, s13
	s_cbranch_execnz .LBB4_7238
	s_branch .LBB4_7239
.LBB4_7852:                             ;   in Loop: Header=BB4_6538 Depth=3
	s_mov_b32 s13, -1
	s_mov_b32 s34, exec_lo
                                        ; implicit-def: $sgpr17
	v_cmpx_eq_u16_e64 0x80, v178
; %bb.7853:                             ;   in Loop: Header=BB4_6538 Depth=3
	s_mov_b32 s17, 0x7f800001
	s_xor_b32 s13, exec_lo, -1
; %bb.7854:                             ;   in Loop: Header=BB4_6538 Depth=3
	s_or_b32 exec_lo, exec_lo, s34
	s_delay_alu instid0(SALU_CYCLE_1)
	s_and_b32 s13, s13, exec_lo
                                        ; implicit-def: $vgpr178
	s_or_saveexec_b32 s31, s31
	v_mov_b32_e32 v177, s17
	s_xor_b32 exec_lo, exec_lo, s31
	s_cbranch_execz .LBB4_7241
.LBB4_7855:                             ;   in Loop: Header=BB4_6538 Depth=3
	v_cmp_ne_u16_e64 vcc_lo, 0, v178
	v_mov_b32_e32 v177, 0
	s_and_not1_b32 s13, s13, exec_lo
	s_delay_alu instid0(VALU_DEP_2) | instskip(NEXT) | instid1(SALU_CYCLE_1)
	s_and_b32 s17, vcc_lo, exec_lo
	s_or_b32 s13, s13, s17
	s_or_b32 exec_lo, exec_lo, s31
	s_and_saveexec_b32 s17, s13
	s_cbranch_execnz .LBB4_7242
	s_branch .LBB4_7243
.LBB4_7856:                             ;   in Loop: Header=BB4_6538 Depth=3
	s_mov_b32 s13, -1
	s_mov_b32 s34, exec_lo
                                        ; implicit-def: $sgpr17
	v_cmpx_eq_u16_e64 0x80, v177
; %bb.7857:                             ;   in Loop: Header=BB4_6538 Depth=3
	s_mov_b32 s17, 0x7f800001
	s_xor_b32 s13, exec_lo, -1
; %bb.7858:                             ;   in Loop: Header=BB4_6538 Depth=3
	s_or_b32 exec_lo, exec_lo, s34
	s_delay_alu instid0(SALU_CYCLE_1)
	s_and_b32 s13, s13, exec_lo
                                        ; implicit-def: $vgpr177
	s_or_saveexec_b32 s31, s31
	v_mov_b32_e32 v13, s17
	s_xor_b32 exec_lo, exec_lo, s31
	s_cbranch_execz .LBB4_7248
.LBB4_7859:                             ;   in Loop: Header=BB4_6538 Depth=3
	v_cmp_ne_u16_e64 vcc_lo, 0, v177
	v_mov_b32_e32 v13, 0
	s_and_not1_b32 s13, s13, exec_lo
	s_delay_alu instid0(VALU_DEP_2) | instskip(NEXT) | instid1(SALU_CYCLE_1)
	s_and_b32 s17, vcc_lo, exec_lo
	s_or_b32 s13, s13, s17
	s_or_b32 exec_lo, exec_lo, s31
	s_and_saveexec_b32 s17, s13
	s_cbranch_execnz .LBB4_7249
	s_branch .LBB4_7250
.LBB4_7860:                             ;   in Loop: Header=BB4_6538 Depth=3
	s_mov_b32 s13, -1
	s_mov_b32 s34, exec_lo
                                        ; implicit-def: $sgpr17
	v_cmpx_eq_u16_e64 0x80, v178
; %bb.7861:                             ;   in Loop: Header=BB4_6538 Depth=3
	s_mov_b32 s17, 0x7f800001
	s_xor_b32 s13, exec_lo, -1
; %bb.7862:                             ;   in Loop: Header=BB4_6538 Depth=3
	s_or_b32 exec_lo, exec_lo, s34
	s_delay_alu instid0(SALU_CYCLE_1)
	s_and_b32 s13, s13, exec_lo
                                        ; implicit-def: $vgpr178
	s_or_saveexec_b32 s31, s31
	v_mov_b32_e32 v177, s17
	s_xor_b32 exec_lo, exec_lo, s31
	s_cbranch_execz .LBB4_7252
.LBB4_7863:                             ;   in Loop: Header=BB4_6538 Depth=3
	v_cmp_ne_u16_e64 vcc_lo, 0, v178
	v_mov_b32_e32 v177, 0
	s_and_not1_b32 s13, s13, exec_lo
	s_delay_alu instid0(VALU_DEP_2) | instskip(NEXT) | instid1(SALU_CYCLE_1)
	s_and_b32 s17, vcc_lo, exec_lo
	s_or_b32 s13, s13, s17
	s_or_b32 exec_lo, exec_lo, s31
	s_and_saveexec_b32 s17, s13
	s_cbranch_execnz .LBB4_7253
	s_branch .LBB4_7254
.LBB4_7864:                             ;   in Loop: Header=BB4_6538 Depth=3
	s_mov_b32 s13, -1
	s_mov_b32 s34, exec_lo
                                        ; implicit-def: $sgpr17
	v_cmpx_eq_u16_e64 0x80, v178
; %bb.7865:                             ;   in Loop: Header=BB4_6538 Depth=3
	s_mov_b32 s17, 0x7f800001
	s_xor_b32 s13, exec_lo, -1
; %bb.7866:                             ;   in Loop: Header=BB4_6538 Depth=3
	s_or_b32 exec_lo, exec_lo, s34
	s_delay_alu instid0(SALU_CYCLE_1)
	s_and_b32 s13, s13, exec_lo
	s_or_saveexec_b32 s31, s31
	v_mov_b32_e32 v179, s17
	s_xor_b32 exec_lo, exec_lo, s31
	s_cbranch_execz .LBB4_7266
.LBB4_7867:                             ;   in Loop: Header=BB4_6538 Depth=3
	v_cmp_ne_u16_e64 vcc_lo, 0, v178
	v_mov_b32_e32 v179, 0
	s_and_not1_b32 s13, s13, exec_lo
	s_delay_alu instid0(VALU_DEP_2) | instskip(NEXT) | instid1(SALU_CYCLE_1)
	s_and_b32 s17, vcc_lo, exec_lo
	s_or_b32 s13, s13, s17
	s_or_b32 exec_lo, exec_lo, s31
	s_and_saveexec_b32 s17, s13
	s_cbranch_execnz .LBB4_7267
	s_branch .LBB4_7268
.LBB4_7868:                             ;   in Loop: Header=BB4_6538 Depth=3
	s_mov_b32 s13, -1
	s_mov_b32 s34, exec_lo
                                        ; implicit-def: $sgpr17
	v_cmpx_eq_u16_e64 0x80, v177
; %bb.7869:                             ;   in Loop: Header=BB4_6538 Depth=3
	s_mov_b32 s17, 0x7f800001
	s_xor_b32 s13, exec_lo, -1
; %bb.7870:                             ;   in Loop: Header=BB4_6538 Depth=3
	s_or_b32 exec_lo, exec_lo, s34
	s_delay_alu instid0(SALU_CYCLE_1)
	s_and_b32 s13, s13, exec_lo
	s_or_saveexec_b32 s31, s31
	v_mov_b32_e32 v180, s17
	s_xor_b32 exec_lo, exec_lo, s31
	s_cbranch_execz .LBB4_7270
.LBB4_7871:                             ;   in Loop: Header=BB4_6538 Depth=3
	v_cmp_ne_u16_e64 vcc_lo, 0, v177
	v_mov_b32_e32 v180, 0
	s_and_not1_b32 s13, s13, exec_lo
	s_delay_alu instid0(VALU_DEP_2) | instskip(NEXT) | instid1(SALU_CYCLE_1)
	s_and_b32 s17, vcc_lo, exec_lo
	s_or_b32 s13, s13, s17
	s_or_b32 exec_lo, exec_lo, s31
	s_and_saveexec_b32 s17, s13
	s_cbranch_execnz .LBB4_7271
	s_branch .LBB4_7272
.LBB4_7872:                             ;   in Loop: Header=BB4_6538 Depth=3
	s_mov_b32 s13, -1
	s_mov_b32 s34, exec_lo
                                        ; implicit-def: $sgpr17
	v_cmpx_eq_u16_e64 0x80, v178
; %bb.7873:                             ;   in Loop: Header=BB4_6538 Depth=3
	s_mov_b32 s17, 0x7f800001
	s_xor_b32 s13, exec_lo, -1
; %bb.7874:                             ;   in Loop: Header=BB4_6538 Depth=3
	s_or_b32 exec_lo, exec_lo, s34
	s_delay_alu instid0(SALU_CYCLE_1)
	s_and_b32 s13, s13, exec_lo
	s_or_saveexec_b32 s31, s31
	v_mov_b32_e32 v179, s17
	s_xor_b32 exec_lo, exec_lo, s31
	s_cbranch_execz .LBB4_7277
.LBB4_7875:                             ;   in Loop: Header=BB4_6538 Depth=3
	v_cmp_ne_u16_e64 vcc_lo, 0, v178
	v_mov_b32_e32 v179, 0
	s_and_not1_b32 s13, s13, exec_lo
	s_delay_alu instid0(VALU_DEP_2) | instskip(NEXT) | instid1(SALU_CYCLE_1)
	s_and_b32 s17, vcc_lo, exec_lo
	s_or_b32 s13, s13, s17
	s_or_b32 exec_lo, exec_lo, s31
	s_and_saveexec_b32 s17, s13
	s_cbranch_execnz .LBB4_7278
	s_branch .LBB4_7279
.LBB4_7876:                             ;   in Loop: Header=BB4_6538 Depth=3
	s_mov_b32 s13, -1
	s_mov_b32 s34, exec_lo
                                        ; implicit-def: $sgpr17
	v_cmpx_eq_u16_e64 0x80, v177
; %bb.7877:                             ;   in Loop: Header=BB4_6538 Depth=3
	s_mov_b32 s17, 0x7f800001
	s_xor_b32 s13, exec_lo, -1
; %bb.7878:                             ;   in Loop: Header=BB4_6538 Depth=3
	s_or_b32 exec_lo, exec_lo, s34
	s_delay_alu instid0(SALU_CYCLE_1)
	s_and_b32 s13, s13, exec_lo
	s_or_saveexec_b32 s31, s31
	v_mov_b32_e32 v178, s17
	s_xor_b32 exec_lo, exec_lo, s31
	s_cbranch_execz .LBB4_7281
.LBB4_7879:                             ;   in Loop: Header=BB4_6538 Depth=3
	v_cmp_ne_u16_e64 vcc_lo, 0, v177
	v_mov_b32_e32 v178, 0
	s_and_not1_b32 s13, s13, exec_lo
	s_delay_alu instid0(VALU_DEP_2) | instskip(NEXT) | instid1(SALU_CYCLE_1)
	s_and_b32 s17, vcc_lo, exec_lo
	s_or_b32 s13, s13, s17
	s_or_b32 exec_lo, exec_lo, s31
	s_and_saveexec_b32 s17, s13
	s_cbranch_execnz .LBB4_7282
	s_branch .LBB4_7283
.LBB4_7880:                             ;   in Loop: Header=BB4_6538 Depth=3
	s_mov_b32 s13, -1
	s_mov_b32 s34, exec_lo
                                        ; implicit-def: $sgpr17
	v_cmpx_eq_u16_e64 0x80, v181
; %bb.7881:                             ;   in Loop: Header=BB4_6538 Depth=3
	s_mov_b32 s17, 0x7f800001
	s_xor_b32 s13, exec_lo, -1
; %bb.7882:                             ;   in Loop: Header=BB4_6538 Depth=3
	s_or_b32 exec_lo, exec_lo, s34
	s_delay_alu instid0(SALU_CYCLE_1)
	s_and_b32 s13, s13, exec_lo
                                        ; implicit-def: $vgpr181
	s_or_saveexec_b32 s31, s31
	v_mov_b32_e32 v180, s17
	s_xor_b32 exec_lo, exec_lo, s31
	s_cbranch_execz .LBB4_7295
.LBB4_7883:                             ;   in Loop: Header=BB4_6538 Depth=3
	v_cmp_ne_u16_e64 vcc_lo, 0, v181
	v_mov_b32_e32 v180, 0
	s_and_not1_b32 s13, s13, exec_lo
	s_delay_alu instid0(VALU_DEP_2) | instskip(NEXT) | instid1(SALU_CYCLE_1)
	s_and_b32 s17, vcc_lo, exec_lo
	s_or_b32 s13, s13, s17
	s_or_b32 exec_lo, exec_lo, s31
	s_and_saveexec_b32 s17, s13
	s_cbranch_execnz .LBB4_7296
	s_branch .LBB4_7297
.LBB4_7884:                             ;   in Loop: Header=BB4_6538 Depth=3
	s_mov_b32 s13, -1
	s_mov_b32 s34, exec_lo
                                        ; implicit-def: $sgpr17
	v_cmpx_eq_u16_e64 0x80, v182
; %bb.7885:                             ;   in Loop: Header=BB4_6538 Depth=3
	s_mov_b32 s17, 0x7f800001
	s_xor_b32 s13, exec_lo, -1
; %bb.7886:                             ;   in Loop: Header=BB4_6538 Depth=3
	s_or_b32 exec_lo, exec_lo, s34
	s_delay_alu instid0(SALU_CYCLE_1)
	s_and_b32 s13, s13, exec_lo
                                        ; implicit-def: $vgpr182
	s_or_saveexec_b32 s31, s31
	v_mov_b32_e32 v181, s17
	s_xor_b32 exec_lo, exec_lo, s31
	s_cbranch_execz .LBB4_7299
.LBB4_7887:                             ;   in Loop: Header=BB4_6538 Depth=3
	v_cmp_ne_u16_e64 vcc_lo, 0, v182
	v_mov_b32_e32 v181, 0
	s_and_not1_b32 s13, s13, exec_lo
	s_delay_alu instid0(VALU_DEP_2) | instskip(NEXT) | instid1(SALU_CYCLE_1)
	s_and_b32 s17, vcc_lo, exec_lo
	s_or_b32 s13, s13, s17
	s_or_b32 exec_lo, exec_lo, s31
	s_and_saveexec_b32 s17, s13
	s_cbranch_execnz .LBB4_7300
	s_branch .LBB4_7301
.LBB4_7888:                             ;   in Loop: Header=BB4_6538 Depth=3
	s_mov_b32 s13, -1
	s_mov_b32 s34, exec_lo
                                        ; implicit-def: $sgpr17
	v_cmpx_eq_u16_e64 0x80, v181
; %bb.7889:                             ;   in Loop: Header=BB4_6538 Depth=3
	s_mov_b32 s17, 0x7f800001
	s_xor_b32 s13, exec_lo, -1
; %bb.7890:                             ;   in Loop: Header=BB4_6538 Depth=3
	s_or_b32 exec_lo, exec_lo, s34
	s_delay_alu instid0(SALU_CYCLE_1)
	s_and_b32 s13, s13, exec_lo
                                        ; implicit-def: $vgpr181
	s_or_saveexec_b32 s31, s31
	v_mov_b32_e32 v180, s17
	s_xor_b32 exec_lo, exec_lo, s31
	s_cbranch_execz .LBB4_7306
.LBB4_7891:                             ;   in Loop: Header=BB4_6538 Depth=3
	v_cmp_ne_u16_e64 vcc_lo, 0, v181
	v_mov_b32_e32 v180, 0
	s_and_not1_b32 s13, s13, exec_lo
	s_delay_alu instid0(VALU_DEP_2) | instskip(NEXT) | instid1(SALU_CYCLE_1)
	s_and_b32 s17, vcc_lo, exec_lo
	s_or_b32 s13, s13, s17
	s_or_b32 exec_lo, exec_lo, s31
	s_and_saveexec_b32 s17, s13
	s_cbranch_execnz .LBB4_7307
	s_branch .LBB4_7308
.LBB4_7892:                             ;   in Loop: Header=BB4_6538 Depth=3
	s_mov_b32 s13, -1
	s_mov_b32 s34, exec_lo
                                        ; implicit-def: $sgpr17
	v_cmpx_eq_u16_e64 0x80, v181
; %bb.7893:                             ;   in Loop: Header=BB4_6538 Depth=3
	s_mov_b32 s17, 0x7f800001
	s_xor_b32 s13, exec_lo, -1
; %bb.7894:                             ;   in Loop: Header=BB4_6538 Depth=3
	s_or_b32 exec_lo, exec_lo, s34
	s_delay_alu instid0(SALU_CYCLE_1)
	s_and_b32 s13, s13, exec_lo
                                        ; implicit-def: $vgpr181
	s_or_saveexec_b32 s31, s31
	v_mov_b32_e32 v179, s17
	s_xor_b32 exec_lo, exec_lo, s31
	s_cbranch_execz .LBB4_7310
.LBB4_7895:                             ;   in Loop: Header=BB4_6538 Depth=3
	v_cmp_ne_u16_e64 vcc_lo, 0, v181
	v_mov_b32_e32 v179, 0
	s_and_not1_b32 s13, s13, exec_lo
	s_delay_alu instid0(VALU_DEP_2) | instskip(NEXT) | instid1(SALU_CYCLE_1)
	s_and_b32 s17, vcc_lo, exec_lo
	s_or_b32 s13, s13, s17
	s_or_b32 exec_lo, exec_lo, s31
	s_and_saveexec_b32 s17, s13
	s_cbranch_execnz .LBB4_7311
	s_branch .LBB4_7312
.LBB4_7896:                             ;   in Loop: Header=BB4_6538 Depth=3
	s_mov_b32 s13, -1
	s_mov_b32 s34, exec_lo
                                        ; implicit-def: $sgpr17
	v_cmpx_eq_u16_e64 0x80, v180
; %bb.7897:                             ;   in Loop: Header=BB4_6538 Depth=3
	s_mov_b32 s17, 0x7f800001
	s_xor_b32 s13, exec_lo, -1
; %bb.7898:                             ;   in Loop: Header=BB4_6538 Depth=3
	s_or_b32 exec_lo, exec_lo, s34
	s_delay_alu instid0(SALU_CYCLE_1)
	s_and_b32 s13, s13, exec_lo
	s_or_saveexec_b32 s31, s31
	v_mov_b32_e32 v181, s17
	s_xor_b32 exec_lo, exec_lo, s31
	s_cbranch_execz .LBB4_7324
.LBB4_7899:                             ;   in Loop: Header=BB4_6538 Depth=3
	v_cmp_ne_u16_e64 vcc_lo, 0, v180
	v_mov_b32_e32 v181, 0
	s_and_not1_b32 s13, s13, exec_lo
	s_delay_alu instid0(VALU_DEP_2) | instskip(NEXT) | instid1(SALU_CYCLE_1)
	s_and_b32 s17, vcc_lo, exec_lo
	s_or_b32 s13, s13, s17
	s_or_b32 exec_lo, exec_lo, s31
	s_and_saveexec_b32 s17, s13
	s_cbranch_execnz .LBB4_7325
	s_branch .LBB4_7326
.LBB4_7900:                             ;   in Loop: Header=BB4_6538 Depth=3
	s_mov_b32 s13, -1
	s_mov_b32 s34, exec_lo
                                        ; implicit-def: $sgpr17
	v_cmpx_eq_u16_e64 0x80, v179
; %bb.7901:                             ;   in Loop: Header=BB4_6538 Depth=3
	s_mov_b32 s17, 0x7f800001
	s_xor_b32 s13, exec_lo, -1
; %bb.7902:                             ;   in Loop: Header=BB4_6538 Depth=3
	s_or_b32 exec_lo, exec_lo, s34
	s_delay_alu instid0(SALU_CYCLE_1)
	s_and_b32 s13, s13, exec_lo
	s_or_saveexec_b32 s31, s31
	v_mov_b32_e32 v182, s17
	s_xor_b32 exec_lo, exec_lo, s31
	s_cbranch_execz .LBB4_7328
.LBB4_7903:                             ;   in Loop: Header=BB4_6538 Depth=3
	v_cmp_ne_u16_e64 vcc_lo, 0, v179
	v_mov_b32_e32 v182, 0
	s_and_not1_b32 s13, s13, exec_lo
	s_delay_alu instid0(VALU_DEP_2) | instskip(NEXT) | instid1(SALU_CYCLE_1)
	s_and_b32 s17, vcc_lo, exec_lo
	s_or_b32 s13, s13, s17
	s_or_b32 exec_lo, exec_lo, s31
	s_and_saveexec_b32 s17, s13
	s_cbranch_execnz .LBB4_7329
	s_branch .LBB4_7330
.LBB4_7904:                             ;   in Loop: Header=BB4_6538 Depth=3
	s_mov_b32 s13, -1
	s_mov_b32 s34, exec_lo
                                        ; implicit-def: $sgpr17
	v_cmpx_eq_u16_e64 0x80, v180
; %bb.7905:                             ;   in Loop: Header=BB4_6538 Depth=3
	s_mov_b32 s17, 0x7f800001
	s_xor_b32 s13, exec_lo, -1
; %bb.7906:                             ;   in Loop: Header=BB4_6538 Depth=3
	s_or_b32 exec_lo, exec_lo, s34
	s_delay_alu instid0(SALU_CYCLE_1)
	s_and_b32 s13, s13, exec_lo
	s_or_saveexec_b32 s31, s31
	v_mov_b32_e32 v181, s17
	s_xor_b32 exec_lo, exec_lo, s31
	s_cbranch_execz .LBB4_7335
.LBB4_7907:                             ;   in Loop: Header=BB4_6538 Depth=3
	v_cmp_ne_u16_e64 vcc_lo, 0, v180
	v_mov_b32_e32 v181, 0
	s_and_not1_b32 s13, s13, exec_lo
	s_delay_alu instid0(VALU_DEP_2) | instskip(NEXT) | instid1(SALU_CYCLE_1)
	s_and_b32 s17, vcc_lo, exec_lo
	s_or_b32 s13, s13, s17
	s_or_b32 exec_lo, exec_lo, s31
	s_and_saveexec_b32 s17, s13
	s_cbranch_execnz .LBB4_7336
	s_branch .LBB4_7337
.LBB4_7908:                             ;   in Loop: Header=BB4_6538 Depth=3
	s_mov_b32 s13, -1
	s_mov_b32 s34, exec_lo
                                        ; implicit-def: $sgpr17
	v_cmpx_eq_u16_e64 0x80, v179
; %bb.7909:                             ;   in Loop: Header=BB4_6538 Depth=3
	s_mov_b32 s17, 0x7f800001
	s_xor_b32 s13, exec_lo, -1
; %bb.7910:                             ;   in Loop: Header=BB4_6538 Depth=3
	s_or_b32 exec_lo, exec_lo, s34
	s_delay_alu instid0(SALU_CYCLE_1)
	s_and_b32 s13, s13, exec_lo
	s_or_saveexec_b32 s31, s31
	v_mov_b32_e32 v14, s17
	s_xor_b32 exec_lo, exec_lo, s31
	s_cbranch_execz .LBB4_7339
.LBB4_7911:                             ;   in Loop: Header=BB4_6538 Depth=3
	v_cmp_ne_u16_e64 vcc_lo, 0, v179
	v_mov_b32_e32 v14, 0
	s_and_not1_b32 s13, s13, exec_lo
	s_delay_alu instid0(VALU_DEP_2) | instskip(NEXT) | instid1(SALU_CYCLE_1)
	s_and_b32 s17, vcc_lo, exec_lo
	s_or_b32 s13, s13, s17
	s_or_b32 exec_lo, exec_lo, s31
	s_and_saveexec_b32 s17, s13
	s_cbranch_execnz .LBB4_7340
	s_branch .LBB4_7341
.LBB4_7912:                             ;   in Loop: Header=BB4_6538 Depth=3
	s_mov_b32 s13, -1
	s_mov_b32 s34, exec_lo
                                        ; implicit-def: $sgpr17
	v_cmpx_eq_u16_e64 0x80, v179
; %bb.7913:                             ;   in Loop: Header=BB4_6538 Depth=3
	s_mov_b32 s17, 0x7f800001
	s_xor_b32 s13, exec_lo, -1
; %bb.7914:                             ;   in Loop: Header=BB4_6538 Depth=3
	s_or_b32 exec_lo, exec_lo, s34
	s_delay_alu instid0(SALU_CYCLE_1)
	s_and_b32 s13, s13, exec_lo
                                        ; implicit-def: $vgpr179
	s_or_saveexec_b32 s31, s31
	v_mov_b32_e32 v14, s17
	s_xor_b32 exec_lo, exec_lo, s31
	s_cbranch_execz .LBB4_7353
.LBB4_7915:                             ;   in Loop: Header=BB4_6538 Depth=3
	v_cmp_ne_u16_e64 vcc_lo, 0, v179
	v_mov_b32_e32 v14, 0
	s_and_not1_b32 s13, s13, exec_lo
	s_delay_alu instid0(VALU_DEP_2) | instskip(NEXT) | instid1(SALU_CYCLE_1)
	s_and_b32 s17, vcc_lo, exec_lo
	s_or_b32 s13, s13, s17
	s_or_b32 exec_lo, exec_lo, s31
	s_and_saveexec_b32 s17, s13
	s_cbranch_execnz .LBB4_7354
	s_branch .LBB4_7355
.LBB4_7916:                             ;   in Loop: Header=BB4_6538 Depth=3
	s_mov_b32 s13, -1
	s_mov_b32 s34, exec_lo
                                        ; implicit-def: $sgpr17
	v_cmpx_eq_u16_e64 0x80, v180
; %bb.7917:                             ;   in Loop: Header=BB4_6538 Depth=3
	s_mov_b32 s17, 0x7f800001
	s_xor_b32 s13, exec_lo, -1
; %bb.7918:                             ;   in Loop: Header=BB4_6538 Depth=3
	s_or_b32 exec_lo, exec_lo, s34
	s_delay_alu instid0(SALU_CYCLE_1)
	s_and_b32 s13, s13, exec_lo
                                        ; implicit-def: $vgpr180
	s_or_saveexec_b32 s31, s31
	v_mov_b32_e32 v179, s17
	s_xor_b32 exec_lo, exec_lo, s31
	s_cbranch_execz .LBB4_7357
.LBB4_7919:                             ;   in Loop: Header=BB4_6538 Depth=3
	v_cmp_ne_u16_e64 vcc_lo, 0, v180
	v_mov_b32_e32 v179, 0
	s_and_not1_b32 s13, s13, exec_lo
	s_delay_alu instid0(VALU_DEP_2) | instskip(NEXT) | instid1(SALU_CYCLE_1)
	s_and_b32 s17, vcc_lo, exec_lo
	s_or_b32 s13, s13, s17
	s_or_b32 exec_lo, exec_lo, s31
	s_and_saveexec_b32 s17, s13
	s_cbranch_execnz .LBB4_7358
	s_branch .LBB4_7359
.LBB4_7920:                             ;   in Loop: Header=BB4_6538 Depth=3
	s_mov_b32 s13, -1
	s_mov_b32 s34, exec_lo
                                        ; implicit-def: $sgpr17
	v_cmpx_eq_u16_e64 0x80, v179
; %bb.7921:                             ;   in Loop: Header=BB4_6538 Depth=3
	s_mov_b32 s17, 0x7f800001
	s_xor_b32 s13, exec_lo, -1
; %bb.7922:                             ;   in Loop: Header=BB4_6538 Depth=3
	s_or_b32 exec_lo, exec_lo, s34
	s_delay_alu instid0(SALU_CYCLE_1)
	s_and_b32 s13, s13, exec_lo
                                        ; implicit-def: $vgpr179
	s_or_saveexec_b32 s31, s31
	v_mov_b32_e32 v14, s17
	s_xor_b32 exec_lo, exec_lo, s31
	s_cbranch_execz .LBB4_7364
.LBB4_7923:                             ;   in Loop: Header=BB4_6538 Depth=3
	v_cmp_ne_u16_e64 vcc_lo, 0, v179
	v_mov_b32_e32 v14, 0
	s_and_not1_b32 s13, s13, exec_lo
	s_delay_alu instid0(VALU_DEP_2) | instskip(NEXT) | instid1(SALU_CYCLE_1)
	s_and_b32 s17, vcc_lo, exec_lo
	s_or_b32 s13, s13, s17
	s_or_b32 exec_lo, exec_lo, s31
	s_and_saveexec_b32 s17, s13
	s_cbranch_execnz .LBB4_7365
	s_branch .LBB4_7366
.LBB4_7924:                             ;   in Loop: Header=BB4_6538 Depth=3
	s_mov_b32 s13, -1
	s_mov_b32 s34, exec_lo
                                        ; implicit-def: $sgpr17
	v_cmpx_eq_u16_e64 0x80, v180
; %bb.7925:                             ;   in Loop: Header=BB4_6538 Depth=3
	s_mov_b32 s17, 0x7f800001
	s_xor_b32 s13, exec_lo, -1
; %bb.7926:                             ;   in Loop: Header=BB4_6538 Depth=3
	s_or_b32 exec_lo, exec_lo, s34
	s_delay_alu instid0(SALU_CYCLE_1)
	s_and_b32 s13, s13, exec_lo
                                        ; implicit-def: $vgpr180
	s_or_saveexec_b32 s31, s31
	v_mov_b32_e32 v179, s17
	s_xor_b32 exec_lo, exec_lo, s31
	s_cbranch_execz .LBB4_7368
.LBB4_7927:                             ;   in Loop: Header=BB4_6538 Depth=3
	v_cmp_ne_u16_e64 vcc_lo, 0, v180
	v_mov_b32_e32 v179, 0
	s_and_not1_b32 s13, s13, exec_lo
	s_delay_alu instid0(VALU_DEP_2) | instskip(NEXT) | instid1(SALU_CYCLE_1)
	s_and_b32 s17, vcc_lo, exec_lo
	s_or_b32 s13, s13, s17
	s_or_b32 exec_lo, exec_lo, s31
	s_and_saveexec_b32 s17, s13
	s_cbranch_execnz .LBB4_7369
	s_branch .LBB4_7370
.LBB4_7928:                             ;   in Loop: Header=BB4_6538 Depth=3
	s_mov_b32 s13, -1
	s_mov_b32 s34, exec_lo
                                        ; implicit-def: $sgpr17
	v_cmpx_eq_u16_e64 0x80, v180
; %bb.7929:                             ;   in Loop: Header=BB4_6538 Depth=3
	s_mov_b32 s17, 0x7f800001
	s_xor_b32 s13, exec_lo, -1
; %bb.7930:                             ;   in Loop: Header=BB4_6538 Depth=3
	s_or_b32 exec_lo, exec_lo, s34
	s_delay_alu instid0(SALU_CYCLE_1)
	s_and_b32 s13, s13, exec_lo
	s_or_saveexec_b32 s31, s31
	v_mov_b32_e32 v181, s17
	s_xor_b32 exec_lo, exec_lo, s31
	s_cbranch_execz .LBB4_7382
.LBB4_7931:                             ;   in Loop: Header=BB4_6538 Depth=3
	v_cmp_ne_u16_e64 vcc_lo, 0, v180
	v_mov_b32_e32 v181, 0
	s_and_not1_b32 s13, s13, exec_lo
	s_delay_alu instid0(VALU_DEP_2) | instskip(NEXT) | instid1(SALU_CYCLE_1)
	s_and_b32 s17, vcc_lo, exec_lo
	s_or_b32 s13, s13, s17
	s_or_b32 exec_lo, exec_lo, s31
	s_and_saveexec_b32 s17, s13
	s_cbranch_execnz .LBB4_7383
	s_branch .LBB4_7384
.LBB4_7932:                             ;   in Loop: Header=BB4_6538 Depth=3
	s_mov_b32 s13, -1
	s_mov_b32 s34, exec_lo
                                        ; implicit-def: $sgpr17
	v_cmpx_eq_u16_e64 0x80, v179
; %bb.7933:                             ;   in Loop: Header=BB4_6538 Depth=3
	s_mov_b32 s17, 0x7f800001
	s_xor_b32 s13, exec_lo, -1
; %bb.7934:                             ;   in Loop: Header=BB4_6538 Depth=3
	s_or_b32 exec_lo, exec_lo, s34
	s_delay_alu instid0(SALU_CYCLE_1)
	s_and_b32 s13, s13, exec_lo
	s_or_saveexec_b32 s31, s31
	v_mov_b32_e32 v182, s17
	s_xor_b32 exec_lo, exec_lo, s31
	s_cbranch_execz .LBB4_7386
.LBB4_7935:                             ;   in Loop: Header=BB4_6538 Depth=3
	v_cmp_ne_u16_e64 vcc_lo, 0, v179
	v_mov_b32_e32 v182, 0
	s_and_not1_b32 s13, s13, exec_lo
	s_delay_alu instid0(VALU_DEP_2) | instskip(NEXT) | instid1(SALU_CYCLE_1)
	s_and_b32 s17, vcc_lo, exec_lo
	s_or_b32 s13, s13, s17
	s_or_b32 exec_lo, exec_lo, s31
	s_and_saveexec_b32 s17, s13
	s_cbranch_execnz .LBB4_7387
	s_branch .LBB4_7388
.LBB4_7936:                             ;   in Loop: Header=BB4_6538 Depth=3
	s_mov_b32 s13, -1
	s_mov_b32 s34, exec_lo
                                        ; implicit-def: $sgpr17
	v_cmpx_eq_u16_e64 0x80, v180
; %bb.7937:                             ;   in Loop: Header=BB4_6538 Depth=3
	s_mov_b32 s17, 0x7f800001
	s_xor_b32 s13, exec_lo, -1
; %bb.7938:                             ;   in Loop: Header=BB4_6538 Depth=3
	s_or_b32 exec_lo, exec_lo, s34
	s_delay_alu instid0(SALU_CYCLE_1)
	s_and_b32 s13, s13, exec_lo
	s_or_saveexec_b32 s31, s31
	v_mov_b32_e32 v181, s17
	s_xor_b32 exec_lo, exec_lo, s31
	s_cbranch_execz .LBB4_7393
.LBB4_7939:                             ;   in Loop: Header=BB4_6538 Depth=3
	v_cmp_ne_u16_e64 vcc_lo, 0, v180
	v_mov_b32_e32 v181, 0
	s_and_not1_b32 s13, s13, exec_lo
	s_delay_alu instid0(VALU_DEP_2) | instskip(NEXT) | instid1(SALU_CYCLE_1)
	s_and_b32 s17, vcc_lo, exec_lo
	s_or_b32 s13, s13, s17
	s_or_b32 exec_lo, exec_lo, s31
	s_and_saveexec_b32 s17, s13
	s_cbranch_execnz .LBB4_7394
	s_branch .LBB4_7395
.LBB4_7940:                             ;   in Loop: Header=BB4_6538 Depth=3
	s_mov_b32 s13, -1
	s_mov_b32 s34, exec_lo
                                        ; implicit-def: $sgpr17
	v_cmpx_eq_u16_e64 0x80, v179
; %bb.7941:                             ;   in Loop: Header=BB4_6538 Depth=3
	s_mov_b32 s17, 0x7f800001
	s_xor_b32 s13, exec_lo, -1
; %bb.7942:                             ;   in Loop: Header=BB4_6538 Depth=3
	s_or_b32 exec_lo, exec_lo, s34
	s_delay_alu instid0(SALU_CYCLE_1)
	s_and_b32 s13, s13, exec_lo
	s_or_saveexec_b32 s31, s31
	v_mov_b32_e32 v180, s17
	s_xor_b32 exec_lo, exec_lo, s31
	s_cbranch_execz .LBB4_7397
.LBB4_7943:                             ;   in Loop: Header=BB4_6538 Depth=3
	v_cmp_ne_u16_e64 vcc_lo, 0, v179
	v_mov_b32_e32 v180, 0
	s_and_not1_b32 s13, s13, exec_lo
	s_delay_alu instid0(VALU_DEP_2) | instskip(NEXT) | instid1(SALU_CYCLE_1)
	s_and_b32 s17, vcc_lo, exec_lo
	s_or_b32 s13, s13, s17
	s_or_b32 exec_lo, exec_lo, s31
	s_and_saveexec_b32 s17, s13
	s_cbranch_execnz .LBB4_7398
	s_branch .LBB4_7399
.LBB4_7944:                             ;   in Loop: Header=BB4_6538 Depth=3
	s_mov_b32 s13, -1
	s_mov_b32 s34, exec_lo
                                        ; implicit-def: $sgpr17
	v_cmpx_eq_u16_e64 0x80, v183
; %bb.7945:                             ;   in Loop: Header=BB4_6538 Depth=3
	s_mov_b32 s17, 0x7f800001
	s_xor_b32 s13, exec_lo, -1
; %bb.7946:                             ;   in Loop: Header=BB4_6538 Depth=3
	s_or_b32 exec_lo, exec_lo, s34
	s_delay_alu instid0(SALU_CYCLE_1)
	s_and_b32 s13, s13, exec_lo
                                        ; implicit-def: $vgpr183
	s_or_saveexec_b32 s31, s31
	v_mov_b32_e32 v182, s17
	s_xor_b32 exec_lo, exec_lo, s31
	s_cbranch_execz .LBB4_7411
.LBB4_7947:                             ;   in Loop: Header=BB4_6538 Depth=3
	v_cmp_ne_u16_e64 vcc_lo, 0, v183
	v_mov_b32_e32 v182, 0
	s_and_not1_b32 s13, s13, exec_lo
	s_delay_alu instid0(VALU_DEP_2) | instskip(NEXT) | instid1(SALU_CYCLE_1)
	s_and_b32 s17, vcc_lo, exec_lo
	s_or_b32 s13, s13, s17
	s_or_b32 exec_lo, exec_lo, s31
	s_and_saveexec_b32 s17, s13
	s_cbranch_execnz .LBB4_7412
	s_branch .LBB4_7413
.LBB4_7948:                             ;   in Loop: Header=BB4_6538 Depth=3
	s_mov_b32 s13, -1
	s_mov_b32 s34, exec_lo
                                        ; implicit-def: $sgpr17
	v_cmpx_eq_u16_e32 0x80, v40
; %bb.7949:                             ;   in Loop: Header=BB4_6538 Depth=3
	s_mov_b32 s17, 0x7f800001
	s_xor_b32 s13, exec_lo, -1
; %bb.7950:                             ;   in Loop: Header=BB4_6538 Depth=3
	s_or_b32 exec_lo, exec_lo, s34
	s_delay_alu instid0(SALU_CYCLE_1)
	s_and_b32 s13, s13, exec_lo
                                        ; implicit-def: $vgpr40
	s_or_saveexec_b32 s31, s31
	v_mov_b32_e32 v183, s17
	s_xor_b32 exec_lo, exec_lo, s31
	s_cbranch_execz .LBB4_7415
.LBB4_7951:                             ;   in Loop: Header=BB4_6538 Depth=3
	v_cmp_ne_u16_e32 vcc_lo, 0, v40
	v_mov_b32_e32 v183, 0
	s_and_not1_b32 s13, s13, exec_lo
	s_and_b32 s17, vcc_lo, exec_lo
	s_delay_alu instid0(SALU_CYCLE_1)
	s_or_b32 s13, s13, s17
	s_or_b32 exec_lo, exec_lo, s31
	s_and_saveexec_b32 s17, s13
	s_cbranch_execnz .LBB4_7416
	s_branch .LBB4_7417
.LBB4_7952:                             ;   in Loop: Header=BB4_6538 Depth=3
	s_mov_b32 s13, -1
	s_mov_b32 s34, exec_lo
                                        ; implicit-def: $sgpr17
	v_cmpx_eq_u16_e64 0x80, v183
; %bb.7953:                             ;   in Loop: Header=BB4_6538 Depth=3
	s_mov_b32 s17, 0x7f800001
	s_xor_b32 s13, exec_lo, -1
; %bb.7954:                             ;   in Loop: Header=BB4_6538 Depth=3
	s_or_b32 exec_lo, exec_lo, s34
	s_delay_alu instid0(SALU_CYCLE_1)
	s_and_b32 s13, s13, exec_lo
                                        ; implicit-def: $vgpr183
	s_or_saveexec_b32 s31, s31
	v_mov_b32_e32 v182, s17
	s_xor_b32 exec_lo, exec_lo, s31
	s_cbranch_execz .LBB4_7422
.LBB4_7955:                             ;   in Loop: Header=BB4_6538 Depth=3
	v_cmp_ne_u16_e64 vcc_lo, 0, v183
	v_mov_b32_e32 v182, 0
	s_and_not1_b32 s13, s13, exec_lo
	s_delay_alu instid0(VALU_DEP_2) | instskip(NEXT) | instid1(SALU_CYCLE_1)
	s_and_b32 s17, vcc_lo, exec_lo
	s_or_b32 s13, s13, s17
	s_or_b32 exec_lo, exec_lo, s31
	s_and_saveexec_b32 s17, s13
	s_cbranch_execnz .LBB4_7423
	s_branch .LBB4_7424
.LBB4_7956:                             ;   in Loop: Header=BB4_6538 Depth=3
	s_mov_b32 s13, -1
	s_mov_b32 s34, exec_lo
                                        ; implicit-def: $sgpr17
	v_cmpx_eq_u16_e64 0x80, v183
; %bb.7957:                             ;   in Loop: Header=BB4_6538 Depth=3
	s_mov_b32 s17, 0x7f800001
	s_xor_b32 s13, exec_lo, -1
; %bb.7958:                             ;   in Loop: Header=BB4_6538 Depth=3
	s_or_b32 exec_lo, exec_lo, s34
	s_delay_alu instid0(SALU_CYCLE_1)
	s_and_b32 s13, s13, exec_lo
                                        ; implicit-def: $vgpr183
	s_or_saveexec_b32 s31, s31
	v_mov_b32_e32 v181, s17
	s_xor_b32 exec_lo, exec_lo, s31
	s_cbranch_execz .LBB4_7426
.LBB4_7959:                             ;   in Loop: Header=BB4_6538 Depth=3
	v_cmp_ne_u16_e64 vcc_lo, 0, v183
	v_mov_b32_e32 v181, 0
	s_and_not1_b32 s13, s13, exec_lo
	s_delay_alu instid0(VALU_DEP_2) | instskip(NEXT) | instid1(SALU_CYCLE_1)
	s_and_b32 s17, vcc_lo, exec_lo
	s_or_b32 s13, s13, s17
	s_or_b32 exec_lo, exec_lo, s31
	s_and_saveexec_b32 s17, s13
	s_cbranch_execnz .LBB4_7427
	s_branch .LBB4_7428
.LBB4_7960:                             ;   in Loop: Header=BB4_6538 Depth=3
	s_mov_b32 s13, -1
	s_mov_b32 s34, exec_lo
                                        ; implicit-def: $sgpr17
	v_cmpx_eq_u16_e64 0x80, v182
; %bb.7961:                             ;   in Loop: Header=BB4_6538 Depth=3
	s_mov_b32 s17, 0x7f800001
	s_xor_b32 s13, exec_lo, -1
; %bb.7962:                             ;   in Loop: Header=BB4_6538 Depth=3
	s_or_b32 exec_lo, exec_lo, s34
	s_delay_alu instid0(SALU_CYCLE_1)
	s_and_b32 s13, s13, exec_lo
	s_or_saveexec_b32 s31, s31
	v_mov_b32_e32 v183, s17
	s_xor_b32 exec_lo, exec_lo, s31
	s_cbranch_execz .LBB4_7440
.LBB4_7963:                             ;   in Loop: Header=BB4_6538 Depth=3
	v_cmp_ne_u16_e64 vcc_lo, 0, v182
	v_mov_b32_e32 v183, 0
	s_and_not1_b32 s13, s13, exec_lo
	s_delay_alu instid0(VALU_DEP_2) | instskip(NEXT) | instid1(SALU_CYCLE_1)
	s_and_b32 s17, vcc_lo, exec_lo
	s_or_b32 s13, s13, s17
	s_or_b32 exec_lo, exec_lo, s31
	s_and_saveexec_b32 s17, s13
	s_cbranch_execnz .LBB4_7441
	s_branch .LBB4_7442
.LBB4_7964:                             ;   in Loop: Header=BB4_6538 Depth=3
	s_mov_b32 s13, -1
	s_mov_b32 s34, exec_lo
                                        ; implicit-def: $sgpr17
	v_cmpx_eq_u16_e64 0x80, v181
; %bb.7965:                             ;   in Loop: Header=BB4_6538 Depth=3
	s_mov_b32 s17, 0x7f800001
	s_xor_b32 s13, exec_lo, -1
; %bb.7966:                             ;   in Loop: Header=BB4_6538 Depth=3
	s_or_b32 exec_lo, exec_lo, s34
	s_delay_alu instid0(SALU_CYCLE_1)
	s_and_b32 s13, s13, exec_lo
	s_or_saveexec_b32 s31, s31
	v_mov_b32_e32 v40, s17
	s_xor_b32 exec_lo, exec_lo, s31
	s_cbranch_execz .LBB4_7444
.LBB4_7967:                             ;   in Loop: Header=BB4_6538 Depth=3
	v_cmp_ne_u16_e64 vcc_lo, 0, v181
	v_mov_b32_e32 v40, 0
	s_and_not1_b32 s13, s13, exec_lo
	s_delay_alu instid0(VALU_DEP_2) | instskip(NEXT) | instid1(SALU_CYCLE_1)
	s_and_b32 s17, vcc_lo, exec_lo
	s_or_b32 s13, s13, s17
	s_or_b32 exec_lo, exec_lo, s31
	s_and_saveexec_b32 s17, s13
	s_cbranch_execnz .LBB4_7445
	s_branch .LBB4_7446
.LBB4_7968:                             ;   in Loop: Header=BB4_6538 Depth=3
	s_mov_b32 s13, -1
	s_mov_b32 s34, exec_lo
                                        ; implicit-def: $sgpr17
	v_cmpx_eq_u16_e64 0x80, v182
; %bb.7969:                             ;   in Loop: Header=BB4_6538 Depth=3
	s_mov_b32 s17, 0x7f800001
	s_xor_b32 s13, exec_lo, -1
; %bb.7970:                             ;   in Loop: Header=BB4_6538 Depth=3
	s_or_b32 exec_lo, exec_lo, s34
	s_delay_alu instid0(SALU_CYCLE_1)
	s_and_b32 s13, s13, exec_lo
	s_or_saveexec_b32 s31, s31
	v_mov_b32_e32 v183, s17
	s_xor_b32 exec_lo, exec_lo, s31
	s_cbranch_execz .LBB4_7451
.LBB4_7971:                             ;   in Loop: Header=BB4_6538 Depth=3
	v_cmp_ne_u16_e64 vcc_lo, 0, v182
	v_mov_b32_e32 v183, 0
	s_and_not1_b32 s13, s13, exec_lo
	s_delay_alu instid0(VALU_DEP_2) | instskip(NEXT) | instid1(SALU_CYCLE_1)
	s_and_b32 s17, vcc_lo, exec_lo
	s_or_b32 s13, s13, s17
	s_or_b32 exec_lo, exec_lo, s31
	s_and_saveexec_b32 s17, s13
	s_cbranch_execnz .LBB4_7452
	s_branch .LBB4_7453
.LBB4_7972:                             ;   in Loop: Header=BB4_6538 Depth=3
	s_mov_b32 s13, -1
	s_mov_b32 s34, exec_lo
                                        ; implicit-def: $sgpr17
	v_cmpx_eq_u16_e64 0x80, v181
; %bb.7973:                             ;   in Loop: Header=BB4_6538 Depth=3
	s_mov_b32 s17, 0x7f800001
	s_xor_b32 s13, exec_lo, -1
; %bb.7974:                             ;   in Loop: Header=BB4_6538 Depth=3
	s_or_b32 exec_lo, exec_lo, s34
	s_delay_alu instid0(SALU_CYCLE_1)
	s_and_b32 s13, s13, exec_lo
	s_or_saveexec_b32 s31, s31
	v_mov_b32_e32 v15, s17
	s_xor_b32 exec_lo, exec_lo, s31
	s_cbranch_execz .LBB4_7455
.LBB4_7975:                             ;   in Loop: Header=BB4_6538 Depth=3
	v_cmp_ne_u16_e64 vcc_lo, 0, v181
	v_mov_b32_e32 v15, 0
	s_and_not1_b32 s13, s13, exec_lo
	s_delay_alu instid0(VALU_DEP_2) | instskip(NEXT) | instid1(SALU_CYCLE_1)
	s_and_b32 s17, vcc_lo, exec_lo
	s_or_b32 s13, s13, s17
	s_or_b32 exec_lo, exec_lo, s31
	s_and_saveexec_b32 s17, s13
	s_cbranch_execnz .LBB4_7456
	s_branch .LBB4_7457
.LBB4_7976:                             ;   in Loop: Header=BB4_3484 Depth=2
	s_or_b32 exec_lo, exec_lo, s15
.LBB4_7977:                             ;   in Loop: Header=BB4_3484 Depth=2
	s_delay_alu instid0(SALU_CYCLE_1) | instskip(SKIP_4) | instid1(VALU_DEP_2)
	s_or_b32 exec_lo, exec_lo, s14
	v_lshlrev_b32_e32 v22, 10, v84
	v_mov_b32_e32 v14, 0
	s_mov_b32 s13, 0
	s_mov_b32 s15, exec_lo
                                        ; implicit-def: $vgpr15
                                        ; implicit-def: $vgpr16
                                        ; implicit-def: $vgpr8
	v_cmpx_ne_u32_e64 v148, v22
	s_cbranch_execz .LBB4_8706
; %bb.7978:                             ;   in Loop: Header=BB4_3484 Depth=2
	v_lshlrev_b32_e32 v2, 5, v2
	v_sub_nc_u32_e32 v9, v148, v22
	s_mov_b32 s16, exec_lo
	s_delay_alu instid0(VALU_DEP_2) | instskip(NEXT) | instid1(VALU_DEP_2)
	v_sub_nc_u32_e32 v2, v100, v2
	v_ashrrev_i32_e32 v10, 31, v9
	s_delay_alu instid0(VALU_DEP_2) | instskip(NEXT) | instid1(VALU_DEP_2)
	v_ashrrev_i32_e32 v8, 31, v2
	v_lshrrev_b32_e32 v10, 23, v10
	s_delay_alu instid0(VALU_DEP_2) | instskip(NEXT) | instid1(VALU_DEP_2)
	v_lshrrev_b32_e32 v8, 27, v8
	v_add_nc_u32_e32 v10, v9, v10
	s_delay_alu instid0(VALU_DEP_2) | instskip(NEXT) | instid1(VALU_DEP_1)
	v_add_nc_u32_e32 v8, v2, v8
	v_and_b32_e32 v11, 0xffffffe0, v8
	s_delay_alu instid0(VALU_DEP_1) | instskip(NEXT) | instid1(VALU_DEP_4)
	v_sub_nc_u32_e32 v23, v2, v11
	v_and_b32_e32 v2, 0xfffffe00, v10
	v_ashrrev_i32_e32 v11, 5, v8
	v_ashrrev_i32_e32 v10, 9, v10
	s_delay_alu instid0(VALU_DEP_4) | instskip(NEXT) | instid1(VALU_DEP_4)
	v_lshlrev_b32_e32 v8, 4, v23
	v_sub_nc_u32_e32 v69, v9, v2
	s_delay_alu instid0(VALU_DEP_2) | instskip(NEXT) | instid1(VALU_DEP_2)
	v_lshl_add_u32 v8, v11, 9, v8
	v_cmp_lt_i32_e64 s13, 15, v69
	s_delay_alu instid0(VALU_DEP_2) | instskip(NEXT) | instid1(VALU_DEP_2)
	v_sub_nc_u32_e32 v80, v9, v8
	v_add_co_ci_u32_e64 v10, vcc_lo, 0, v10, s13
	s_delay_alu instid0(VALU_DEP_1) | instskip(NEXT) | instid1(VALU_DEP_3)
	v_sub_nc_u32_e32 v70, v10, v11
	v_cmpx_lt_i32_e32 15, v80
	s_cbranch_execz .LBB4_8703
; %bb.7979:                             ;   in Loop: Header=BB4_3484 Depth=2
	s_cbranch_execnz .LBB4_10614
; %bb.7980:                             ;   in Loop: Header=BB4_3484 Depth=2
	ds_load_b128 v[9:12], v0
	ds_load_b64 v[13:14], v0
	v_add_nc_u32_e32 v8, v8, v22
	s_bitcmp1_b32 s30, 0
	s_mov_b32 s17, 0
	s_cselect_b32 s31, -1, 0
	s_delay_alu instid0(VALU_DEP_1) | instskip(SKIP_2) | instid1(VALU_DEP_2)
	v_ashrrev_i32_e32 v15, 31, v8
	s_waitcnt lgkmcnt(1)
	v_add_co_u32 v16, vcc_lo, v9, v8
	v_add_co_ci_u32_e32 v17, vcc_lo, v10, v15, vcc_lo
	v_add_co_u32 v18, vcc_lo, v11, v8
	v_add_co_ci_u32_e32 v19, vcc_lo, v12, v15, vcc_lo
	s_waitcnt lgkmcnt(0)
	v_add_co_u32 v20, vcc_lo, v13, v8
	v_add_co_ci_u32_e32 v21, vcc_lo, v14, v15, vcc_lo
	s_branch .LBB4_7984
.LBB4_7981:                             ;   in Loop: Header=BB4_7984 Depth=3
	s_or_b32 exec_lo, exec_lo, s14
	s_delay_alu instid0(VALU_DEP_1) | instskip(NEXT) | instid1(VALU_DEP_2)
	v_lshrrev_b32_e32 v15, 20, v15
	v_min_i32_e32 v161, 15, v11
	v_cmp_gt_i32_e32 vcc_lo, 16, v11
	v_lshrrev_b32_e32 v162, 24, v163
	s_delay_alu instid0(VALU_DEP_3) | instskip(NEXT) | instid1(VALU_DEP_2)
	v_lshlrev_b32_e32 v161, 3, v161
	v_dual_cndmask_b32 v15, 7, v15 :: v_dual_and_b32 v162, 0x80, v162
	s_delay_alu instid0(VALU_DEP_2) | instskip(NEXT) | instid1(VALU_DEP_2)
	v_and_b32_e32 v161, 0xf8, v161
	v_and_b32_e32 v163, 7, v15
	v_or_b32_e32 v11, v11, v15
	s_delay_alu instid0(VALU_DEP_2) | instskip(NEXT) | instid1(VALU_DEP_2)
	v_or3_b32 v161, v162, v161, v163
	v_cmp_ne_u32_e32 vcc_lo, 0, v11
	s_delay_alu instid0(VALU_DEP_2) | instskip(NEXT) | instid1(VALU_DEP_1)
	v_lshlrev_b32_e32 v15, 8, v161
	v_cndmask_b32_e32 v11, 0, v15, vcc_lo
.LBB4_7982:                             ;   in Loop: Header=BB4_7984 Depth=3
	s_or_b32 exec_lo, exec_lo, s35
.LBB4_7983:                             ;   in Loop: Header=BB4_7984 Depth=3
	s_delay_alu instid0(SALU_CYCLE_1)
	s_or_b32 exec_lo, exec_lo, s34
	v_lshlrev_b32_e32 v15, 8, v84
	v_and_b32_e32 v83, 0xff, v83
	v_or_b32_e32 v9, v9, v85
	v_lshlrev_b32_e32 v82, 8, v82
	v_lshlrev_b32_e32 v84, 8, v149
	v_perm_b32 v12, v15, v12, 0xc0c0500
	v_lshlrev_b32_e32 v15, 16, v83
	v_and_b32_e32 v83, 0xff, v150
	v_lshlrev_b32_e32 v85, 8, v151
	v_lshlrev_b32_e32 v8, 24, v8
	v_perm_b32 v81, v82, v81, 0xc0c0500
	v_lshlrev_b32_e32 v10, 24, v10
	v_lshlrev_b32_e32 v82, 16, v83
	v_perm_b32 v13, v84, v13, 0xc0c0500
	v_perm_b32 v14, v85, v14, 0xc0c0500
	v_or_b32_e32 v11, v11, v160
	v_add_co_u32 v16, vcc_lo, v16, v117
	v_lshl_or_b32 v9, v9, 16, v12
	v_or3_b32 v8, v8, v15, v81
	v_or3_b32 v10, v10, v82, v13
	v_lshl_or_b32 v11, v11, 16, v14
	v_sub_nc_u32_e32 v80, v80, v101
	v_add_co_ci_u32_e32 v17, vcc_lo, v17, v118, vcc_lo
	v_add_co_u32 v18, vcc_lo, v18, v117
	v_add_co_ci_u32_e32 v19, vcc_lo, v19, v118, vcc_lo
	global_store_b128 v[20:21], v[8:11], off glc slc dlc
	v_cmp_gt_i32_e32 vcc_lo, 16, v80
	v_add_co_u32 v20, s14, v20, v117
	s_delay_alu instid0(VALU_DEP_1) | instskip(SKIP_2) | instid1(SALU_CYCLE_1)
	v_add_co_ci_u32_e64 v21, s14, v21, v118, s14
	v_sub_nc_u32_e32 v70, v70, v97
	s_or_b32 s17, vcc_lo, s17
	s_and_not1_b32 exec_lo, exec_lo, s17
	s_cbranch_execz .LBB4_8702
.LBB4_7984:                             ;   Parent Loop BB4_51 Depth=1
                                        ;     Parent Loop BB4_3484 Depth=2
                                        ; =>    This Inner Loop Header: Depth=3
	global_load_b128 v[12:15], v[16:17], off slc dlc
	global_load_b128 v[8:11], v[18:19], off slc dlc
	s_and_b32 vcc_lo, exec_lo, s31
	s_cbranch_vccz .LBB4_7994
; %bb.7985:                             ;   in Loop: Header=BB4_7984 Depth=3
	s_waitcnt vmcnt(1)
	v_and_b32_e32 v82, 0xff, v12
	s_mov_b32 s14, 0
	s_mov_b32 s35, exec_lo
                                        ; implicit-def: $sgpr34
	s_delay_alu instid0(VALU_DEP_1)
	v_cmpx_lt_i16_e32 0x7f, v82
	s_xor_b32 s35, exec_lo, s35
	s_cbranch_execnz .LBB4_8446
; %bb.7986:                             ;   in Loop: Header=BB4_7984 Depth=3
	s_or_saveexec_b32 s35, s35
	v_mov_b32_e32 v81, s34
	s_xor_b32 exec_lo, exec_lo, s35
	s_cbranch_execnz .LBB4_8449
.LBB4_7987:                             ;   in Loop: Header=BB4_7984 Depth=3
	s_or_b32 exec_lo, exec_lo, s35
	s_and_saveexec_b32 s34, s14
	s_cbranch_execz .LBB4_7989
.LBB4_7988:                             ;   in Loop: Header=BB4_7984 Depth=3
	v_bfe_u32 v84, v12, 3, 4
	v_lshlrev_b32_e32 v85, 24, v12
	s_delay_alu instid0(VALU_DEP_2) | instskip(SKIP_1) | instid1(VALU_DEP_1)
	v_cmp_eq_u32_e32 vcc_lo, 0, v84
	v_and_b32_e32 v81, 7, v12
	v_clz_i32_u32_e32 v82, v81
	s_delay_alu instid0(VALU_DEP_1) | instskip(NEXT) | instid1(VALU_DEP_1)
	v_min_u32_e32 v82, 32, v82
	v_subrev_nc_u32_e32 v83, 28, v82
	v_sub_nc_u32_e32 v82, 29, v82
	s_delay_alu instid0(VALU_DEP_1) | instskip(NEXT) | instid1(VALU_DEP_1)
	v_dual_cndmask_b32 v82, v84, v82 :: v_dual_lshlrev_b32 v83, v83, v12
	v_and_b32_e32 v83, 7, v83
	s_delay_alu instid0(VALU_DEP_2) | instskip(NEXT) | instid1(VALU_DEP_2)
	v_lshl_add_u32 v82, v82, 23, 0x3b800000
	v_cndmask_b32_e32 v81, v81, v83, vcc_lo
	v_and_b32_e32 v83, 0x80000000, v85
	s_delay_alu instid0(VALU_DEP_2) | instskip(NEXT) | instid1(VALU_DEP_1)
	v_lshlrev_b32_e32 v81, 20, v81
	v_or3_b32 v81, v83, v82, v81
.LBB4_7989:                             ;   in Loop: Header=BB4_7984 Depth=3
	s_or_b32 exec_lo, exec_lo, s34
	s_waitcnt vmcnt(0)
	v_and_b32_e32 v83, 0xff, v8
	s_mov_b32 s14, 0
	s_mov_b32 s35, exec_lo
                                        ; implicit-def: $sgpr34
	s_delay_alu instid0(VALU_DEP_1)
	v_cmpx_lt_i16_e32 0x7f, v83
	s_xor_b32 s35, exec_lo, s35
	s_cbranch_execnz .LBB4_8450
; %bb.7990:                             ;   in Loop: Header=BB4_7984 Depth=3
	s_or_saveexec_b32 s35, s35
	v_mov_b32_e32 v82, s34
	s_xor_b32 exec_lo, exec_lo, s35
	s_cbranch_execnz .LBB4_8453
.LBB4_7991:                             ;   in Loop: Header=BB4_7984 Depth=3
	s_or_b32 exec_lo, exec_lo, s35
	s_and_saveexec_b32 s34, s14
	s_cbranch_execz .LBB4_7993
.LBB4_7992:                             ;   in Loop: Header=BB4_7984 Depth=3
	v_bfe_u32 v85, v8, 3, 4
	v_lshlrev_b32_e32 v149, 24, v8
	s_delay_alu instid0(VALU_DEP_2) | instskip(SKIP_1) | instid1(VALU_DEP_1)
	v_cmp_eq_u32_e32 vcc_lo, 0, v85
	v_and_b32_e32 v82, 7, v8
	v_clz_i32_u32_e32 v83, v82
	s_delay_alu instid0(VALU_DEP_1) | instskip(NEXT) | instid1(VALU_DEP_1)
	v_min_u32_e32 v83, 32, v83
	v_subrev_nc_u32_e32 v84, 28, v83
	v_sub_nc_u32_e32 v83, 29, v83
	s_delay_alu instid0(VALU_DEP_1) | instskip(NEXT) | instid1(VALU_DEP_1)
	v_dual_cndmask_b32 v83, v85, v83 :: v_dual_lshlrev_b32 v84, v84, v8
	v_and_b32_e32 v84, 7, v84
	s_delay_alu instid0(VALU_DEP_2) | instskip(NEXT) | instid1(VALU_DEP_2)
	v_lshl_add_u32 v83, v83, 23, 0x3b800000
	v_cndmask_b32_e32 v82, v82, v84, vcc_lo
	v_and_b32_e32 v84, 0x80000000, v149
	s_delay_alu instid0(VALU_DEP_2) | instskip(NEXT) | instid1(VALU_DEP_1)
	v_lshlrev_b32_e32 v82, 20, v82
	v_or3_b32 v82, v84, v83, v82
.LBB4_7993:                             ;   in Loop: Header=BB4_7984 Depth=3
	s_or_b32 exec_lo, exec_lo, s34
	s_delay_alu instid0(VALU_DEP_1) | instskip(SKIP_1) | instid1(VALU_DEP_1)
	v_dual_max_f32 v82, v82, v82 :: v_dual_max_f32 v81, v81, v81
	s_mov_b32 s14, 0
	v_max_f32_e32 v82, v81, v82
	s_branch .LBB4_7995
.LBB4_7994:                             ;   in Loop: Header=BB4_7984 Depth=3
	s_mov_b32 s14, -1
                                        ; implicit-def: $vgpr82
.LBB4_7995:                             ;   in Loop: Header=BB4_7984 Depth=3
	s_delay_alu instid0(SALU_CYCLE_1)
	s_and_b32 vcc_lo, exec_lo, s14
	s_cbranch_vccz .LBB4_8005
; %bb.7996:                             ;   in Loop: Header=BB4_7984 Depth=3
	s_waitcnt vmcnt(1)
	v_and_b32_e32 v82, 0xff, v12
	s_mov_b32 s14, 0
	s_mov_b32 s35, exec_lo
                                        ; implicit-def: $sgpr34
	s_delay_alu instid0(VALU_DEP_1)
	v_cmpx_lt_i16_e32 0x7f, v82
	s_xor_b32 s35, exec_lo, s35
	s_cbranch_execnz .LBB4_8454
; %bb.7997:                             ;   in Loop: Header=BB4_7984 Depth=3
	s_or_saveexec_b32 s35, s35
	v_mov_b32_e32 v81, s34
	s_xor_b32 exec_lo, exec_lo, s35
	s_cbranch_execnz .LBB4_8457
.LBB4_7998:                             ;   in Loop: Header=BB4_7984 Depth=3
	s_or_b32 exec_lo, exec_lo, s35
	s_and_saveexec_b32 s34, s14
	s_cbranch_execz .LBB4_8000
.LBB4_7999:                             ;   in Loop: Header=BB4_7984 Depth=3
	v_bfe_u32 v84, v12, 3, 4
	v_lshlrev_b32_e32 v85, 24, v12
	s_delay_alu instid0(VALU_DEP_2) | instskip(SKIP_1) | instid1(VALU_DEP_1)
	v_cmp_eq_u32_e32 vcc_lo, 0, v84
	v_and_b32_e32 v81, 7, v12
	v_clz_i32_u32_e32 v82, v81
	s_delay_alu instid0(VALU_DEP_1) | instskip(NEXT) | instid1(VALU_DEP_1)
	v_min_u32_e32 v82, 32, v82
	v_subrev_nc_u32_e32 v83, 28, v82
	v_sub_nc_u32_e32 v82, 29, v82
	s_delay_alu instid0(VALU_DEP_1) | instskip(NEXT) | instid1(VALU_DEP_1)
	v_dual_cndmask_b32 v82, v84, v82 :: v_dual_lshlrev_b32 v83, v83, v12
	v_and_b32_e32 v83, 7, v83
	s_delay_alu instid0(VALU_DEP_2) | instskip(NEXT) | instid1(VALU_DEP_2)
	v_lshl_add_u32 v82, v82, 23, 0x3b800000
	v_cndmask_b32_e32 v81, v81, v83, vcc_lo
	v_and_b32_e32 v83, 0x80000000, v85
	s_delay_alu instid0(VALU_DEP_2) | instskip(NEXT) | instid1(VALU_DEP_1)
	v_lshlrev_b32_e32 v81, 20, v81
	v_or3_b32 v81, v83, v82, v81
.LBB4_8000:                             ;   in Loop: Header=BB4_7984 Depth=3
	s_or_b32 exec_lo, exec_lo, s34
	s_waitcnt vmcnt(0)
	v_and_b32_e32 v83, 0xff, v8
	s_mov_b32 s14, 0
	s_mov_b32 s35, exec_lo
                                        ; implicit-def: $sgpr34
	s_delay_alu instid0(VALU_DEP_1)
	v_cmpx_lt_i16_e32 0x7f, v83
	s_xor_b32 s35, exec_lo, s35
	s_cbranch_execnz .LBB4_8458
; %bb.8001:                             ;   in Loop: Header=BB4_7984 Depth=3
	s_or_saveexec_b32 s35, s35
	v_mov_b32_e32 v82, s34
	s_xor_b32 exec_lo, exec_lo, s35
	s_cbranch_execnz .LBB4_8461
.LBB4_8002:                             ;   in Loop: Header=BB4_7984 Depth=3
	s_or_b32 exec_lo, exec_lo, s35
	s_and_saveexec_b32 s34, s14
	s_cbranch_execz .LBB4_8004
.LBB4_8003:                             ;   in Loop: Header=BB4_7984 Depth=3
	v_bfe_u32 v85, v8, 3, 4
	v_lshlrev_b32_e32 v149, 24, v8
	s_delay_alu instid0(VALU_DEP_2) | instskip(SKIP_1) | instid1(VALU_DEP_1)
	v_cmp_eq_u32_e32 vcc_lo, 0, v85
	v_and_b32_e32 v82, 7, v8
	v_clz_i32_u32_e32 v83, v82
	s_delay_alu instid0(VALU_DEP_1) | instskip(NEXT) | instid1(VALU_DEP_1)
	v_min_u32_e32 v83, 32, v83
	v_subrev_nc_u32_e32 v84, 28, v83
	v_sub_nc_u32_e32 v83, 29, v83
	s_delay_alu instid0(VALU_DEP_1) | instskip(NEXT) | instid1(VALU_DEP_1)
	v_dual_cndmask_b32 v83, v85, v83 :: v_dual_lshlrev_b32 v84, v84, v8
	v_and_b32_e32 v84, 7, v84
	s_delay_alu instid0(VALU_DEP_2) | instskip(NEXT) | instid1(VALU_DEP_2)
	v_lshl_add_u32 v83, v83, 23, 0x3b800000
	v_cndmask_b32_e32 v82, v82, v84, vcc_lo
	v_and_b32_e32 v84, 0x80000000, v149
	s_delay_alu instid0(VALU_DEP_2) | instskip(NEXT) | instid1(VALU_DEP_1)
	v_lshlrev_b32_e32 v82, 20, v82
	v_or3_b32 v82, v84, v83, v82
.LBB4_8004:                             ;   in Loop: Header=BB4_7984 Depth=3
	s_or_b32 exec_lo, exec_lo, s34
	s_delay_alu instid0(VALU_DEP_1) | instskip(NEXT) | instid1(VALU_DEP_1)
	v_dual_max_f32 v82, v82, v82 :: v_dual_max_f32 v81, v81, v81
	v_min_f32_e32 v82, v81, v82
.LBB4_8005:                             ;   in Loop: Header=BB4_7984 Depth=3
	s_delay_alu instid0(VALU_DEP_1) | instskip(NEXT) | instid1(VALU_DEP_1)
	v_and_b32_e32 v81, 0x7f800000, v82
	v_cmp_ne_u32_e32 vcc_lo, 0x7f800000, v81
	v_mov_b32_e32 v81, 0x80
	s_and_saveexec_b32 s34, vcc_lo
	s_cbranch_execz .LBB4_8013
; %bb.8006:                             ;   in Loop: Header=BB4_7984 Depth=3
	v_mov_b32_e32 v81, 0
	s_mov_b32 s35, exec_lo
	v_cmpx_ne_u32_e32 0, v82
	s_cbranch_execz .LBB4_8012
; %bb.8007:                             ;   in Loop: Header=BB4_7984 Depth=3
	v_bfe_u32 v81, v82, 23, 8
	s_delay_alu instid0(VALU_DEP_1) | instskip(SKIP_1) | instid1(VALU_DEP_2)
	v_sub_nc_u32_e32 v84, 0x78, v81
	v_cmp_gt_u32_e32 vcc_lo, 0x79, v81
	v_dual_cndmask_b32 v84, 0, v84 :: v_dual_and_b32 v83, 0x7fffff, v82
	s_delay_alu instid0(VALU_DEP_1) | instskip(SKIP_2) | instid1(VALU_DEP_4)
	v_or_b32_e32 v85, 0x800000, v83
	v_cmp_eq_u32_e32 vcc_lo, 0, v81
	v_add_nc_u32_e32 v81, 0xffffff89, v81
	v_cndmask_b32_e64 v84, v84, 0x77, vcc_lo
	s_delay_alu instid0(VALU_DEP_2) | instskip(SKIP_1) | instid1(VALU_DEP_3)
	v_cndmask_b32_e64 v81, v81, 0xffffff8a, vcc_lo
	v_cndmask_b32_e32 v83, v85, v83, vcc_lo
	v_lshl_add_u32 v85, 0x100000, v84, -1
	v_lshlrev_b32_e64 v151, v84, 0x80000
	s_delay_alu instid0(VALU_DEP_3) | instskip(SKIP_1) | instid1(VALU_DEP_4)
	v_lshrrev_b32_e32 v149, v84, v83
	v_add_nc_u32_e32 v84, v84, v81
	v_and_b32_e32 v83, v85, v83
	s_delay_alu instid0(VALU_DEP_3) | instskip(NEXT) | instid1(VALU_DEP_2)
	v_bfe_u32 v150, v149, 20, 1
	v_cmp_eq_u32_e64 s14, v83, v151
	s_delay_alu instid0(VALU_DEP_2) | instskip(NEXT) | instid1(VALU_DEP_1)
	v_add_nc_u32_e32 v85, -1, v150
	v_cndmask_b32_e64 v83, 0, v85, s14
	v_lshrrev_b32_e32 v85, 23, v149
	s_mov_b32 s14, exec_lo
	s_delay_alu instid0(VALU_DEP_2) | instskip(NEXT) | instid1(VALU_DEP_2)
	v_add_nc_u32_e32 v83, v83, v149
	v_xor_b32_e32 v85, 1, v85
	s_delay_alu instid0(VALU_DEP_2) | instskip(NEXT) | instid1(VALU_DEP_1)
	v_and_b32_e32 v81, 0xfffff, v83
	v_add_nc_u32_e32 v83, v81, v149
                                        ; implicit-def: $vgpr81
	s_delay_alu instid0(VALU_DEP_3)
	v_cmpx_ne_u32_e64 v84, v85
	s_xor_b32 s14, exec_lo, s14
; %bb.8008:                             ;   in Loop: Header=BB4_7984 Depth=3
	s_delay_alu instid0(VALU_DEP_2) | instskip(SKIP_2) | instid1(VALU_DEP_2)
	v_cmp_lt_u32_e32 vcc_lo, 0xffffff, v83
	v_sub_nc_u32_e32 v81, v84, v85
	v_cndmask_b32_e64 v84, 0, 1, vcc_lo
	v_add_co_ci_u32_e32 v81, vcc_lo, 0, v81, vcc_lo
	s_delay_alu instid0(VALU_DEP_2)
	v_lshrrev_b32_e32 v83, v84, v83
; %bb.8009:                             ;   in Loop: Header=BB4_7984 Depth=3
	s_and_not1_saveexec_b32 s14, s14
; %bb.8010:                             ;   in Loop: Header=BB4_7984 Depth=3
	s_delay_alu instid0(VALU_DEP_1)
	v_bfe_u32 v81, v83, 23, 1
; %bb.8011:                             ;   in Loop: Header=BB4_7984 Depth=3
	s_or_b32 exec_lo, exec_lo, s14
	v_lshrrev_b32_e32 v83, 20, v83
	s_delay_alu instid0(VALU_DEP_2) | instskip(SKIP_2) | instid1(VALU_DEP_2)
	v_cmp_gt_i32_e32 vcc_lo, 16, v81
	v_lshrrev_b32_e32 v82, 24, v82
	v_min_i32_e32 v84, 15, v81
	v_dual_cndmask_b32 v83, 7, v83 :: v_dual_and_b32 v82, 0x80, v82
	s_delay_alu instid0(VALU_DEP_1) | instskip(SKIP_1) | instid1(VALU_DEP_2)
	v_or_b32_e32 v81, v81, v83
	v_and_b32_e32 v85, 7, v83
	v_cmp_ne_u32_e32 vcc_lo, 0, v81
	v_lshlrev_b32_e32 v84, 3, v84
	s_delay_alu instid0(VALU_DEP_1) | instskip(NEXT) | instid1(VALU_DEP_1)
	v_or3_b32 v82, v84, v82, v85
	v_cndmask_b32_e32 v81, 0, v82, vcc_lo
.LBB4_8012:                             ;   in Loop: Header=BB4_7984 Depth=3
	s_or_b32 exec_lo, exec_lo, s35
.LBB4_8013:                             ;   in Loop: Header=BB4_7984 Depth=3
	s_delay_alu instid0(SALU_CYCLE_1)
	s_or_b32 exec_lo, exec_lo, s34
	s_waitcnt vmcnt(1)
	v_lshrrev_b16 v83, 8, v12
	s_waitcnt vmcnt(0)
	v_lshrrev_b16 v82, 8, v8
	s_and_b32 vcc_lo, exec_lo, s31
	s_cbranch_vccz .LBB4_8023
; %bb.8014:                             ;   in Loop: Header=BB4_7984 Depth=3
	s_mov_b32 s14, 0
	s_mov_b32 s35, exec_lo
                                        ; implicit-def: $sgpr34
	v_cmpx_lt_i16_e32 0x7f, v83
	s_xor_b32 s35, exec_lo, s35
	s_cbranch_execnz .LBB4_8462
; %bb.8015:                             ;   in Loop: Header=BB4_7984 Depth=3
	s_or_saveexec_b32 s35, s35
	v_mov_b32_e32 v84, s34
	s_xor_b32 exec_lo, exec_lo, s35
	s_cbranch_execnz .LBB4_8465
.LBB4_8016:                             ;   in Loop: Header=BB4_7984 Depth=3
	s_or_b32 exec_lo, exec_lo, s35
	s_and_saveexec_b32 s34, s14
	s_cbranch_execz .LBB4_8018
.LBB4_8017:                             ;   in Loop: Header=BB4_7984 Depth=3
	v_and_b32_e32 v84, 0xffff, v83
	v_lshlrev_b32_e32 v151, 16, v12
	s_delay_alu instid0(VALU_DEP_2) | instskip(NEXT) | instid1(VALU_DEP_1)
	v_and_b32_e32 v85, 7, v84
	v_clz_i32_u32_e32 v149, v85
	s_delay_alu instid0(VALU_DEP_1) | instskip(NEXT) | instid1(VALU_DEP_1)
	v_min_u32_e32 v149, 32, v149
	v_subrev_nc_u32_e32 v150, 28, v149
	v_sub_nc_u32_e32 v149, 29, v149
	s_delay_alu instid0(VALU_DEP_2) | instskip(SKIP_1) | instid1(VALU_DEP_2)
	v_lshlrev_b32_e32 v150, v150, v84
	v_bfe_u32 v84, v84, 3, 4
	v_and_b32_e32 v150, 7, v150
	s_delay_alu instid0(VALU_DEP_2) | instskip(NEXT) | instid1(VALU_DEP_2)
	v_cmp_eq_u32_e32 vcc_lo, 0, v84
	v_dual_cndmask_b32 v84, v84, v149 :: v_dual_cndmask_b32 v85, v85, v150
	v_and_b32_e32 v149, 0x80000000, v151
	s_delay_alu instid0(VALU_DEP_2) | instskip(NEXT) | instid1(VALU_DEP_3)
	v_lshl_add_u32 v84, v84, 23, 0x3b800000
	v_lshlrev_b32_e32 v85, 20, v85
	s_delay_alu instid0(VALU_DEP_1)
	v_or3_b32 v84, v149, v84, v85
.LBB4_8018:                             ;   in Loop: Header=BB4_7984 Depth=3
	s_or_b32 exec_lo, exec_lo, s34
	s_mov_b32 s14, 0
	s_mov_b32 s35, exec_lo
                                        ; implicit-def: $sgpr34
	v_cmpx_lt_i16_e32 0x7f, v82
	s_xor_b32 s35, exec_lo, s35
	s_cbranch_execnz .LBB4_8466
; %bb.8019:                             ;   in Loop: Header=BB4_7984 Depth=3
	s_or_saveexec_b32 s35, s35
	v_mov_b32_e32 v85, s34
	s_xor_b32 exec_lo, exec_lo, s35
	s_cbranch_execnz .LBB4_8469
.LBB4_8020:                             ;   in Loop: Header=BB4_7984 Depth=3
	s_or_b32 exec_lo, exec_lo, s35
	s_and_saveexec_b32 s34, s14
	s_cbranch_execz .LBB4_8022
.LBB4_8021:                             ;   in Loop: Header=BB4_7984 Depth=3
	v_and_b32_e32 v85, 0xffff, v82
	s_delay_alu instid0(VALU_DEP_1) | instskip(NEXT) | instid1(VALU_DEP_1)
	v_and_b32_e32 v149, 7, v85
	v_clz_i32_u32_e32 v150, v149
	s_delay_alu instid0(VALU_DEP_1) | instskip(NEXT) | instid1(VALU_DEP_1)
	v_min_u32_e32 v150, 32, v150
	v_subrev_nc_u32_e32 v151, 28, v150
	v_sub_nc_u32_e32 v150, 29, v150
	s_delay_alu instid0(VALU_DEP_2) | instskip(SKIP_1) | instid1(VALU_DEP_2)
	v_lshlrev_b32_e32 v151, v151, v85
	v_bfe_u32 v85, v85, 3, 4
	v_and_b32_e32 v151, 7, v151
	s_delay_alu instid0(VALU_DEP_2) | instskip(SKIP_1) | instid1(VALU_DEP_1)
	v_cmp_eq_u32_e32 vcc_lo, 0, v85
	v_dual_cndmask_b32 v85, v85, v150 :: v_dual_lshlrev_b32 v160, 16, v8
	v_dual_cndmask_b32 v149, v149, v151 :: v_dual_and_b32 v150, 0x80000000, v160
	s_delay_alu instid0(VALU_DEP_2) | instskip(NEXT) | instid1(VALU_DEP_2)
	v_lshl_add_u32 v85, v85, 23, 0x3b800000
	v_lshlrev_b32_e32 v149, 20, v149
	s_delay_alu instid0(VALU_DEP_1)
	v_or3_b32 v85, v150, v85, v149
.LBB4_8022:                             ;   in Loop: Header=BB4_7984 Depth=3
	s_or_b32 exec_lo, exec_lo, s34
	s_delay_alu instid0(VALU_DEP_1) | instskip(SKIP_1) | instid1(VALU_DEP_1)
	v_dual_max_f32 v85, v85, v85 :: v_dual_max_f32 v84, v84, v84
	s_mov_b32 s14, 0
	v_max_f32_e32 v84, v84, v85
	s_branch .LBB4_8024
.LBB4_8023:                             ;   in Loop: Header=BB4_7984 Depth=3
	s_mov_b32 s14, -1
                                        ; implicit-def: $vgpr84
.LBB4_8024:                             ;   in Loop: Header=BB4_7984 Depth=3
	s_delay_alu instid0(SALU_CYCLE_1)
	s_and_b32 vcc_lo, exec_lo, s14
	s_cbranch_vccz .LBB4_8034
; %bb.8025:                             ;   in Loop: Header=BB4_7984 Depth=3
	s_mov_b32 s14, 0
	s_mov_b32 s35, exec_lo
                                        ; implicit-def: $sgpr34
	v_cmpx_lt_i16_e32 0x7f, v83
	s_xor_b32 s35, exec_lo, s35
	s_cbranch_execnz .LBB4_8470
; %bb.8026:                             ;   in Loop: Header=BB4_7984 Depth=3
	s_or_saveexec_b32 s35, s35
	v_mov_b32_e32 v84, s34
	s_xor_b32 exec_lo, exec_lo, s35
	s_cbranch_execnz .LBB4_8473
.LBB4_8027:                             ;   in Loop: Header=BB4_7984 Depth=3
	s_or_b32 exec_lo, exec_lo, s35
	s_and_saveexec_b32 s34, s14
	s_cbranch_execz .LBB4_8029
.LBB4_8028:                             ;   in Loop: Header=BB4_7984 Depth=3
	v_and_b32_e32 v83, 0xffff, v83
	v_lshlrev_b32_e32 v150, 16, v12
	s_delay_alu instid0(VALU_DEP_2) | instskip(NEXT) | instid1(VALU_DEP_1)
	v_and_b32_e32 v84, 7, v83
	v_clz_i32_u32_e32 v85, v84
	s_delay_alu instid0(VALU_DEP_1) | instskip(NEXT) | instid1(VALU_DEP_1)
	v_min_u32_e32 v85, 32, v85
	v_subrev_nc_u32_e32 v149, 28, v85
	v_sub_nc_u32_e32 v85, 29, v85
	s_delay_alu instid0(VALU_DEP_2) | instskip(SKIP_1) | instid1(VALU_DEP_2)
	v_lshlrev_b32_e32 v149, v149, v83
	v_bfe_u32 v83, v83, 3, 4
	v_and_b32_e32 v149, 7, v149
	s_delay_alu instid0(VALU_DEP_2) | instskip(SKIP_1) | instid1(VALU_DEP_3)
	v_cmp_eq_u32_e32 vcc_lo, 0, v83
	v_cndmask_b32_e32 v83, v83, v85, vcc_lo
	v_dual_cndmask_b32 v84, v84, v149 :: v_dual_and_b32 v85, 0x80000000, v150
	s_delay_alu instid0(VALU_DEP_2) | instskip(NEXT) | instid1(VALU_DEP_2)
	v_lshl_add_u32 v83, v83, 23, 0x3b800000
	v_lshlrev_b32_e32 v84, 20, v84
	s_delay_alu instid0(VALU_DEP_1)
	v_or3_b32 v84, v85, v83, v84
.LBB4_8029:                             ;   in Loop: Header=BB4_7984 Depth=3
	s_or_b32 exec_lo, exec_lo, s34
	s_mov_b32 s14, 0
	s_mov_b32 s35, exec_lo
                                        ; implicit-def: $sgpr34
	v_cmpx_lt_i16_e32 0x7f, v82
	s_xor_b32 s35, exec_lo, s35
	s_cbranch_execnz .LBB4_8474
; %bb.8030:                             ;   in Loop: Header=BB4_7984 Depth=3
	s_or_saveexec_b32 s35, s35
	v_mov_b32_e32 v83, s34
	s_xor_b32 exec_lo, exec_lo, s35
	s_cbranch_execnz .LBB4_8477
.LBB4_8031:                             ;   in Loop: Header=BB4_7984 Depth=3
	s_or_b32 exec_lo, exec_lo, s35
	s_and_saveexec_b32 s34, s14
	s_cbranch_execz .LBB4_8033
.LBB4_8032:                             ;   in Loop: Header=BB4_7984 Depth=3
	v_and_b32_e32 v82, 0xffff, v82
	v_lshlrev_b32_e32 v150, 16, v8
	s_delay_alu instid0(VALU_DEP_2) | instskip(NEXT) | instid1(VALU_DEP_1)
	v_and_b32_e32 v83, 7, v82
	v_clz_i32_u32_e32 v85, v83
	s_delay_alu instid0(VALU_DEP_1) | instskip(NEXT) | instid1(VALU_DEP_1)
	v_min_u32_e32 v85, 32, v85
	v_subrev_nc_u32_e32 v149, 28, v85
	v_sub_nc_u32_e32 v85, 29, v85
	s_delay_alu instid0(VALU_DEP_2) | instskip(SKIP_1) | instid1(VALU_DEP_2)
	v_lshlrev_b32_e32 v149, v149, v82
	v_bfe_u32 v82, v82, 3, 4
	v_and_b32_e32 v149, 7, v149
	s_delay_alu instid0(VALU_DEP_2) | instskip(SKIP_1) | instid1(VALU_DEP_3)
	v_cmp_eq_u32_e32 vcc_lo, 0, v82
	v_cndmask_b32_e32 v82, v82, v85, vcc_lo
	v_cndmask_b32_e32 v83, v83, v149, vcc_lo
	v_and_b32_e32 v85, 0x80000000, v150
	s_delay_alu instid0(VALU_DEP_3) | instskip(NEXT) | instid1(VALU_DEP_3)
	v_lshl_add_u32 v82, v82, 23, 0x3b800000
	v_lshlrev_b32_e32 v83, 20, v83
	s_delay_alu instid0(VALU_DEP_1)
	v_or3_b32 v83, v85, v82, v83
.LBB4_8033:                             ;   in Loop: Header=BB4_7984 Depth=3
	s_or_b32 exec_lo, exec_lo, s34
	s_delay_alu instid0(VALU_DEP_1) | instskip(NEXT) | instid1(VALU_DEP_1)
	v_dual_max_f32 v82, v83, v83 :: v_dual_max_f32 v83, v84, v84
	v_min_f32_e32 v84, v83, v82
.LBB4_8034:                             ;   in Loop: Header=BB4_7984 Depth=3
	s_delay_alu instid0(VALU_DEP_1) | instskip(NEXT) | instid1(VALU_DEP_1)
	v_and_b32_e32 v82, 0x7f800000, v84
	v_cmp_ne_u32_e32 vcc_lo, 0x7f800000, v82
	v_mov_b32_e32 v82, 0x80
	s_and_saveexec_b32 s34, vcc_lo
	s_cbranch_execz .LBB4_8042
; %bb.8035:                             ;   in Loop: Header=BB4_7984 Depth=3
	v_mov_b32_e32 v82, 0
	s_mov_b32 s35, exec_lo
	v_cmpx_ne_u32_e32 0, v84
	s_cbranch_execz .LBB4_8041
; %bb.8036:                             ;   in Loop: Header=BB4_7984 Depth=3
	v_bfe_u32 v82, v84, 23, 8
	v_and_b32_e32 v83, 0x7fffff, v84
	s_delay_alu instid0(VALU_DEP_2) | instskip(SKIP_1) | instid1(VALU_DEP_3)
	v_sub_nc_u32_e32 v85, 0x78, v82
	v_cmp_gt_u32_e32 vcc_lo, 0x79, v82
	v_or_b32_e32 v149, 0x800000, v83
	s_delay_alu instid0(VALU_DEP_3) | instskip(SKIP_2) | instid1(VALU_DEP_3)
	v_cndmask_b32_e32 v85, 0, v85, vcc_lo
	v_cmp_eq_u32_e32 vcc_lo, 0, v82
	v_add_nc_u32_e32 v82, 0xffffff89, v82
	v_cndmask_b32_e64 v85, v85, 0x77, vcc_lo
	v_cndmask_b32_e32 v83, v149, v83, vcc_lo
	s_delay_alu instid0(VALU_DEP_3) | instskip(NEXT) | instid1(VALU_DEP_3)
	v_cndmask_b32_e64 v82, v82, 0xffffff8a, vcc_lo
	v_lshl_add_u32 v149, 0x100000, v85, -1
	s_delay_alu instid0(VALU_DEP_3) | instskip(SKIP_1) | instid1(VALU_DEP_4)
	v_lshrrev_b32_e32 v150, v85, v83
	v_lshlrev_b32_e64 v160, v85, 0x80000
	v_add_nc_u32_e32 v85, v85, v82
	s_delay_alu instid0(VALU_DEP_4) | instskip(NEXT) | instid1(VALU_DEP_4)
	v_and_b32_e32 v83, v149, v83
	v_bfe_u32 v151, v150, 20, 1
	s_delay_alu instid0(VALU_DEP_2) | instskip(NEXT) | instid1(VALU_DEP_2)
	v_cmp_eq_u32_e64 s14, v83, v160
	v_add_nc_u32_e32 v149, -1, v151
	s_delay_alu instid0(VALU_DEP_1) | instskip(SKIP_2) | instid1(VALU_DEP_2)
	v_cndmask_b32_e64 v83, 0, v149, s14
	v_lshrrev_b32_e32 v149, 23, v150
	s_mov_b32 s14, exec_lo
	v_add_nc_u32_e32 v83, v83, v150
	s_delay_alu instid0(VALU_DEP_2) | instskip(NEXT) | instid1(VALU_DEP_2)
	v_xor_b32_e32 v149, 1, v149
	v_and_b32_e32 v82, 0xfffff, v83
	s_delay_alu instid0(VALU_DEP_1) | instskip(NEXT) | instid1(VALU_DEP_3)
	v_add_nc_u32_e32 v83, v82, v150
                                        ; implicit-def: $vgpr82
	v_cmpx_ne_u32_e64 v85, v149
	s_xor_b32 s14, exec_lo, s14
; %bb.8037:                             ;   in Loop: Header=BB4_7984 Depth=3
	s_delay_alu instid0(VALU_DEP_2) | instskip(SKIP_2) | instid1(VALU_DEP_2)
	v_cmp_lt_u32_e32 vcc_lo, 0xffffff, v83
	v_sub_nc_u32_e32 v82, v85, v149
	v_cndmask_b32_e64 v85, 0, 1, vcc_lo
	v_add_co_ci_u32_e32 v82, vcc_lo, 0, v82, vcc_lo
	s_delay_alu instid0(VALU_DEP_2)
	v_lshrrev_b32_e32 v83, v85, v83
; %bb.8038:                             ;   in Loop: Header=BB4_7984 Depth=3
	s_and_not1_saveexec_b32 s14, s14
; %bb.8039:                             ;   in Loop: Header=BB4_7984 Depth=3
	s_delay_alu instid0(VALU_DEP_1)
	v_bfe_u32 v82, v83, 23, 1
; %bb.8040:                             ;   in Loop: Header=BB4_7984 Depth=3
	s_or_b32 exec_lo, exec_lo, s14
	v_lshrrev_b32_e32 v83, 20, v83
	s_delay_alu instid0(VALU_DEP_2) | instskip(SKIP_2) | instid1(VALU_DEP_2)
	v_cmp_gt_i32_e32 vcc_lo, 16, v82
	v_lshrrev_b32_e32 v84, 24, v84
	v_min_i32_e32 v85, 15, v82
	v_dual_cndmask_b32 v83, 7, v83 :: v_dual_and_b32 v84, 0x80, v84
	s_delay_alu instid0(VALU_DEP_1) | instskip(SKIP_1) | instid1(VALU_DEP_2)
	v_or_b32_e32 v82, v82, v83
	v_and_b32_e32 v149, 7, v83
	v_cmp_ne_u32_e32 vcc_lo, 0, v82
	v_lshlrev_b32_e32 v85, 3, v85
	s_delay_alu instid0(VALU_DEP_1) | instskip(NEXT) | instid1(VALU_DEP_1)
	v_or3_b32 v83, v85, v84, v149
	v_cndmask_b32_e32 v82, 0, v83, vcc_lo
.LBB4_8041:                             ;   in Loop: Header=BB4_7984 Depth=3
	s_or_b32 exec_lo, exec_lo, s35
.LBB4_8042:                             ;   in Loop: Header=BB4_7984 Depth=3
	s_delay_alu instid0(SALU_CYCLE_1)
	s_or_b32 exec_lo, exec_lo, s34
	v_lshrrev_b32_e32 v84, 16, v12
	v_lshrrev_b32_e32 v83, 16, v8
	s_and_b32 vcc_lo, exec_lo, s31
	s_cbranch_vccz .LBB4_8052
; %bb.8043:                             ;   in Loop: Header=BB4_7984 Depth=3
	s_delay_alu instid0(VALU_DEP_2) | instskip(SKIP_2) | instid1(VALU_DEP_1)
	v_and_b32_e32 v149, 0xff, v84
	s_mov_b32 s14, 0
	s_mov_b32 s35, exec_lo
                                        ; implicit-def: $sgpr34
	v_cmpx_lt_i16_e64 0x7f, v149
	s_xor_b32 s35, exec_lo, s35
	s_cbranch_execnz .LBB4_8478
; %bb.8044:                             ;   in Loop: Header=BB4_7984 Depth=3
	s_or_saveexec_b32 s35, s35
	v_mov_b32_e32 v85, s34
	s_xor_b32 exec_lo, exec_lo, s35
	s_cbranch_execnz .LBB4_8481
.LBB4_8045:                             ;   in Loop: Header=BB4_7984 Depth=3
	s_or_b32 exec_lo, exec_lo, s35
	s_and_saveexec_b32 s34, s14
	s_cbranch_execz .LBB4_8047
.LBB4_8046:                             ;   in Loop: Header=BB4_7984 Depth=3
	v_bfe_u32 v85, v12, 16, 3
	v_bfe_u32 v151, v12, 19, 4
	s_delay_alu instid0(VALU_DEP_2) | instskip(NEXT) | instid1(VALU_DEP_2)
	v_clz_i32_u32_e32 v149, v85
	v_cmp_eq_u32_e32 vcc_lo, 0, v151
	s_delay_alu instid0(VALU_DEP_2) | instskip(NEXT) | instid1(VALU_DEP_1)
	v_min_u32_e32 v149, 32, v149
	v_subrev_nc_u32_e32 v150, 28, v149
	v_sub_nc_u32_e32 v149, 29, v149
	s_delay_alu instid0(VALU_DEP_1) | instskip(NEXT) | instid1(VALU_DEP_1)
	v_dual_cndmask_b32 v149, v151, v149 :: v_dual_lshlrev_b32 v150, v150, v84
	v_and_b32_e32 v150, 7, v150
	v_lshlrev_b32_e32 v160, 24, v84
	s_delay_alu instid0(VALU_DEP_3) | instskip(NEXT) | instid1(VALU_DEP_2)
	v_lshl_add_u32 v149, v149, 23, 0x3b800000
	v_dual_cndmask_b32 v85, v85, v150 :: v_dual_and_b32 v150, 0x80000000, v160
	s_delay_alu instid0(VALU_DEP_1) | instskip(NEXT) | instid1(VALU_DEP_1)
	v_lshlrev_b32_e32 v85, 20, v85
	v_or3_b32 v85, v150, v149, v85
.LBB4_8047:                             ;   in Loop: Header=BB4_7984 Depth=3
	s_or_b32 exec_lo, exec_lo, s34
	v_and_b32_e32 v150, 0xff, v83
	s_mov_b32 s14, 0
	s_mov_b32 s35, exec_lo
                                        ; implicit-def: $sgpr34
	s_delay_alu instid0(VALU_DEP_1)
	v_cmpx_lt_i16_e64 0x7f, v150
	s_xor_b32 s35, exec_lo, s35
	s_cbranch_execnz .LBB4_8482
; %bb.8048:                             ;   in Loop: Header=BB4_7984 Depth=3
	s_or_saveexec_b32 s35, s35
	v_mov_b32_e32 v149, s34
	s_xor_b32 exec_lo, exec_lo, s35
	s_cbranch_execnz .LBB4_8485
.LBB4_8049:                             ;   in Loop: Header=BB4_7984 Depth=3
	s_or_b32 exec_lo, exec_lo, s35
	s_and_saveexec_b32 s34, s14
	s_cbranch_execz .LBB4_8051
.LBB4_8050:                             ;   in Loop: Header=BB4_7984 Depth=3
	v_bfe_u32 v149, v8, 16, 3
	v_bfe_u32 v160, v8, 19, 4
	v_lshlrev_b32_e32 v161, 24, v83
	s_delay_alu instid0(VALU_DEP_3) | instskip(NEXT) | instid1(VALU_DEP_3)
	v_clz_i32_u32_e32 v150, v149
	v_cmp_eq_u32_e32 vcc_lo, 0, v160
	s_delay_alu instid0(VALU_DEP_2) | instskip(NEXT) | instid1(VALU_DEP_1)
	v_min_u32_e32 v150, 32, v150
	v_subrev_nc_u32_e32 v151, 28, v150
	v_sub_nc_u32_e32 v150, 29, v150
	s_delay_alu instid0(VALU_DEP_1) | instskip(NEXT) | instid1(VALU_DEP_1)
	v_dual_cndmask_b32 v150, v160, v150 :: v_dual_lshlrev_b32 v151, v151, v83
	v_and_b32_e32 v151, 7, v151
	s_delay_alu instid0(VALU_DEP_2) | instskip(NEXT) | instid1(VALU_DEP_2)
	v_lshl_add_u32 v150, v150, 23, 0x3b800000
	v_cndmask_b32_e32 v149, v149, v151, vcc_lo
	v_and_b32_e32 v151, 0x80000000, v161
	s_delay_alu instid0(VALU_DEP_2) | instskip(NEXT) | instid1(VALU_DEP_1)
	v_lshlrev_b32_e32 v149, 20, v149
	v_or3_b32 v149, v151, v150, v149
.LBB4_8051:                             ;   in Loop: Header=BB4_7984 Depth=3
	s_or_b32 exec_lo, exec_lo, s34
	s_delay_alu instid0(VALU_DEP_1) | instskip(SKIP_2) | instid1(VALU_DEP_1)
	v_max_f32_e32 v149, v149, v149
	v_max_f32_e32 v85, v85, v85
	s_mov_b32 s14, 0
	v_max_f32_e32 v85, v85, v149
	s_branch .LBB4_8053
.LBB4_8052:                             ;   in Loop: Header=BB4_7984 Depth=3
	s_mov_b32 s14, -1
                                        ; implicit-def: $vgpr85
.LBB4_8053:                             ;   in Loop: Header=BB4_7984 Depth=3
	s_delay_alu instid0(SALU_CYCLE_1)
	s_and_b32 vcc_lo, exec_lo, s14
	s_cbranch_vccz .LBB4_8063
; %bb.8054:                             ;   in Loop: Header=BB4_7984 Depth=3
	v_and_b32_e32 v149, 0xff, v84
	s_mov_b32 s14, 0
	s_mov_b32 s35, exec_lo
                                        ; implicit-def: $sgpr34
	s_delay_alu instid0(VALU_DEP_1)
	v_cmpx_lt_i16_e64 0x7f, v149
	s_xor_b32 s35, exec_lo, s35
	s_cbranch_execnz .LBB4_8486
; %bb.8055:                             ;   in Loop: Header=BB4_7984 Depth=3
	s_or_saveexec_b32 s35, s35
	v_mov_b32_e32 v85, s34
	s_xor_b32 exec_lo, exec_lo, s35
	s_cbranch_execnz .LBB4_8489
.LBB4_8056:                             ;   in Loop: Header=BB4_7984 Depth=3
	s_or_b32 exec_lo, exec_lo, s35
	s_and_saveexec_b32 s34, s14
	s_cbranch_execz .LBB4_8058
.LBB4_8057:                             ;   in Loop: Header=BB4_7984 Depth=3
	v_bfe_u32 v85, v12, 16, 3
	v_bfe_u32 v151, v12, 19, 4
	s_delay_alu instid0(VALU_DEP_2) | instskip(NEXT) | instid1(VALU_DEP_2)
	v_clz_i32_u32_e32 v149, v85
	v_cmp_eq_u32_e32 vcc_lo, 0, v151
	s_delay_alu instid0(VALU_DEP_2) | instskip(NEXT) | instid1(VALU_DEP_1)
	v_min_u32_e32 v149, 32, v149
	v_subrev_nc_u32_e32 v150, 28, v149
	v_sub_nc_u32_e32 v149, 29, v149
	s_delay_alu instid0(VALU_DEP_1) | instskip(NEXT) | instid1(VALU_DEP_1)
	v_dual_cndmask_b32 v149, v151, v149 :: v_dual_lshlrev_b32 v150, v150, v84
	v_and_b32_e32 v150, 7, v150
	v_lshlrev_b32_e32 v84, 24, v84
	s_delay_alu instid0(VALU_DEP_3) | instskip(NEXT) | instid1(VALU_DEP_2)
	v_lshl_add_u32 v149, v149, 23, 0x3b800000
	v_dual_cndmask_b32 v85, v85, v150 :: v_dual_and_b32 v84, 0x80000000, v84
	s_delay_alu instid0(VALU_DEP_1) | instskip(NEXT) | instid1(VALU_DEP_1)
	v_lshlrev_b32_e32 v85, 20, v85
	v_or3_b32 v85, v84, v149, v85
.LBB4_8058:                             ;   in Loop: Header=BB4_7984 Depth=3
	s_or_b32 exec_lo, exec_lo, s34
	v_and_b32_e32 v149, 0xff, v83
	s_mov_b32 s14, 0
	s_mov_b32 s35, exec_lo
                                        ; implicit-def: $sgpr34
	s_delay_alu instid0(VALU_DEP_1)
	v_cmpx_lt_i16_e64 0x7f, v149
	s_xor_b32 s35, exec_lo, s35
	s_cbranch_execnz .LBB4_8490
; %bb.8059:                             ;   in Loop: Header=BB4_7984 Depth=3
	s_or_saveexec_b32 s35, s35
	v_mov_b32_e32 v84, s34
	s_xor_b32 exec_lo, exec_lo, s35
	s_cbranch_execnz .LBB4_8493
.LBB4_8060:                             ;   in Loop: Header=BB4_7984 Depth=3
	s_or_b32 exec_lo, exec_lo, s35
	s_and_saveexec_b32 s34, s14
	s_cbranch_execz .LBB4_8062
.LBB4_8061:                             ;   in Loop: Header=BB4_7984 Depth=3
	v_bfe_u32 v84, v8, 16, 3
	v_bfe_u32 v151, v8, 19, 4
	s_delay_alu instid0(VALU_DEP_2) | instskip(NEXT) | instid1(VALU_DEP_2)
	v_clz_i32_u32_e32 v149, v84
	v_cmp_eq_u32_e32 vcc_lo, 0, v151
	s_delay_alu instid0(VALU_DEP_2) | instskip(NEXT) | instid1(VALU_DEP_1)
	v_min_u32_e32 v149, 32, v149
	v_subrev_nc_u32_e32 v150, 28, v149
	v_sub_nc_u32_e32 v149, 29, v149
	s_delay_alu instid0(VALU_DEP_1) | instskip(NEXT) | instid1(VALU_DEP_1)
	v_dual_cndmask_b32 v149, v151, v149 :: v_dual_lshlrev_b32 v150, v150, v83
	v_and_b32_e32 v150, 7, v150
	v_lshlrev_b32_e32 v83, 24, v83
	s_delay_alu instid0(VALU_DEP_3) | instskip(NEXT) | instid1(VALU_DEP_2)
	v_lshl_add_u32 v149, v149, 23, 0x3b800000
	v_dual_cndmask_b32 v84, v84, v150 :: v_dual_and_b32 v83, 0x80000000, v83
	s_delay_alu instid0(VALU_DEP_1) | instskip(NEXT) | instid1(VALU_DEP_1)
	v_lshlrev_b32_e32 v84, 20, v84
	v_or3_b32 v84, v83, v149, v84
.LBB4_8062:                             ;   in Loop: Header=BB4_7984 Depth=3
	s_or_b32 exec_lo, exec_lo, s34
	s_delay_alu instid0(VALU_DEP_1) | instskip(NEXT) | instid1(VALU_DEP_1)
	v_dual_max_f32 v83, v84, v84 :: v_dual_max_f32 v84, v85, v85
	v_min_f32_e32 v85, v84, v83
.LBB4_8063:                             ;   in Loop: Header=BB4_7984 Depth=3
	s_delay_alu instid0(VALU_DEP_1) | instskip(NEXT) | instid1(VALU_DEP_1)
	v_and_b32_e32 v83, 0x7f800000, v85
	v_cmp_ne_u32_e32 vcc_lo, 0x7f800000, v83
	v_mov_b32_e32 v83, 0x80
	s_and_saveexec_b32 s34, vcc_lo
	s_cbranch_execz .LBB4_8071
; %bb.8064:                             ;   in Loop: Header=BB4_7984 Depth=3
	v_mov_b32_e32 v83, 0
	s_mov_b32 s35, exec_lo
	v_cmpx_ne_u32_e32 0, v85
	s_cbranch_execz .LBB4_8070
; %bb.8065:                             ;   in Loop: Header=BB4_7984 Depth=3
	v_bfe_u32 v83, v85, 23, 8
	v_and_b32_e32 v84, 0x7fffff, v85
	s_delay_alu instid0(VALU_DEP_2) | instskip(SKIP_1) | instid1(VALU_DEP_3)
	v_sub_nc_u32_e32 v149, 0x78, v83
	v_cmp_gt_u32_e32 vcc_lo, 0x79, v83
	v_or_b32_e32 v150, 0x800000, v84
	s_delay_alu instid0(VALU_DEP_3) | instskip(SKIP_1) | instid1(VALU_DEP_3)
	v_cndmask_b32_e32 v149, 0, v149, vcc_lo
	v_cmp_eq_u32_e32 vcc_lo, 0, v83
	v_dual_cndmask_b32 v84, v150, v84 :: v_dual_add_nc_u32 v83, 0xffffff89, v83
	s_delay_alu instid0(VALU_DEP_3) | instskip(NEXT) | instid1(VALU_DEP_2)
	v_cndmask_b32_e64 v149, v149, 0x77, vcc_lo
	v_cndmask_b32_e64 v83, v83, 0xffffff8a, vcc_lo
	s_delay_alu instid0(VALU_DEP_2) | instskip(SKIP_2) | instid1(VALU_DEP_4)
	v_lshrrev_b32_e32 v151, v149, v84
	v_lshl_add_u32 v150, 0x100000, v149, -1
	v_lshlrev_b32_e64 v161, v149, 0x80000
	v_add_nc_u32_e32 v149, v149, v83
	s_delay_alu instid0(VALU_DEP_4) | instskip(NEXT) | instid1(VALU_DEP_4)
	v_bfe_u32 v160, v151, 20, 1
	v_and_b32_e32 v84, v150, v84
	s_delay_alu instid0(VALU_DEP_2) | instskip(NEXT) | instid1(VALU_DEP_2)
	v_add_nc_u32_e32 v150, -1, v160
	v_cmp_eq_u32_e64 s14, v84, v161
	s_delay_alu instid0(VALU_DEP_1) | instskip(SKIP_2) | instid1(VALU_DEP_2)
	v_cndmask_b32_e64 v84, 0, v150, s14
	v_lshrrev_b32_e32 v150, 23, v151
	s_mov_b32 s14, exec_lo
	v_add_nc_u32_e32 v84, v84, v151
	s_delay_alu instid0(VALU_DEP_2) | instskip(NEXT) | instid1(VALU_DEP_2)
	v_xor_b32_e32 v150, 1, v150
	v_and_b32_e32 v83, 0xfffff, v84
	s_delay_alu instid0(VALU_DEP_1) | instskip(NEXT) | instid1(VALU_DEP_3)
	v_add_nc_u32_e32 v84, v83, v151
                                        ; implicit-def: $vgpr83
	v_cmpx_ne_u32_e64 v149, v150
	s_xor_b32 s14, exec_lo, s14
; %bb.8066:                             ;   in Loop: Header=BB4_7984 Depth=3
	s_delay_alu instid0(VALU_DEP_2) | instskip(SKIP_2) | instid1(VALU_DEP_2)
	v_cmp_lt_u32_e32 vcc_lo, 0xffffff, v84
	v_sub_nc_u32_e32 v83, v149, v150
	v_cndmask_b32_e64 v149, 0, 1, vcc_lo
	v_add_co_ci_u32_e32 v83, vcc_lo, 0, v83, vcc_lo
	s_delay_alu instid0(VALU_DEP_2)
	v_lshrrev_b32_e32 v84, v149, v84
; %bb.8067:                             ;   in Loop: Header=BB4_7984 Depth=3
	s_and_not1_saveexec_b32 s14, s14
; %bb.8068:                             ;   in Loop: Header=BB4_7984 Depth=3
	s_delay_alu instid0(VALU_DEP_1)
	v_bfe_u32 v83, v84, 23, 1
; %bb.8069:                             ;   in Loop: Header=BB4_7984 Depth=3
	s_or_b32 exec_lo, exec_lo, s14
	v_lshrrev_b32_e32 v84, 20, v84
	s_delay_alu instid0(VALU_DEP_2) | instskip(SKIP_2) | instid1(VALU_DEP_2)
	v_cmp_gt_i32_e32 vcc_lo, 16, v83
	v_lshrrev_b32_e32 v85, 24, v85
	v_min_i32_e32 v149, 15, v83
	v_dual_cndmask_b32 v84, 7, v84 :: v_dual_and_b32 v85, 0x80, v85
	s_delay_alu instid0(VALU_DEP_2) | instskip(NEXT) | instid1(VALU_DEP_2)
	v_lshlrev_b32_e32 v149, 3, v149
	v_and_b32_e32 v150, 7, v84
	v_or_b32_e32 v83, v83, v84
	s_delay_alu instid0(VALU_DEP_2) | instskip(NEXT) | instid1(VALU_DEP_2)
	v_or3_b32 v84, v149, v85, v150
	v_cmp_ne_u32_e32 vcc_lo, 0, v83
	s_delay_alu instid0(VALU_DEP_2)
	v_cndmask_b32_e32 v83, 0, v84, vcc_lo
.LBB4_8070:                             ;   in Loop: Header=BB4_7984 Depth=3
	s_or_b32 exec_lo, exec_lo, s35
.LBB4_8071:                             ;   in Loop: Header=BB4_7984 Depth=3
	s_delay_alu instid0(SALU_CYCLE_1)
	s_or_b32 exec_lo, exec_lo, s34
	v_lshrrev_b32_e32 v85, 24, v12
	v_lshrrev_b32_e32 v84, 24, v8
	s_and_b32 vcc_lo, exec_lo, s31
	s_cbranch_vccz .LBB4_8081
; %bb.8072:                             ;   in Loop: Header=BB4_7984 Depth=3
	s_mov_b32 s14, 0
	s_mov_b32 s35, exec_lo
                                        ; implicit-def: $sgpr34
	v_cmpx_lt_i16_e32 0x7f, v85
	s_xor_b32 s35, exec_lo, s35
	s_cbranch_execnz .LBB4_8494
; %bb.8073:                             ;   in Loop: Header=BB4_7984 Depth=3
	s_or_saveexec_b32 s35, s35
	v_mov_b32_e32 v149, s34
	s_xor_b32 exec_lo, exec_lo, s35
	s_cbranch_execnz .LBB4_8497
.LBB4_8074:                             ;   in Loop: Header=BB4_7984 Depth=3
	s_or_b32 exec_lo, exec_lo, s35
	s_and_saveexec_b32 s34, s14
	s_cbranch_execz .LBB4_8076
.LBB4_8075:                             ;   in Loop: Header=BB4_7984 Depth=3
	v_bfe_u32 v149, v12, 24, 3
	v_bfe_u32 v160, v12, 27, 4
	s_delay_alu instid0(VALU_DEP_2) | instskip(NEXT) | instid1(VALU_DEP_2)
	v_clz_i32_u32_e32 v150, v149
	v_cmp_eq_u32_e32 vcc_lo, 0, v160
	s_delay_alu instid0(VALU_DEP_2) | instskip(NEXT) | instid1(VALU_DEP_1)
	v_min_u32_e32 v150, 32, v150
	v_subrev_nc_u32_e32 v151, 28, v150
	v_sub_nc_u32_e32 v150, 29, v150
	s_delay_alu instid0(VALU_DEP_1) | instskip(NEXT) | instid1(VALU_DEP_1)
	v_dual_cndmask_b32 v150, v160, v150 :: v_dual_lshlrev_b32 v151, v151, v85
	v_and_b32_e32 v151, 7, v151
	s_delay_alu instid0(VALU_DEP_2) | instskip(NEXT) | instid1(VALU_DEP_2)
	v_lshl_add_u32 v150, v150, 23, 0x3b800000
	v_cndmask_b32_e32 v149, v149, v151, vcc_lo
	v_and_b32_e32 v151, 0x80000000, v12
	s_delay_alu instid0(VALU_DEP_2) | instskip(NEXT) | instid1(VALU_DEP_1)
	v_lshlrev_b32_e32 v149, 20, v149
	v_or3_b32 v149, v151, v150, v149
.LBB4_8076:                             ;   in Loop: Header=BB4_7984 Depth=3
	s_or_b32 exec_lo, exec_lo, s34
	s_mov_b32 s14, 0
	s_mov_b32 s35, exec_lo
                                        ; implicit-def: $sgpr34
	v_cmpx_lt_i16_e32 0x7f, v84
	s_xor_b32 s35, exec_lo, s35
	s_cbranch_execnz .LBB4_8498
; %bb.8077:                             ;   in Loop: Header=BB4_7984 Depth=3
	s_or_saveexec_b32 s35, s35
	v_mov_b32_e32 v150, s34
	s_xor_b32 exec_lo, exec_lo, s35
	s_cbranch_execnz .LBB4_8501
.LBB4_8078:                             ;   in Loop: Header=BB4_7984 Depth=3
	s_or_b32 exec_lo, exec_lo, s35
	s_and_saveexec_b32 s34, s14
	s_cbranch_execz .LBB4_8080
.LBB4_8079:                             ;   in Loop: Header=BB4_7984 Depth=3
	v_bfe_u32 v150, v8, 24, 3
	v_bfe_u32 v161, v8, 27, 4
	s_delay_alu instid0(VALU_DEP_2) | instskip(NEXT) | instid1(VALU_DEP_2)
	v_clz_i32_u32_e32 v151, v150
	v_cmp_eq_u32_e32 vcc_lo, 0, v161
	s_delay_alu instid0(VALU_DEP_2) | instskip(NEXT) | instid1(VALU_DEP_1)
	v_min_u32_e32 v151, 32, v151
	v_subrev_nc_u32_e32 v160, 28, v151
	v_sub_nc_u32_e32 v151, 29, v151
	s_delay_alu instid0(VALU_DEP_1) | instskip(NEXT) | instid1(VALU_DEP_1)
	v_dual_cndmask_b32 v151, v161, v151 :: v_dual_lshlrev_b32 v160, v160, v84
	v_and_b32_e32 v160, 7, v160
	s_delay_alu instid0(VALU_DEP_2) | instskip(NEXT) | instid1(VALU_DEP_2)
	v_lshl_add_u32 v151, v151, 23, 0x3b800000
	v_cndmask_b32_e32 v150, v150, v160, vcc_lo
	v_and_b32_e32 v160, 0x80000000, v8
	s_delay_alu instid0(VALU_DEP_2) | instskip(NEXT) | instid1(VALU_DEP_1)
	v_lshlrev_b32_e32 v150, 20, v150
	v_or3_b32 v150, v160, v151, v150
.LBB4_8080:                             ;   in Loop: Header=BB4_7984 Depth=3
	s_or_b32 exec_lo, exec_lo, s34
	s_delay_alu instid0(VALU_DEP_1) | instskip(SKIP_1) | instid1(VALU_DEP_1)
	v_dual_max_f32 v150, v150, v150 :: v_dual_max_f32 v149, v149, v149
	s_mov_b32 s14, 0
	v_max_f32_e32 v149, v149, v150
	s_branch .LBB4_8082
.LBB4_8081:                             ;   in Loop: Header=BB4_7984 Depth=3
	s_mov_b32 s14, -1
                                        ; implicit-def: $vgpr149
.LBB4_8082:                             ;   in Loop: Header=BB4_7984 Depth=3
	s_delay_alu instid0(SALU_CYCLE_1)
	s_and_b32 vcc_lo, exec_lo, s14
	s_cbranch_vccz .LBB4_8092
; %bb.8083:                             ;   in Loop: Header=BB4_7984 Depth=3
	s_mov_b32 s14, 0
	s_mov_b32 s35, exec_lo
                                        ; implicit-def: $sgpr34
	v_cmpx_lt_i16_e32 0x7f, v85
	s_xor_b32 s35, exec_lo, s35
	s_cbranch_execnz .LBB4_8502
; %bb.8084:                             ;   in Loop: Header=BB4_7984 Depth=3
	s_or_saveexec_b32 s35, s35
	v_mov_b32_e32 v149, s34
	s_xor_b32 exec_lo, exec_lo, s35
	s_cbranch_execnz .LBB4_8505
.LBB4_8085:                             ;   in Loop: Header=BB4_7984 Depth=3
	s_or_b32 exec_lo, exec_lo, s35
	s_and_saveexec_b32 s34, s14
	s_cbranch_execz .LBB4_8087
.LBB4_8086:                             ;   in Loop: Header=BB4_7984 Depth=3
	v_bfe_u32 v149, v12, 24, 3
	s_delay_alu instid0(VALU_DEP_1) | instskip(NEXT) | instid1(VALU_DEP_1)
	v_clz_i32_u32_e32 v150, v149
	v_min_u32_e32 v150, 32, v150
	s_delay_alu instid0(VALU_DEP_1) | instskip(SKIP_1) | instid1(VALU_DEP_2)
	v_subrev_nc_u32_e32 v151, 28, v150
	v_sub_nc_u32_e32 v150, 29, v150
	v_lshlrev_b32_e32 v85, v151, v85
	v_bfe_u32 v151, v12, 27, 4
	v_and_b32_e32 v12, 0x80000000, v12
	s_delay_alu instid0(VALU_DEP_2) | instskip(NEXT) | instid1(VALU_DEP_4)
	v_cmp_eq_u32_e32 vcc_lo, 0, v151
	v_dual_cndmask_b32 v150, v151, v150 :: v_dual_and_b32 v85, 7, v85
	s_delay_alu instid0(VALU_DEP_1) | instskip(NEXT) | instid1(VALU_DEP_2)
	v_cndmask_b32_e32 v85, v149, v85, vcc_lo
	v_lshl_add_u32 v149, v150, 23, 0x3b800000
	s_delay_alu instid0(VALU_DEP_2) | instskip(NEXT) | instid1(VALU_DEP_1)
	v_lshlrev_b32_e32 v85, 20, v85
	v_or3_b32 v149, v12, v149, v85
.LBB4_8087:                             ;   in Loop: Header=BB4_7984 Depth=3
	s_or_b32 exec_lo, exec_lo, s34
	s_mov_b32 s14, 0
	s_mov_b32 s35, exec_lo
                                        ; implicit-def: $sgpr34
	v_cmpx_lt_i16_e32 0x7f, v84
	s_xor_b32 s35, exec_lo, s35
	s_cbranch_execnz .LBB4_8506
; %bb.8088:                             ;   in Loop: Header=BB4_7984 Depth=3
	s_or_saveexec_b32 s35, s35
	v_mov_b32_e32 v12, s34
	s_xor_b32 exec_lo, exec_lo, s35
	s_cbranch_execnz .LBB4_8509
.LBB4_8089:                             ;   in Loop: Header=BB4_7984 Depth=3
	s_or_b32 exec_lo, exec_lo, s35
	s_and_saveexec_b32 s34, s14
	s_cbranch_execz .LBB4_8091
.LBB4_8090:                             ;   in Loop: Header=BB4_7984 Depth=3
	v_bfe_u32 v12, v8, 24, 3
	s_delay_alu instid0(VALU_DEP_1) | instskip(NEXT) | instid1(VALU_DEP_1)
	v_clz_i32_u32_e32 v85, v12
	v_min_u32_e32 v85, 32, v85
	s_delay_alu instid0(VALU_DEP_1) | instskip(SKIP_1) | instid1(VALU_DEP_2)
	v_subrev_nc_u32_e32 v150, 28, v85
	v_sub_nc_u32_e32 v85, 29, v85
	v_lshlrev_b32_e32 v84, v150, v84
	v_bfe_u32 v150, v8, 27, 4
	v_and_b32_e32 v8, 0x80000000, v8
	s_delay_alu instid0(VALU_DEP_2) | instskip(NEXT) | instid1(VALU_DEP_4)
	v_cmp_eq_u32_e32 vcc_lo, 0, v150
	v_dual_cndmask_b32 v85, v150, v85 :: v_dual_and_b32 v84, 7, v84
	s_delay_alu instid0(VALU_DEP_1) | instskip(NEXT) | instid1(VALU_DEP_2)
	v_cndmask_b32_e32 v12, v12, v84, vcc_lo
	v_lshl_add_u32 v84, v85, 23, 0x3b800000
	s_delay_alu instid0(VALU_DEP_2) | instskip(NEXT) | instid1(VALU_DEP_1)
	v_lshlrev_b32_e32 v12, 20, v12
	v_or3_b32 v12, v8, v84, v12
.LBB4_8091:                             ;   in Loop: Header=BB4_7984 Depth=3
	s_or_b32 exec_lo, exec_lo, s34
	s_delay_alu instid0(VALU_DEP_1) | instskip(SKIP_1) | instid1(VALU_DEP_1)
	v_max_f32_e32 v8, v12, v12
	v_max_f32_e32 v12, v149, v149
	v_min_f32_e32 v149, v12, v8
.LBB4_8092:                             ;   in Loop: Header=BB4_7984 Depth=3
	s_delay_alu instid0(VALU_DEP_1) | instskip(NEXT) | instid1(VALU_DEP_1)
	v_and_b32_e32 v8, 0x7f800000, v149
	v_cmp_ne_u32_e32 vcc_lo, 0x7f800000, v8
	v_mov_b32_e32 v8, 0x80
	s_and_saveexec_b32 s34, vcc_lo
	s_cbranch_execz .LBB4_8100
; %bb.8093:                             ;   in Loop: Header=BB4_7984 Depth=3
	v_mov_b32_e32 v8, 0
	s_mov_b32 s35, exec_lo
	v_cmpx_ne_u32_e32 0, v149
	s_cbranch_execz .LBB4_8099
; %bb.8094:                             ;   in Loop: Header=BB4_7984 Depth=3
	v_bfe_u32 v8, v149, 23, 8
	v_and_b32_e32 v12, 0x7fffff, v149
	s_delay_alu instid0(VALU_DEP_2) | instskip(SKIP_1) | instid1(VALU_DEP_3)
	v_sub_nc_u32_e32 v84, 0x78, v8
	v_cmp_gt_u32_e32 vcc_lo, 0x79, v8
	v_or_b32_e32 v85, 0x800000, v12
	s_delay_alu instid0(VALU_DEP_3) | instskip(SKIP_2) | instid1(VALU_DEP_3)
	v_cndmask_b32_e32 v84, 0, v84, vcc_lo
	v_cmp_eq_u32_e32 vcc_lo, 0, v8
	v_add_nc_u32_e32 v8, 0xffffff89, v8
	v_cndmask_b32_e64 v84, v84, 0x77, vcc_lo
	v_cndmask_b32_e32 v12, v85, v12, vcc_lo
	s_delay_alu instid0(VALU_DEP_3) | instskip(NEXT) | instid1(VALU_DEP_3)
	v_cndmask_b32_e64 v8, v8, 0xffffff8a, vcc_lo
	v_lshl_add_u32 v85, 0x100000, v84, -1
	s_delay_alu instid0(VALU_DEP_3) | instskip(SKIP_1) | instid1(VALU_DEP_4)
	v_lshrrev_b32_e32 v150, v84, v12
	v_lshlrev_b32_e64 v160, v84, 0x80000
	v_add_nc_u32_e32 v84, v84, v8
	s_delay_alu instid0(VALU_DEP_4) | instskip(NEXT) | instid1(VALU_DEP_4)
	v_and_b32_e32 v12, v85, v12
	v_bfe_u32 v151, v150, 20, 1
	s_delay_alu instid0(VALU_DEP_2) | instskip(NEXT) | instid1(VALU_DEP_2)
	v_cmp_eq_u32_e64 s14, v12, v160
	v_add_nc_u32_e32 v85, -1, v151
	s_delay_alu instid0(VALU_DEP_1) | instskip(SKIP_2) | instid1(VALU_DEP_2)
	v_cndmask_b32_e64 v12, 0, v85, s14
	v_lshrrev_b32_e32 v85, 23, v150
	s_mov_b32 s14, exec_lo
	v_add_nc_u32_e32 v12, v12, v150
	s_delay_alu instid0(VALU_DEP_2) | instskip(NEXT) | instid1(VALU_DEP_2)
	v_xor_b32_e32 v85, 1, v85
	v_and_b32_e32 v8, 0xfffff, v12
	s_delay_alu instid0(VALU_DEP_1) | instskip(NEXT) | instid1(VALU_DEP_3)
	v_add_nc_u32_e32 v12, v8, v150
                                        ; implicit-def: $vgpr8
	v_cmpx_ne_u32_e64 v84, v85
	s_xor_b32 s14, exec_lo, s14
; %bb.8095:                             ;   in Loop: Header=BB4_7984 Depth=3
	s_delay_alu instid0(VALU_DEP_2) | instskip(SKIP_2) | instid1(VALU_DEP_2)
	v_cmp_lt_u32_e32 vcc_lo, 0xffffff, v12
	v_sub_nc_u32_e32 v8, v84, v85
	v_cndmask_b32_e64 v84, 0, 1, vcc_lo
	v_add_co_ci_u32_e32 v8, vcc_lo, 0, v8, vcc_lo
	s_delay_alu instid0(VALU_DEP_2)
	v_lshrrev_b32_e32 v12, v84, v12
; %bb.8096:                             ;   in Loop: Header=BB4_7984 Depth=3
	s_and_not1_saveexec_b32 s14, s14
; %bb.8097:                             ;   in Loop: Header=BB4_7984 Depth=3
	s_delay_alu instid0(VALU_DEP_1)
	v_bfe_u32 v8, v12, 23, 1
; %bb.8098:                             ;   in Loop: Header=BB4_7984 Depth=3
	s_or_b32 exec_lo, exec_lo, s14
	v_lshrrev_b32_e32 v12, 20, v12
	s_delay_alu instid0(VALU_DEP_2) | instskip(SKIP_2) | instid1(VALU_DEP_4)
	v_cmp_gt_i32_e32 vcc_lo, 16, v8
	v_lshrrev_b32_e32 v84, 24, v149
	v_min_i32_e32 v85, 15, v8
	v_cndmask_b32_e32 v12, 7, v12, vcc_lo
	s_delay_alu instid0(VALU_DEP_3) | instskip(NEXT) | instid1(VALU_DEP_3)
	v_and_b32_e32 v84, 0x80, v84
	v_lshlrev_b32_e32 v85, 3, v85
	s_delay_alu instid0(VALU_DEP_3) | instskip(SKIP_1) | instid1(VALU_DEP_2)
	v_and_b32_e32 v149, 7, v12
	v_or_b32_e32 v8, v8, v12
	v_or3_b32 v12, v85, v84, v149
	s_delay_alu instid0(VALU_DEP_2) | instskip(NEXT) | instid1(VALU_DEP_2)
	v_cmp_ne_u32_e32 vcc_lo, 0, v8
	v_cndmask_b32_e32 v8, 0, v12, vcc_lo
.LBB4_8099:                             ;   in Loop: Header=BB4_7984 Depth=3
	s_or_b32 exec_lo, exec_lo, s35
.LBB4_8100:                             ;   in Loop: Header=BB4_7984 Depth=3
	s_delay_alu instid0(SALU_CYCLE_1) | instskip(NEXT) | instid1(SALU_CYCLE_1)
	s_or_b32 exec_lo, exec_lo, s34
	s_and_b32 vcc_lo, exec_lo, s31
	s_cbranch_vccz .LBB4_8110
; %bb.8101:                             ;   in Loop: Header=BB4_7984 Depth=3
	v_and_b32_e32 v84, 0xff, v13
	s_mov_b32 s14, 0
	s_mov_b32 s35, exec_lo
                                        ; implicit-def: $sgpr34
	s_delay_alu instid0(VALU_DEP_1)
	v_cmpx_lt_i16_e32 0x7f, v84
	s_xor_b32 s35, exec_lo, s35
	s_cbranch_execnz .LBB4_8510
; %bb.8102:                             ;   in Loop: Header=BB4_7984 Depth=3
	s_or_saveexec_b32 s35, s35
	v_mov_b32_e32 v12, s34
	s_xor_b32 exec_lo, exec_lo, s35
	s_cbranch_execnz .LBB4_8513
.LBB4_8103:                             ;   in Loop: Header=BB4_7984 Depth=3
	s_or_b32 exec_lo, exec_lo, s35
	s_and_saveexec_b32 s34, s14
	s_cbranch_execz .LBB4_8105
.LBB4_8104:                             ;   in Loop: Header=BB4_7984 Depth=3
	v_and_b32_e32 v12, 7, v13
	v_bfe_u32 v149, v13, 3, 4
	v_lshlrev_b32_e32 v150, 24, v13
	s_delay_alu instid0(VALU_DEP_3) | instskip(NEXT) | instid1(VALU_DEP_3)
	v_clz_i32_u32_e32 v84, v12
	v_cmp_eq_u32_e32 vcc_lo, 0, v149
	s_delay_alu instid0(VALU_DEP_2) | instskip(NEXT) | instid1(VALU_DEP_1)
	v_min_u32_e32 v84, 32, v84
	v_subrev_nc_u32_e32 v85, 28, v84
	v_sub_nc_u32_e32 v84, 29, v84
	s_delay_alu instid0(VALU_DEP_2) | instskip(NEXT) | instid1(VALU_DEP_1)
	v_lshlrev_b32_e32 v85, v85, v13
	v_dual_cndmask_b32 v84, v149, v84 :: v_dual_and_b32 v85, 7, v85
	s_delay_alu instid0(VALU_DEP_1) | instskip(NEXT) | instid1(VALU_DEP_2)
	v_lshl_add_u32 v84, v84, 23, 0x3b800000
	v_dual_cndmask_b32 v12, v12, v85 :: v_dual_and_b32 v85, 0x80000000, v150
	s_delay_alu instid0(VALU_DEP_1) | instskip(NEXT) | instid1(VALU_DEP_1)
	v_lshlrev_b32_e32 v12, 20, v12
	v_or3_b32 v12, v85, v84, v12
.LBB4_8105:                             ;   in Loop: Header=BB4_7984 Depth=3
	s_or_b32 exec_lo, exec_lo, s34
	v_and_b32_e32 v85, 0xff, v9
	s_mov_b32 s14, 0
	s_mov_b32 s35, exec_lo
                                        ; implicit-def: $sgpr34
	s_delay_alu instid0(VALU_DEP_1)
	v_cmpx_lt_i16_e32 0x7f, v85
	s_xor_b32 s35, exec_lo, s35
	s_cbranch_execnz .LBB4_8514
; %bb.8106:                             ;   in Loop: Header=BB4_7984 Depth=3
	s_or_saveexec_b32 s35, s35
	v_mov_b32_e32 v84, s34
	s_xor_b32 exec_lo, exec_lo, s35
	s_cbranch_execnz .LBB4_8517
.LBB4_8107:                             ;   in Loop: Header=BB4_7984 Depth=3
	s_or_b32 exec_lo, exec_lo, s35
	s_and_saveexec_b32 s34, s14
	s_cbranch_execz .LBB4_8109
.LBB4_8108:                             ;   in Loop: Header=BB4_7984 Depth=3
	v_and_b32_e32 v84, 7, v9
	v_bfe_u32 v150, v9, 3, 4
	v_lshlrev_b32_e32 v151, 24, v9
	s_delay_alu instid0(VALU_DEP_3) | instskip(NEXT) | instid1(VALU_DEP_3)
	v_clz_i32_u32_e32 v85, v84
	v_cmp_eq_u32_e32 vcc_lo, 0, v150
	s_delay_alu instid0(VALU_DEP_2) | instskip(NEXT) | instid1(VALU_DEP_1)
	v_min_u32_e32 v85, 32, v85
	v_subrev_nc_u32_e32 v149, 28, v85
	v_sub_nc_u32_e32 v85, 29, v85
	s_delay_alu instid0(VALU_DEP_2) | instskip(NEXT) | instid1(VALU_DEP_1)
	v_lshlrev_b32_e32 v149, v149, v9
	v_and_b32_e32 v149, 7, v149
	s_delay_alu instid0(VALU_DEP_1) | instskip(NEXT) | instid1(VALU_DEP_1)
	v_dual_cndmask_b32 v84, v84, v149 :: v_dual_and_b32 v149, 0x80000000, v151
	v_dual_cndmask_b32 v85, v150, v85 :: v_dual_lshlrev_b32 v84, 20, v84
	s_delay_alu instid0(VALU_DEP_1) | instskip(NEXT) | instid1(VALU_DEP_1)
	v_lshl_add_u32 v85, v85, 23, 0x3b800000
	v_or3_b32 v84, v149, v85, v84
.LBB4_8109:                             ;   in Loop: Header=BB4_7984 Depth=3
	s_or_b32 exec_lo, exec_lo, s34
	s_delay_alu instid0(VALU_DEP_1) | instskip(SKIP_2) | instid1(VALU_DEP_1)
	v_max_f32_e32 v84, v84, v84
	v_max_f32_e32 v12, v12, v12
	s_mov_b32 s14, 0
	v_max_f32_e32 v84, v12, v84
	s_branch .LBB4_8111
.LBB4_8110:                             ;   in Loop: Header=BB4_7984 Depth=3
	s_mov_b32 s14, -1
                                        ; implicit-def: $vgpr84
.LBB4_8111:                             ;   in Loop: Header=BB4_7984 Depth=3
	s_delay_alu instid0(SALU_CYCLE_1)
	s_and_b32 vcc_lo, exec_lo, s14
	s_cbranch_vccz .LBB4_8121
; %bb.8112:                             ;   in Loop: Header=BB4_7984 Depth=3
	v_and_b32_e32 v84, 0xff, v13
	s_mov_b32 s14, 0
	s_mov_b32 s35, exec_lo
                                        ; implicit-def: $sgpr34
	s_delay_alu instid0(VALU_DEP_1)
	v_cmpx_lt_i16_e32 0x7f, v84
	s_xor_b32 s35, exec_lo, s35
	s_cbranch_execnz .LBB4_8518
; %bb.8113:                             ;   in Loop: Header=BB4_7984 Depth=3
	s_or_saveexec_b32 s35, s35
	v_mov_b32_e32 v12, s34
	s_xor_b32 exec_lo, exec_lo, s35
	s_cbranch_execnz .LBB4_8521
.LBB4_8114:                             ;   in Loop: Header=BB4_7984 Depth=3
	s_or_b32 exec_lo, exec_lo, s35
	s_and_saveexec_b32 s34, s14
	s_cbranch_execz .LBB4_8116
.LBB4_8115:                             ;   in Loop: Header=BB4_7984 Depth=3
	v_and_b32_e32 v12, 7, v13
	v_bfe_u32 v149, v13, 3, 4
	v_lshlrev_b32_e32 v150, 24, v13
	s_delay_alu instid0(VALU_DEP_3) | instskip(NEXT) | instid1(VALU_DEP_3)
	v_clz_i32_u32_e32 v84, v12
	v_cmp_eq_u32_e32 vcc_lo, 0, v149
	s_delay_alu instid0(VALU_DEP_2) | instskip(NEXT) | instid1(VALU_DEP_1)
	v_min_u32_e32 v84, 32, v84
	v_subrev_nc_u32_e32 v85, 28, v84
	v_sub_nc_u32_e32 v84, 29, v84
	s_delay_alu instid0(VALU_DEP_2) | instskip(NEXT) | instid1(VALU_DEP_1)
	v_lshlrev_b32_e32 v85, v85, v13
	v_dual_cndmask_b32 v84, v149, v84 :: v_dual_and_b32 v85, 7, v85
	s_delay_alu instid0(VALU_DEP_1) | instskip(NEXT) | instid1(VALU_DEP_2)
	v_lshl_add_u32 v84, v84, 23, 0x3b800000
	v_dual_cndmask_b32 v12, v12, v85 :: v_dual_and_b32 v85, 0x80000000, v150
	s_delay_alu instid0(VALU_DEP_1) | instskip(NEXT) | instid1(VALU_DEP_1)
	v_lshlrev_b32_e32 v12, 20, v12
	v_or3_b32 v12, v85, v84, v12
.LBB4_8116:                             ;   in Loop: Header=BB4_7984 Depth=3
	s_or_b32 exec_lo, exec_lo, s34
	v_and_b32_e32 v85, 0xff, v9
	s_mov_b32 s14, 0
	s_mov_b32 s35, exec_lo
                                        ; implicit-def: $sgpr34
	s_delay_alu instid0(VALU_DEP_1)
	v_cmpx_lt_i16_e32 0x7f, v85
	s_xor_b32 s35, exec_lo, s35
	s_cbranch_execnz .LBB4_8522
; %bb.8117:                             ;   in Loop: Header=BB4_7984 Depth=3
	s_or_saveexec_b32 s35, s35
	v_mov_b32_e32 v84, s34
	s_xor_b32 exec_lo, exec_lo, s35
	s_cbranch_execnz .LBB4_8525
.LBB4_8118:                             ;   in Loop: Header=BB4_7984 Depth=3
	s_or_b32 exec_lo, exec_lo, s35
	s_and_saveexec_b32 s34, s14
	s_cbranch_execz .LBB4_8120
.LBB4_8119:                             ;   in Loop: Header=BB4_7984 Depth=3
	v_and_b32_e32 v84, 7, v9
	v_bfe_u32 v150, v9, 3, 4
	v_lshlrev_b32_e32 v151, 24, v9
	s_delay_alu instid0(VALU_DEP_3) | instskip(NEXT) | instid1(VALU_DEP_3)
	v_clz_i32_u32_e32 v85, v84
	v_cmp_eq_u32_e32 vcc_lo, 0, v150
	s_delay_alu instid0(VALU_DEP_2) | instskip(NEXT) | instid1(VALU_DEP_1)
	v_min_u32_e32 v85, 32, v85
	v_subrev_nc_u32_e32 v149, 28, v85
	v_sub_nc_u32_e32 v85, 29, v85
	s_delay_alu instid0(VALU_DEP_2) | instskip(NEXT) | instid1(VALU_DEP_1)
	v_lshlrev_b32_e32 v149, v149, v9
	v_and_b32_e32 v149, 7, v149
	s_delay_alu instid0(VALU_DEP_1) | instskip(NEXT) | instid1(VALU_DEP_1)
	v_dual_cndmask_b32 v84, v84, v149 :: v_dual_and_b32 v149, 0x80000000, v151
	v_dual_cndmask_b32 v85, v150, v85 :: v_dual_lshlrev_b32 v84, 20, v84
	s_delay_alu instid0(VALU_DEP_1) | instskip(NEXT) | instid1(VALU_DEP_1)
	v_lshl_add_u32 v85, v85, 23, 0x3b800000
	v_or3_b32 v84, v149, v85, v84
.LBB4_8120:                             ;   in Loop: Header=BB4_7984 Depth=3
	s_or_b32 exec_lo, exec_lo, s34
	s_delay_alu instid0(VALU_DEP_1) | instskip(SKIP_1) | instid1(VALU_DEP_1)
	v_max_f32_e32 v84, v84, v84
	v_max_f32_e32 v12, v12, v12
	v_min_f32_e32 v84, v12, v84
.LBB4_8121:                             ;   in Loop: Header=BB4_7984 Depth=3
	s_delay_alu instid0(VALU_DEP_1) | instskip(NEXT) | instid1(VALU_DEP_1)
	v_and_b32_e32 v12, 0x7f800000, v84
	v_cmp_ne_u32_e32 vcc_lo, 0x7f800000, v12
	v_mov_b32_e32 v12, 0x80
	s_and_saveexec_b32 s34, vcc_lo
	s_cbranch_execz .LBB4_8129
; %bb.8122:                             ;   in Loop: Header=BB4_7984 Depth=3
	v_mov_b32_e32 v12, 0
	s_mov_b32 s35, exec_lo
	v_cmpx_ne_u32_e32 0, v84
	s_cbranch_execz .LBB4_8128
; %bb.8123:                             ;   in Loop: Header=BB4_7984 Depth=3
	v_bfe_u32 v12, v84, 23, 8
	v_and_b32_e32 v85, 0x7fffff, v84
	s_delay_alu instid0(VALU_DEP_2) | instskip(SKIP_1) | instid1(VALU_DEP_3)
	v_sub_nc_u32_e32 v149, 0x78, v12
	v_cmp_gt_u32_e32 vcc_lo, 0x79, v12
	v_or_b32_e32 v150, 0x800000, v85
	s_delay_alu instid0(VALU_DEP_3) | instskip(SKIP_2) | instid1(VALU_DEP_3)
	v_cndmask_b32_e32 v149, 0, v149, vcc_lo
	v_cmp_eq_u32_e32 vcc_lo, 0, v12
	v_add_nc_u32_e32 v12, 0xffffff89, v12
	v_cndmask_b32_e64 v149, v149, 0x77, vcc_lo
	v_cndmask_b32_e32 v85, v150, v85, vcc_lo
	s_delay_alu instid0(VALU_DEP_3) | instskip(NEXT) | instid1(VALU_DEP_3)
	v_cndmask_b32_e64 v12, v12, 0xffffff8a, vcc_lo
	v_lshl_add_u32 v150, 0x100000, v149, -1
	s_delay_alu instid0(VALU_DEP_3) | instskip(SKIP_1) | instid1(VALU_DEP_4)
	v_lshrrev_b32_e32 v151, v149, v85
	v_lshlrev_b32_e64 v161, v149, 0x80000
	v_add_nc_u32_e32 v149, v149, v12
	s_delay_alu instid0(VALU_DEP_4) | instskip(NEXT) | instid1(VALU_DEP_4)
	v_and_b32_e32 v85, v150, v85
	v_bfe_u32 v160, v151, 20, 1
	s_delay_alu instid0(VALU_DEP_2) | instskip(NEXT) | instid1(VALU_DEP_2)
	v_cmp_eq_u32_e64 s14, v85, v161
	v_add_nc_u32_e32 v150, -1, v160
	s_delay_alu instid0(VALU_DEP_1) | instskip(SKIP_2) | instid1(VALU_DEP_2)
	v_cndmask_b32_e64 v85, 0, v150, s14
	v_lshrrev_b32_e32 v150, 23, v151
	s_mov_b32 s14, exec_lo
	v_add_nc_u32_e32 v85, v85, v151
	s_delay_alu instid0(VALU_DEP_2) | instskip(NEXT) | instid1(VALU_DEP_2)
	v_xor_b32_e32 v150, 1, v150
	v_and_b32_e32 v12, 0xfffff, v85
	s_delay_alu instid0(VALU_DEP_1) | instskip(NEXT) | instid1(VALU_DEP_3)
	v_add_nc_u32_e32 v85, v12, v151
                                        ; implicit-def: $vgpr12
	v_cmpx_ne_u32_e64 v149, v150
	s_xor_b32 s14, exec_lo, s14
; %bb.8124:                             ;   in Loop: Header=BB4_7984 Depth=3
	s_delay_alu instid0(VALU_DEP_2) | instskip(SKIP_2) | instid1(VALU_DEP_2)
	v_cmp_lt_u32_e32 vcc_lo, 0xffffff, v85
	v_sub_nc_u32_e32 v12, v149, v150
	v_cndmask_b32_e64 v149, 0, 1, vcc_lo
	v_add_co_ci_u32_e32 v12, vcc_lo, 0, v12, vcc_lo
	s_delay_alu instid0(VALU_DEP_2)
	v_lshrrev_b32_e32 v85, v149, v85
; %bb.8125:                             ;   in Loop: Header=BB4_7984 Depth=3
	s_and_not1_saveexec_b32 s14, s14
; %bb.8126:                             ;   in Loop: Header=BB4_7984 Depth=3
	s_delay_alu instid0(VALU_DEP_1)
	v_bfe_u32 v12, v85, 23, 1
; %bb.8127:                             ;   in Loop: Header=BB4_7984 Depth=3
	s_or_b32 exec_lo, exec_lo, s14
	v_lshrrev_b32_e32 v85, 20, v85
	s_delay_alu instid0(VALU_DEP_2) | instskip(SKIP_2) | instid1(VALU_DEP_2)
	v_cmp_gt_i32_e32 vcc_lo, 16, v12
	v_lshrrev_b32_e32 v84, 24, v84
	v_min_i32_e32 v149, 15, v12
	v_dual_cndmask_b32 v85, 7, v85 :: v_dual_and_b32 v84, 0x80, v84
	s_delay_alu instid0(VALU_DEP_1) | instskip(SKIP_1) | instid1(VALU_DEP_2)
	v_or_b32_e32 v12, v12, v85
	v_and_b32_e32 v150, 7, v85
	v_cmp_ne_u32_e32 vcc_lo, 0, v12
	v_lshlrev_b32_e32 v149, 3, v149
	s_delay_alu instid0(VALU_DEP_1) | instskip(NEXT) | instid1(VALU_DEP_1)
	v_or3_b32 v84, v149, v84, v150
	v_cndmask_b32_e32 v12, 0, v84, vcc_lo
.LBB4_8128:                             ;   in Loop: Header=BB4_7984 Depth=3
	s_or_b32 exec_lo, exec_lo, s35
.LBB4_8129:                             ;   in Loop: Header=BB4_7984 Depth=3
	s_delay_alu instid0(SALU_CYCLE_1)
	s_or_b32 exec_lo, exec_lo, s34
	v_lshrrev_b16 v85, 8, v13
	v_lshrrev_b16 v84, 8, v9
	s_and_b32 vcc_lo, exec_lo, s31
	s_cbranch_vccz .LBB4_8139
; %bb.8130:                             ;   in Loop: Header=BB4_7984 Depth=3
	s_mov_b32 s14, 0
	s_mov_b32 s35, exec_lo
                                        ; implicit-def: $sgpr34
	v_cmpx_lt_i16_e32 0x7f, v85
	s_xor_b32 s35, exec_lo, s35
	s_cbranch_execnz .LBB4_8526
; %bb.8131:                             ;   in Loop: Header=BB4_7984 Depth=3
	s_or_saveexec_b32 s35, s35
	v_mov_b32_e32 v149, s34
	s_xor_b32 exec_lo, exec_lo, s35
	s_cbranch_execnz .LBB4_8529
.LBB4_8132:                             ;   in Loop: Header=BB4_7984 Depth=3
	s_or_b32 exec_lo, exec_lo, s35
	s_and_saveexec_b32 s34, s14
	s_cbranch_execz .LBB4_8134
.LBB4_8133:                             ;   in Loop: Header=BB4_7984 Depth=3
	v_and_b32_e32 v149, 0xffff, v85
	v_lshlrev_b32_e32 v161, 16, v13
	s_delay_alu instid0(VALU_DEP_2) | instskip(NEXT) | instid1(VALU_DEP_1)
	v_and_b32_e32 v150, 7, v149
	v_clz_i32_u32_e32 v151, v150
	s_delay_alu instid0(VALU_DEP_1) | instskip(NEXT) | instid1(VALU_DEP_1)
	v_min_u32_e32 v151, 32, v151
	v_subrev_nc_u32_e32 v160, 28, v151
	v_sub_nc_u32_e32 v151, 29, v151
	s_delay_alu instid0(VALU_DEP_2) | instskip(SKIP_1) | instid1(VALU_DEP_2)
	v_lshlrev_b32_e32 v160, v160, v149
	v_bfe_u32 v149, v149, 3, 4
	v_and_b32_e32 v160, 7, v160
	s_delay_alu instid0(VALU_DEP_2) | instskip(NEXT) | instid1(VALU_DEP_2)
	v_cmp_eq_u32_e32 vcc_lo, 0, v149
	v_dual_cndmask_b32 v149, v149, v151 :: v_dual_cndmask_b32 v150, v150, v160
	v_and_b32_e32 v151, 0x80000000, v161
	s_delay_alu instid0(VALU_DEP_2) | instskip(NEXT) | instid1(VALU_DEP_3)
	v_lshl_add_u32 v149, v149, 23, 0x3b800000
	v_lshlrev_b32_e32 v150, 20, v150
	s_delay_alu instid0(VALU_DEP_1)
	v_or3_b32 v149, v151, v149, v150
.LBB4_8134:                             ;   in Loop: Header=BB4_7984 Depth=3
	s_or_b32 exec_lo, exec_lo, s34
	s_mov_b32 s14, 0
	s_mov_b32 s35, exec_lo
                                        ; implicit-def: $sgpr34
	v_cmpx_lt_i16_e32 0x7f, v84
	s_xor_b32 s35, exec_lo, s35
	s_cbranch_execnz .LBB4_8530
; %bb.8135:                             ;   in Loop: Header=BB4_7984 Depth=3
	s_or_saveexec_b32 s35, s35
	v_mov_b32_e32 v150, s34
	s_xor_b32 exec_lo, exec_lo, s35
	s_cbranch_execnz .LBB4_8533
.LBB4_8136:                             ;   in Loop: Header=BB4_7984 Depth=3
	s_or_b32 exec_lo, exec_lo, s35
	s_and_saveexec_b32 s34, s14
	s_cbranch_execz .LBB4_8138
.LBB4_8137:                             ;   in Loop: Header=BB4_7984 Depth=3
	v_and_b32_e32 v150, 0xffff, v84
	v_lshlrev_b32_e32 v162, 16, v9
	s_delay_alu instid0(VALU_DEP_2) | instskip(NEXT) | instid1(VALU_DEP_1)
	v_and_b32_e32 v151, 7, v150
	v_clz_i32_u32_e32 v160, v151
	s_delay_alu instid0(VALU_DEP_1) | instskip(NEXT) | instid1(VALU_DEP_1)
	v_min_u32_e32 v160, 32, v160
	v_subrev_nc_u32_e32 v161, 28, v160
	v_sub_nc_u32_e32 v160, 29, v160
	s_delay_alu instid0(VALU_DEP_2) | instskip(SKIP_1) | instid1(VALU_DEP_2)
	v_lshlrev_b32_e32 v161, v161, v150
	v_bfe_u32 v150, v150, 3, 4
	v_and_b32_e32 v161, 7, v161
	s_delay_alu instid0(VALU_DEP_2) | instskip(NEXT) | instid1(VALU_DEP_2)
	v_cmp_eq_u32_e32 vcc_lo, 0, v150
	v_dual_cndmask_b32 v150, v150, v160 :: v_dual_cndmask_b32 v151, v151, v161
	v_and_b32_e32 v160, 0x80000000, v162
	s_delay_alu instid0(VALU_DEP_2) | instskip(NEXT) | instid1(VALU_DEP_3)
	v_lshl_add_u32 v150, v150, 23, 0x3b800000
	v_lshlrev_b32_e32 v151, 20, v151
	s_delay_alu instid0(VALU_DEP_1)
	v_or3_b32 v150, v160, v150, v151
.LBB4_8138:                             ;   in Loop: Header=BB4_7984 Depth=3
	s_or_b32 exec_lo, exec_lo, s34
	s_delay_alu instid0(VALU_DEP_1) | instskip(SKIP_1) | instid1(VALU_DEP_1)
	v_dual_max_f32 v150, v150, v150 :: v_dual_max_f32 v149, v149, v149
	s_mov_b32 s14, 0
	v_max_f32_e32 v149, v149, v150
	s_branch .LBB4_8140
.LBB4_8139:                             ;   in Loop: Header=BB4_7984 Depth=3
	s_mov_b32 s14, -1
                                        ; implicit-def: $vgpr149
.LBB4_8140:                             ;   in Loop: Header=BB4_7984 Depth=3
	s_delay_alu instid0(SALU_CYCLE_1)
	s_and_b32 vcc_lo, exec_lo, s14
	s_cbranch_vccz .LBB4_8150
; %bb.8141:                             ;   in Loop: Header=BB4_7984 Depth=3
	s_mov_b32 s14, 0
	s_mov_b32 s35, exec_lo
                                        ; implicit-def: $sgpr34
	v_cmpx_lt_i16_e32 0x7f, v85
	s_xor_b32 s35, exec_lo, s35
	s_cbranch_execnz .LBB4_8534
; %bb.8142:                             ;   in Loop: Header=BB4_7984 Depth=3
	s_or_saveexec_b32 s35, s35
	v_mov_b32_e32 v149, s34
	s_xor_b32 exec_lo, exec_lo, s35
	s_cbranch_execnz .LBB4_8537
.LBB4_8143:                             ;   in Loop: Header=BB4_7984 Depth=3
	s_or_b32 exec_lo, exec_lo, s35
	s_and_saveexec_b32 s34, s14
	s_cbranch_execz .LBB4_8145
.LBB4_8144:                             ;   in Loop: Header=BB4_7984 Depth=3
	v_and_b32_e32 v85, 0xffff, v85
	s_delay_alu instid0(VALU_DEP_1) | instskip(NEXT) | instid1(VALU_DEP_1)
	v_and_b32_e32 v149, 7, v85
	v_clz_i32_u32_e32 v150, v149
	s_delay_alu instid0(VALU_DEP_1) | instskip(NEXT) | instid1(VALU_DEP_1)
	v_min_u32_e32 v150, 32, v150
	v_subrev_nc_u32_e32 v151, 28, v150
	v_sub_nc_u32_e32 v150, 29, v150
	s_delay_alu instid0(VALU_DEP_2) | instskip(SKIP_1) | instid1(VALU_DEP_2)
	v_lshlrev_b32_e32 v151, v151, v85
	v_bfe_u32 v85, v85, 3, 4
	v_and_b32_e32 v151, 7, v151
	s_delay_alu instid0(VALU_DEP_2) | instskip(SKIP_1) | instid1(VALU_DEP_1)
	v_cmp_eq_u32_e32 vcc_lo, 0, v85
	v_dual_cndmask_b32 v85, v85, v150 :: v_dual_lshlrev_b32 v160, 16, v13
	v_dual_cndmask_b32 v149, v149, v151 :: v_dual_and_b32 v150, 0x80000000, v160
	s_delay_alu instid0(VALU_DEP_2) | instskip(NEXT) | instid1(VALU_DEP_2)
	v_lshl_add_u32 v85, v85, 23, 0x3b800000
	v_lshlrev_b32_e32 v149, 20, v149
	s_delay_alu instid0(VALU_DEP_1)
	v_or3_b32 v149, v150, v85, v149
.LBB4_8145:                             ;   in Loop: Header=BB4_7984 Depth=3
	s_or_b32 exec_lo, exec_lo, s34
	s_mov_b32 s14, 0
	s_mov_b32 s35, exec_lo
                                        ; implicit-def: $sgpr34
	v_cmpx_lt_i16_e32 0x7f, v84
	s_xor_b32 s35, exec_lo, s35
	s_cbranch_execnz .LBB4_8538
; %bb.8146:                             ;   in Loop: Header=BB4_7984 Depth=3
	s_or_saveexec_b32 s35, s35
	v_mov_b32_e32 v85, s34
	s_xor_b32 exec_lo, exec_lo, s35
	s_cbranch_execnz .LBB4_8541
.LBB4_8147:                             ;   in Loop: Header=BB4_7984 Depth=3
	s_or_b32 exec_lo, exec_lo, s35
	s_and_saveexec_b32 s34, s14
	s_cbranch_execz .LBB4_8149
.LBB4_8148:                             ;   in Loop: Header=BB4_7984 Depth=3
	v_and_b32_e32 v84, 0xffff, v84
	v_lshlrev_b32_e32 v160, 16, v9
	s_delay_alu instid0(VALU_DEP_2) | instskip(NEXT) | instid1(VALU_DEP_1)
	v_and_b32_e32 v85, 7, v84
	v_clz_i32_u32_e32 v150, v85
	s_delay_alu instid0(VALU_DEP_1) | instskip(NEXT) | instid1(VALU_DEP_1)
	v_min_u32_e32 v150, 32, v150
	v_subrev_nc_u32_e32 v151, 28, v150
	v_sub_nc_u32_e32 v150, 29, v150
	s_delay_alu instid0(VALU_DEP_2) | instskip(SKIP_1) | instid1(VALU_DEP_2)
	v_lshlrev_b32_e32 v151, v151, v84
	v_bfe_u32 v84, v84, 3, 4
	v_and_b32_e32 v151, 7, v151
	s_delay_alu instid0(VALU_DEP_2) | instskip(NEXT) | instid1(VALU_DEP_2)
	v_cmp_eq_u32_e32 vcc_lo, 0, v84
	v_dual_cndmask_b32 v84, v84, v150 :: v_dual_cndmask_b32 v85, v85, v151
	v_and_b32_e32 v150, 0x80000000, v160
	s_delay_alu instid0(VALU_DEP_2) | instskip(NEXT) | instid1(VALU_DEP_3)
	v_lshl_add_u32 v84, v84, 23, 0x3b800000
	v_lshlrev_b32_e32 v85, 20, v85
	s_delay_alu instid0(VALU_DEP_1)
	v_or3_b32 v85, v150, v84, v85
.LBB4_8149:                             ;   in Loop: Header=BB4_7984 Depth=3
	s_or_b32 exec_lo, exec_lo, s34
	s_delay_alu instid0(VALU_DEP_1) | instskip(SKIP_1) | instid1(VALU_DEP_1)
	v_max_f32_e32 v84, v85, v85
	v_max_f32_e32 v85, v149, v149
	v_min_f32_e32 v149, v85, v84
.LBB4_8150:                             ;   in Loop: Header=BB4_7984 Depth=3
	s_delay_alu instid0(VALU_DEP_1) | instskip(NEXT) | instid1(VALU_DEP_1)
	v_and_b32_e32 v84, 0x7f800000, v149
	v_cmp_ne_u32_e32 vcc_lo, 0x7f800000, v84
	v_mov_b32_e32 v84, 0x80
	s_and_saveexec_b32 s34, vcc_lo
	s_cbranch_execz .LBB4_8158
; %bb.8151:                             ;   in Loop: Header=BB4_7984 Depth=3
	v_mov_b32_e32 v84, 0
	s_mov_b32 s35, exec_lo
	v_cmpx_ne_u32_e32 0, v149
	s_cbranch_execz .LBB4_8157
; %bb.8152:                             ;   in Loop: Header=BB4_7984 Depth=3
	v_bfe_u32 v84, v149, 23, 8
	s_delay_alu instid0(VALU_DEP_1) | instskip(SKIP_1) | instid1(VALU_DEP_2)
	v_sub_nc_u32_e32 v150, 0x78, v84
	v_cmp_gt_u32_e32 vcc_lo, 0x79, v84
	v_dual_cndmask_b32 v150, 0, v150 :: v_dual_and_b32 v85, 0x7fffff, v149
	s_delay_alu instid0(VALU_DEP_1) | instskip(SKIP_2) | instid1(VALU_DEP_4)
	v_or_b32_e32 v151, 0x800000, v85
	v_cmp_eq_u32_e32 vcc_lo, 0, v84
	v_add_nc_u32_e32 v84, 0xffffff89, v84
	v_cndmask_b32_e64 v150, v150, 0x77, vcc_lo
	s_delay_alu instid0(VALU_DEP_4) | instskip(NEXT) | instid1(VALU_DEP_3)
	v_cndmask_b32_e32 v85, v151, v85, vcc_lo
	v_cndmask_b32_e64 v84, v84, 0xffffff8a, vcc_lo
	s_delay_alu instid0(VALU_DEP_3) | instskip(NEXT) | instid1(VALU_DEP_3)
	v_lshl_add_u32 v151, 0x100000, v150, -1
	v_lshrrev_b32_e32 v160, v150, v85
	v_lshlrev_b32_e64 v162, v150, 0x80000
	s_delay_alu instid0(VALU_DEP_4) | instskip(NEXT) | instid1(VALU_DEP_4)
	v_add_nc_u32_e32 v150, v150, v84
	v_and_b32_e32 v85, v151, v85
	s_delay_alu instid0(VALU_DEP_4) | instskip(NEXT) | instid1(VALU_DEP_2)
	v_bfe_u32 v161, v160, 20, 1
	v_cmp_eq_u32_e64 s14, v85, v162
	s_delay_alu instid0(VALU_DEP_2) | instskip(NEXT) | instid1(VALU_DEP_1)
	v_add_nc_u32_e32 v151, -1, v161
	v_cndmask_b32_e64 v85, 0, v151, s14
	v_lshrrev_b32_e32 v151, 23, v160
	s_mov_b32 s14, exec_lo
	s_delay_alu instid0(VALU_DEP_2) | instskip(NEXT) | instid1(VALU_DEP_2)
	v_add_nc_u32_e32 v85, v85, v160
	v_xor_b32_e32 v151, 1, v151
	s_delay_alu instid0(VALU_DEP_2) | instskip(NEXT) | instid1(VALU_DEP_1)
	v_and_b32_e32 v84, 0xfffff, v85
	v_add_nc_u32_e32 v85, v84, v160
                                        ; implicit-def: $vgpr84
	s_delay_alu instid0(VALU_DEP_3)
	v_cmpx_ne_u32_e64 v150, v151
	s_xor_b32 s14, exec_lo, s14
; %bb.8153:                             ;   in Loop: Header=BB4_7984 Depth=3
	s_delay_alu instid0(VALU_DEP_2) | instskip(SKIP_2) | instid1(VALU_DEP_2)
	v_cmp_lt_u32_e32 vcc_lo, 0xffffff, v85
	v_sub_nc_u32_e32 v84, v150, v151
	v_cndmask_b32_e64 v150, 0, 1, vcc_lo
	v_add_co_ci_u32_e32 v84, vcc_lo, 0, v84, vcc_lo
	s_delay_alu instid0(VALU_DEP_2)
	v_lshrrev_b32_e32 v85, v150, v85
; %bb.8154:                             ;   in Loop: Header=BB4_7984 Depth=3
	s_and_not1_saveexec_b32 s14, s14
; %bb.8155:                             ;   in Loop: Header=BB4_7984 Depth=3
	s_delay_alu instid0(VALU_DEP_1)
	v_bfe_u32 v84, v85, 23, 1
; %bb.8156:                             ;   in Loop: Header=BB4_7984 Depth=3
	s_or_b32 exec_lo, exec_lo, s14
	v_lshrrev_b32_e32 v85, 20, v85
	s_delay_alu instid0(VALU_DEP_2) | instskip(SKIP_2) | instid1(VALU_DEP_4)
	v_cmp_gt_i32_e32 vcc_lo, 16, v84
	v_lshrrev_b32_e32 v149, 24, v149
	v_min_i32_e32 v150, 15, v84
	v_cndmask_b32_e32 v85, 7, v85, vcc_lo
	s_delay_alu instid0(VALU_DEP_3) | instskip(NEXT) | instid1(VALU_DEP_3)
	v_and_b32_e32 v149, 0x80, v149
	v_lshlrev_b32_e32 v150, 3, v150
	s_delay_alu instid0(VALU_DEP_3) | instskip(SKIP_1) | instid1(VALU_DEP_2)
	v_and_b32_e32 v151, 7, v85
	v_or_b32_e32 v84, v84, v85
	v_or3_b32 v85, v150, v149, v151
	s_delay_alu instid0(VALU_DEP_2) | instskip(NEXT) | instid1(VALU_DEP_2)
	v_cmp_ne_u32_e32 vcc_lo, 0, v84
	v_cndmask_b32_e32 v84, 0, v85, vcc_lo
.LBB4_8157:                             ;   in Loop: Header=BB4_7984 Depth=3
	s_or_b32 exec_lo, exec_lo, s35
.LBB4_8158:                             ;   in Loop: Header=BB4_7984 Depth=3
	s_delay_alu instid0(SALU_CYCLE_1)
	s_or_b32 exec_lo, exec_lo, s34
	v_lshrrev_b32_e32 v149, 16, v13
	v_lshrrev_b32_e32 v85, 16, v9
	s_and_b32 vcc_lo, exec_lo, s31
	s_cbranch_vccz .LBB4_8168
; %bb.8159:                             ;   in Loop: Header=BB4_7984 Depth=3
	s_delay_alu instid0(VALU_DEP_2) | instskip(SKIP_2) | instid1(VALU_DEP_1)
	v_and_b32_e32 v151, 0xff, v149
	s_mov_b32 s14, 0
	s_mov_b32 s35, exec_lo
                                        ; implicit-def: $sgpr34
	v_cmpx_lt_i16_e64 0x7f, v151
	s_xor_b32 s35, exec_lo, s35
	s_cbranch_execnz .LBB4_8542
; %bb.8160:                             ;   in Loop: Header=BB4_7984 Depth=3
	s_or_saveexec_b32 s35, s35
	v_mov_b32_e32 v150, s34
	s_xor_b32 exec_lo, exec_lo, s35
	s_cbranch_execnz .LBB4_8545
.LBB4_8161:                             ;   in Loop: Header=BB4_7984 Depth=3
	s_or_b32 exec_lo, exec_lo, s35
	s_and_saveexec_b32 s34, s14
	s_cbranch_execz .LBB4_8163
.LBB4_8162:                             ;   in Loop: Header=BB4_7984 Depth=3
	v_bfe_u32 v150, v13, 16, 3
	v_bfe_u32 v161, v13, 19, 4
	v_lshlrev_b32_e32 v162, 24, v149
	s_delay_alu instid0(VALU_DEP_3) | instskip(NEXT) | instid1(VALU_DEP_3)
	v_clz_i32_u32_e32 v151, v150
	v_cmp_eq_u32_e32 vcc_lo, 0, v161
	s_delay_alu instid0(VALU_DEP_2) | instskip(NEXT) | instid1(VALU_DEP_1)
	v_min_u32_e32 v151, 32, v151
	v_subrev_nc_u32_e32 v160, 28, v151
	v_sub_nc_u32_e32 v151, 29, v151
	s_delay_alu instid0(VALU_DEP_1) | instskip(NEXT) | instid1(VALU_DEP_1)
	v_dual_cndmask_b32 v151, v161, v151 :: v_dual_lshlrev_b32 v160, v160, v149
	v_and_b32_e32 v160, 7, v160
	s_delay_alu instid0(VALU_DEP_2) | instskip(NEXT) | instid1(VALU_DEP_2)
	v_lshl_add_u32 v151, v151, 23, 0x3b800000
	v_cndmask_b32_e32 v150, v150, v160, vcc_lo
	v_and_b32_e32 v160, 0x80000000, v162
	s_delay_alu instid0(VALU_DEP_2) | instskip(NEXT) | instid1(VALU_DEP_1)
	v_lshlrev_b32_e32 v150, 20, v150
	v_or3_b32 v150, v160, v151, v150
.LBB4_8163:                             ;   in Loop: Header=BB4_7984 Depth=3
	s_or_b32 exec_lo, exec_lo, s34
	v_and_b32_e32 v160, 0xff, v85
	s_mov_b32 s14, 0
	s_mov_b32 s35, exec_lo
                                        ; implicit-def: $sgpr34
	s_delay_alu instid0(VALU_DEP_1)
	v_cmpx_lt_i16_e64 0x7f, v160
	s_xor_b32 s35, exec_lo, s35
	s_cbranch_execnz .LBB4_8546
; %bb.8164:                             ;   in Loop: Header=BB4_7984 Depth=3
	s_or_saveexec_b32 s35, s35
	v_mov_b32_e32 v151, s34
	s_xor_b32 exec_lo, exec_lo, s35
	s_cbranch_execnz .LBB4_8549
.LBB4_8165:                             ;   in Loop: Header=BB4_7984 Depth=3
	s_or_b32 exec_lo, exec_lo, s35
	s_and_saveexec_b32 s34, s14
	s_cbranch_execz .LBB4_8167
.LBB4_8166:                             ;   in Loop: Header=BB4_7984 Depth=3
	v_bfe_u32 v151, v9, 16, 3
	v_bfe_u32 v162, v9, 19, 4
	v_lshlrev_b32_e32 v163, 24, v85
	s_delay_alu instid0(VALU_DEP_3) | instskip(NEXT) | instid1(VALU_DEP_3)
	v_clz_i32_u32_e32 v160, v151
	v_cmp_eq_u32_e32 vcc_lo, 0, v162
	s_delay_alu instid0(VALU_DEP_2) | instskip(NEXT) | instid1(VALU_DEP_1)
	v_min_u32_e32 v160, 32, v160
	v_subrev_nc_u32_e32 v161, 28, v160
	v_sub_nc_u32_e32 v160, 29, v160
	s_delay_alu instid0(VALU_DEP_1) | instskip(NEXT) | instid1(VALU_DEP_1)
	v_dual_cndmask_b32 v160, v162, v160 :: v_dual_lshlrev_b32 v161, v161, v85
	v_and_b32_e32 v161, 7, v161
	s_delay_alu instid0(VALU_DEP_2) | instskip(NEXT) | instid1(VALU_DEP_2)
	v_lshl_add_u32 v160, v160, 23, 0x3b800000
	v_cndmask_b32_e32 v151, v151, v161, vcc_lo
	v_and_b32_e32 v161, 0x80000000, v163
	s_delay_alu instid0(VALU_DEP_2) | instskip(NEXT) | instid1(VALU_DEP_1)
	v_lshlrev_b32_e32 v151, 20, v151
	v_or3_b32 v151, v161, v160, v151
.LBB4_8167:                             ;   in Loop: Header=BB4_7984 Depth=3
	s_or_b32 exec_lo, exec_lo, s34
	s_delay_alu instid0(VALU_DEP_1) | instskip(SKIP_1) | instid1(VALU_DEP_1)
	v_dual_max_f32 v151, v151, v151 :: v_dual_max_f32 v150, v150, v150
	s_mov_b32 s14, 0
	v_max_f32_e32 v150, v150, v151
	s_branch .LBB4_8169
.LBB4_8168:                             ;   in Loop: Header=BB4_7984 Depth=3
	s_mov_b32 s14, -1
                                        ; implicit-def: $vgpr150
.LBB4_8169:                             ;   in Loop: Header=BB4_7984 Depth=3
	s_delay_alu instid0(SALU_CYCLE_1)
	s_and_b32 vcc_lo, exec_lo, s14
	s_cbranch_vccz .LBB4_8179
; %bb.8170:                             ;   in Loop: Header=BB4_7984 Depth=3
	v_and_b32_e32 v151, 0xff, v149
	s_mov_b32 s14, 0
	s_mov_b32 s35, exec_lo
                                        ; implicit-def: $sgpr34
	s_delay_alu instid0(VALU_DEP_1)
	v_cmpx_lt_i16_e64 0x7f, v151
	s_xor_b32 s35, exec_lo, s35
	s_cbranch_execnz .LBB4_8550
; %bb.8171:                             ;   in Loop: Header=BB4_7984 Depth=3
	s_or_saveexec_b32 s35, s35
	v_mov_b32_e32 v150, s34
	s_xor_b32 exec_lo, exec_lo, s35
	s_cbranch_execnz .LBB4_8553
.LBB4_8172:                             ;   in Loop: Header=BB4_7984 Depth=3
	s_or_b32 exec_lo, exec_lo, s35
	s_and_saveexec_b32 s34, s14
	s_cbranch_execz .LBB4_8174
.LBB4_8173:                             ;   in Loop: Header=BB4_7984 Depth=3
	v_bfe_u32 v150, v13, 16, 3
	v_bfe_u32 v161, v13, 19, 4
	s_delay_alu instid0(VALU_DEP_2) | instskip(NEXT) | instid1(VALU_DEP_2)
	v_clz_i32_u32_e32 v151, v150
	v_cmp_eq_u32_e32 vcc_lo, 0, v161
	s_delay_alu instid0(VALU_DEP_2) | instskip(NEXT) | instid1(VALU_DEP_1)
	v_min_u32_e32 v151, 32, v151
	v_subrev_nc_u32_e32 v160, 28, v151
	v_sub_nc_u32_e32 v151, 29, v151
	s_delay_alu instid0(VALU_DEP_1) | instskip(NEXT) | instid1(VALU_DEP_1)
	v_dual_cndmask_b32 v151, v161, v151 :: v_dual_lshlrev_b32 v160, v160, v149
	v_and_b32_e32 v160, 7, v160
	v_lshlrev_b32_e32 v149, 24, v149
	s_delay_alu instid0(VALU_DEP_3) | instskip(NEXT) | instid1(VALU_DEP_2)
	v_lshl_add_u32 v151, v151, 23, 0x3b800000
	v_dual_cndmask_b32 v150, v150, v160 :: v_dual_and_b32 v149, 0x80000000, v149
	s_delay_alu instid0(VALU_DEP_1) | instskip(NEXT) | instid1(VALU_DEP_1)
	v_lshlrev_b32_e32 v150, 20, v150
	v_or3_b32 v150, v149, v151, v150
.LBB4_8174:                             ;   in Loop: Header=BB4_7984 Depth=3
	s_or_b32 exec_lo, exec_lo, s34
	v_and_b32_e32 v151, 0xff, v85
	s_mov_b32 s14, 0
	s_mov_b32 s35, exec_lo
                                        ; implicit-def: $sgpr34
	s_delay_alu instid0(VALU_DEP_1)
	v_cmpx_lt_i16_e64 0x7f, v151
	s_xor_b32 s35, exec_lo, s35
	s_cbranch_execnz .LBB4_8554
; %bb.8175:                             ;   in Loop: Header=BB4_7984 Depth=3
	s_or_saveexec_b32 s35, s35
	v_mov_b32_e32 v149, s34
	s_xor_b32 exec_lo, exec_lo, s35
	s_cbranch_execnz .LBB4_8557
.LBB4_8176:                             ;   in Loop: Header=BB4_7984 Depth=3
	s_or_b32 exec_lo, exec_lo, s35
	s_and_saveexec_b32 s34, s14
	s_cbranch_execz .LBB4_8178
.LBB4_8177:                             ;   in Loop: Header=BB4_7984 Depth=3
	v_bfe_u32 v149, v9, 16, 3
	v_bfe_u32 v161, v9, 19, 4
	s_delay_alu instid0(VALU_DEP_2) | instskip(NEXT) | instid1(VALU_DEP_2)
	v_clz_i32_u32_e32 v151, v149
	v_cmp_eq_u32_e32 vcc_lo, 0, v161
	s_delay_alu instid0(VALU_DEP_2) | instskip(NEXT) | instid1(VALU_DEP_1)
	v_min_u32_e32 v151, 32, v151
	v_subrev_nc_u32_e32 v160, 28, v151
	v_sub_nc_u32_e32 v151, 29, v151
	s_delay_alu instid0(VALU_DEP_1) | instskip(SKIP_1) | instid1(VALU_DEP_2)
	v_dual_cndmask_b32 v151, v161, v151 :: v_dual_lshlrev_b32 v160, v160, v85
	v_lshlrev_b32_e32 v85, 24, v85
	v_and_b32_e32 v160, 7, v160
	s_delay_alu instid0(VALU_DEP_3) | instskip(NEXT) | instid1(VALU_DEP_3)
	v_lshl_add_u32 v151, v151, 23, 0x3b800000
	v_and_b32_e32 v85, 0x80000000, v85
	s_delay_alu instid0(VALU_DEP_3) | instskip(NEXT) | instid1(VALU_DEP_1)
	v_cndmask_b32_e32 v149, v149, v160, vcc_lo
	v_lshlrev_b32_e32 v149, 20, v149
	s_delay_alu instid0(VALU_DEP_1)
	v_or3_b32 v149, v85, v151, v149
.LBB4_8178:                             ;   in Loop: Header=BB4_7984 Depth=3
	s_or_b32 exec_lo, exec_lo, s34
	s_delay_alu instid0(VALU_DEP_1) | instskip(SKIP_1) | instid1(VALU_DEP_1)
	v_max_f32_e32 v85, v149, v149
	v_max_f32_e32 v149, v150, v150
	v_min_f32_e32 v150, v149, v85
.LBB4_8179:                             ;   in Loop: Header=BB4_7984 Depth=3
	s_delay_alu instid0(VALU_DEP_1) | instskip(NEXT) | instid1(VALU_DEP_1)
	v_and_b32_e32 v85, 0x7f800000, v150
	v_cmp_ne_u32_e32 vcc_lo, 0x7f800000, v85
	v_mov_b32_e32 v85, 0x80
	s_and_saveexec_b32 s34, vcc_lo
	s_cbranch_execz .LBB4_8187
; %bb.8180:                             ;   in Loop: Header=BB4_7984 Depth=3
	v_mov_b32_e32 v85, 0
	s_mov_b32 s35, exec_lo
	v_cmpx_ne_u32_e32 0, v150
	s_cbranch_execz .LBB4_8186
; %bb.8181:                             ;   in Loop: Header=BB4_7984 Depth=3
	v_bfe_u32 v85, v150, 23, 8
	v_and_b32_e32 v149, 0x7fffff, v150
	s_delay_alu instid0(VALU_DEP_2) | instskip(SKIP_1) | instid1(VALU_DEP_3)
	v_sub_nc_u32_e32 v151, 0x78, v85
	v_cmp_gt_u32_e32 vcc_lo, 0x79, v85
	v_or_b32_e32 v160, 0x800000, v149
	s_delay_alu instid0(VALU_DEP_3) | instskip(SKIP_2) | instid1(VALU_DEP_3)
	v_cndmask_b32_e32 v151, 0, v151, vcc_lo
	v_cmp_eq_u32_e32 vcc_lo, 0, v85
	v_add_nc_u32_e32 v85, 0xffffff89, v85
	v_cndmask_b32_e64 v151, v151, 0x77, vcc_lo
	v_cndmask_b32_e32 v149, v160, v149, vcc_lo
	s_delay_alu instid0(VALU_DEP_3) | instskip(NEXT) | instid1(VALU_DEP_3)
	v_cndmask_b32_e64 v85, v85, 0xffffff8a, vcc_lo
	v_lshl_add_u32 v160, 0x100000, v151, -1
	s_delay_alu instid0(VALU_DEP_3) | instskip(SKIP_1) | instid1(VALU_DEP_4)
	v_lshrrev_b32_e32 v161, v151, v149
	v_lshlrev_b32_e64 v163, v151, 0x80000
	v_add_nc_u32_e32 v151, v151, v85
	s_delay_alu instid0(VALU_DEP_4) | instskip(NEXT) | instid1(VALU_DEP_4)
	v_and_b32_e32 v149, v160, v149
	v_bfe_u32 v162, v161, 20, 1
	s_delay_alu instid0(VALU_DEP_2) | instskip(NEXT) | instid1(VALU_DEP_2)
	v_cmp_eq_u32_e64 s14, v149, v163
	v_add_nc_u32_e32 v160, -1, v162
	s_delay_alu instid0(VALU_DEP_1) | instskip(SKIP_2) | instid1(VALU_DEP_2)
	v_cndmask_b32_e64 v149, 0, v160, s14
	v_lshrrev_b32_e32 v160, 23, v161
	s_mov_b32 s14, exec_lo
	v_add_nc_u32_e32 v149, v149, v161
	s_delay_alu instid0(VALU_DEP_2) | instskip(NEXT) | instid1(VALU_DEP_2)
	v_xor_b32_e32 v160, 1, v160
	v_and_b32_e32 v85, 0xfffff, v149
	s_delay_alu instid0(VALU_DEP_1) | instskip(NEXT) | instid1(VALU_DEP_3)
	v_add_nc_u32_e32 v149, v85, v161
                                        ; implicit-def: $vgpr85
	v_cmpx_ne_u32_e64 v151, v160
	s_xor_b32 s14, exec_lo, s14
; %bb.8182:                             ;   in Loop: Header=BB4_7984 Depth=3
	s_delay_alu instid0(VALU_DEP_2) | instskip(SKIP_2) | instid1(VALU_DEP_2)
	v_cmp_lt_u32_e32 vcc_lo, 0xffffff, v149
	v_sub_nc_u32_e32 v85, v151, v160
	v_cndmask_b32_e64 v151, 0, 1, vcc_lo
	v_add_co_ci_u32_e32 v85, vcc_lo, 0, v85, vcc_lo
	s_delay_alu instid0(VALU_DEP_2)
	v_lshrrev_b32_e32 v149, v151, v149
; %bb.8183:                             ;   in Loop: Header=BB4_7984 Depth=3
	s_and_not1_saveexec_b32 s14, s14
; %bb.8184:                             ;   in Loop: Header=BB4_7984 Depth=3
	s_delay_alu instid0(VALU_DEP_1)
	v_bfe_u32 v85, v149, 23, 1
; %bb.8185:                             ;   in Loop: Header=BB4_7984 Depth=3
	s_or_b32 exec_lo, exec_lo, s14
	v_lshrrev_b32_e32 v149, 20, v149
	s_delay_alu instid0(VALU_DEP_2) | instskip(SKIP_2) | instid1(VALU_DEP_3)
	v_min_i32_e32 v151, 15, v85
	v_cmp_gt_i32_e32 vcc_lo, 16, v85
	v_lshrrev_b32_e32 v150, 24, v150
	v_lshlrev_b32_e32 v151, 3, v151
	s_delay_alu instid0(VALU_DEP_2) | instskip(NEXT) | instid1(VALU_DEP_2)
	v_dual_cndmask_b32 v149, 7, v149 :: v_dual_and_b32 v150, 0x80, v150
	v_and_b32_e32 v151, 0xf8, v151
	s_delay_alu instid0(VALU_DEP_2) | instskip(SKIP_1) | instid1(VALU_DEP_2)
	v_and_b32_e32 v160, 7, v149
	v_or_b32_e32 v85, v85, v149
	v_or3_b32 v149, v151, v150, v160
	s_delay_alu instid0(VALU_DEP_2) | instskip(NEXT) | instid1(VALU_DEP_2)
	v_cmp_ne_u32_e32 vcc_lo, 0, v85
	v_cndmask_b32_e32 v85, 0, v149, vcc_lo
.LBB4_8186:                             ;   in Loop: Header=BB4_7984 Depth=3
	s_or_b32 exec_lo, exec_lo, s35
.LBB4_8187:                             ;   in Loop: Header=BB4_7984 Depth=3
	s_delay_alu instid0(SALU_CYCLE_1)
	s_or_b32 exec_lo, exec_lo, s34
	v_lshrrev_b32_e32 v150, 24, v13
	v_lshrrev_b32_e32 v149, 24, v9
	s_and_b32 vcc_lo, exec_lo, s31
	s_cbranch_vccz .LBB4_8197
; %bb.8188:                             ;   in Loop: Header=BB4_7984 Depth=3
	s_mov_b32 s14, 0
	s_mov_b32 s35, exec_lo
                                        ; implicit-def: $sgpr34
	v_cmpx_lt_i16_e64 0x7f, v150
	s_xor_b32 s35, exec_lo, s35
	s_cbranch_execnz .LBB4_8558
; %bb.8189:                             ;   in Loop: Header=BB4_7984 Depth=3
	s_or_saveexec_b32 s35, s35
	v_mov_b32_e32 v151, s34
	s_xor_b32 exec_lo, exec_lo, s35
	s_cbranch_execnz .LBB4_8561
.LBB4_8190:                             ;   in Loop: Header=BB4_7984 Depth=3
	s_or_b32 exec_lo, exec_lo, s35
	s_and_saveexec_b32 s34, s14
	s_cbranch_execz .LBB4_8192
.LBB4_8191:                             ;   in Loop: Header=BB4_7984 Depth=3
	v_bfe_u32 v151, v13, 24, 3
	v_bfe_u32 v162, v13, 27, 4
	s_delay_alu instid0(VALU_DEP_2) | instskip(NEXT) | instid1(VALU_DEP_2)
	v_clz_i32_u32_e32 v160, v151
	v_cmp_eq_u32_e32 vcc_lo, 0, v162
	s_delay_alu instid0(VALU_DEP_2) | instskip(NEXT) | instid1(VALU_DEP_1)
	v_min_u32_e32 v160, 32, v160
	v_subrev_nc_u32_e32 v161, 28, v160
	v_sub_nc_u32_e32 v160, 29, v160
	s_delay_alu instid0(VALU_DEP_1) | instskip(NEXT) | instid1(VALU_DEP_1)
	v_dual_cndmask_b32 v160, v162, v160 :: v_dual_lshlrev_b32 v161, v161, v150
	v_and_b32_e32 v161, 7, v161
	s_delay_alu instid0(VALU_DEP_2) | instskip(NEXT) | instid1(VALU_DEP_2)
	v_lshl_add_u32 v160, v160, 23, 0x3b800000
	v_cndmask_b32_e32 v151, v151, v161, vcc_lo
	v_and_b32_e32 v161, 0x80000000, v13
	s_delay_alu instid0(VALU_DEP_2) | instskip(NEXT) | instid1(VALU_DEP_1)
	v_lshlrev_b32_e32 v151, 20, v151
	v_or3_b32 v151, v161, v160, v151
.LBB4_8192:                             ;   in Loop: Header=BB4_7984 Depth=3
	s_or_b32 exec_lo, exec_lo, s34
	s_mov_b32 s14, 0
	s_mov_b32 s35, exec_lo
                                        ; implicit-def: $sgpr34
	v_cmpx_lt_i16_e64 0x7f, v149
	s_xor_b32 s35, exec_lo, s35
	s_cbranch_execnz .LBB4_8562
; %bb.8193:                             ;   in Loop: Header=BB4_7984 Depth=3
	s_or_saveexec_b32 s35, s35
	v_mov_b32_e32 v160, s34
	s_xor_b32 exec_lo, exec_lo, s35
	s_cbranch_execnz .LBB4_8565
.LBB4_8194:                             ;   in Loop: Header=BB4_7984 Depth=3
	s_or_b32 exec_lo, exec_lo, s35
	s_and_saveexec_b32 s34, s14
	s_cbranch_execz .LBB4_8196
.LBB4_8195:                             ;   in Loop: Header=BB4_7984 Depth=3
	v_bfe_u32 v160, v9, 24, 3
	v_bfe_u32 v163, v9, 27, 4
	s_delay_alu instid0(VALU_DEP_2) | instskip(NEXT) | instid1(VALU_DEP_2)
	v_clz_i32_u32_e32 v161, v160
	v_cmp_eq_u32_e32 vcc_lo, 0, v163
	s_delay_alu instid0(VALU_DEP_2) | instskip(NEXT) | instid1(VALU_DEP_1)
	v_min_u32_e32 v161, 32, v161
	v_subrev_nc_u32_e32 v162, 28, v161
	v_sub_nc_u32_e32 v161, 29, v161
	s_delay_alu instid0(VALU_DEP_2) | instskip(NEXT) | instid1(VALU_DEP_1)
	v_lshlrev_b32_e32 v162, v162, v149
	v_dual_cndmask_b32 v161, v163, v161 :: v_dual_and_b32 v162, 7, v162
	s_delay_alu instid0(VALU_DEP_1) | instskip(NEXT) | instid1(VALU_DEP_2)
	v_lshl_add_u32 v161, v161, 23, 0x3b800000
	v_cndmask_b32_e32 v160, v160, v162, vcc_lo
	v_and_b32_e32 v162, 0x80000000, v9
	s_delay_alu instid0(VALU_DEP_2) | instskip(NEXT) | instid1(VALU_DEP_1)
	v_lshlrev_b32_e32 v160, 20, v160
	v_or3_b32 v160, v162, v161, v160
.LBB4_8196:                             ;   in Loop: Header=BB4_7984 Depth=3
	s_or_b32 exec_lo, exec_lo, s34
	s_delay_alu instid0(VALU_DEP_1) | instskip(SKIP_1) | instid1(VALU_DEP_1)
	v_dual_max_f32 v160, v160, v160 :: v_dual_max_f32 v151, v151, v151
	s_mov_b32 s14, 0
	v_max_f32_e32 v151, v151, v160
	s_branch .LBB4_8198
.LBB4_8197:                             ;   in Loop: Header=BB4_7984 Depth=3
	s_mov_b32 s14, -1
                                        ; implicit-def: $vgpr151
.LBB4_8198:                             ;   in Loop: Header=BB4_7984 Depth=3
	s_delay_alu instid0(SALU_CYCLE_1)
	s_and_b32 vcc_lo, exec_lo, s14
	s_cbranch_vccz .LBB4_8208
; %bb.8199:                             ;   in Loop: Header=BB4_7984 Depth=3
	s_mov_b32 s14, 0
	s_mov_b32 s35, exec_lo
                                        ; implicit-def: $sgpr34
	v_cmpx_lt_i16_e64 0x7f, v150
	s_xor_b32 s35, exec_lo, s35
	s_cbranch_execnz .LBB4_8566
; %bb.8200:                             ;   in Loop: Header=BB4_7984 Depth=3
	s_or_saveexec_b32 s35, s35
	v_mov_b32_e32 v151, s34
	s_xor_b32 exec_lo, exec_lo, s35
	s_cbranch_execnz .LBB4_8569
.LBB4_8201:                             ;   in Loop: Header=BB4_7984 Depth=3
	s_or_b32 exec_lo, exec_lo, s35
	s_and_saveexec_b32 s34, s14
	s_cbranch_execz .LBB4_8203
.LBB4_8202:                             ;   in Loop: Header=BB4_7984 Depth=3
	v_bfe_u32 v151, v13, 24, 3
	s_delay_alu instid0(VALU_DEP_1) | instskip(NEXT) | instid1(VALU_DEP_1)
	v_clz_i32_u32_e32 v160, v151
	v_min_u32_e32 v160, 32, v160
	s_delay_alu instid0(VALU_DEP_1) | instskip(SKIP_1) | instid1(VALU_DEP_2)
	v_subrev_nc_u32_e32 v161, 28, v160
	v_sub_nc_u32_e32 v160, 29, v160
	v_lshlrev_b32_e32 v150, v161, v150
	v_bfe_u32 v161, v13, 27, 4
	v_and_b32_e32 v13, 0x80000000, v13
	s_delay_alu instid0(VALU_DEP_3) | instskip(NEXT) | instid1(VALU_DEP_3)
	v_and_b32_e32 v150, 7, v150
	v_cmp_eq_u32_e32 vcc_lo, 0, v161
	v_cndmask_b32_e32 v160, v161, v160, vcc_lo
	s_delay_alu instid0(VALU_DEP_3) | instskip(NEXT) | instid1(VALU_DEP_2)
	v_cndmask_b32_e32 v150, v151, v150, vcc_lo
	v_lshl_add_u32 v151, v160, 23, 0x3b800000
	s_delay_alu instid0(VALU_DEP_2) | instskip(NEXT) | instid1(VALU_DEP_1)
	v_lshlrev_b32_e32 v150, 20, v150
	v_or3_b32 v151, v13, v151, v150
.LBB4_8203:                             ;   in Loop: Header=BB4_7984 Depth=3
	s_or_b32 exec_lo, exec_lo, s34
	s_mov_b32 s14, 0
	s_mov_b32 s35, exec_lo
                                        ; implicit-def: $sgpr34
	v_cmpx_lt_i16_e64 0x7f, v149
	s_xor_b32 s35, exec_lo, s35
	s_cbranch_execnz .LBB4_8570
; %bb.8204:                             ;   in Loop: Header=BB4_7984 Depth=3
	s_or_saveexec_b32 s35, s35
	v_mov_b32_e32 v13, s34
	s_xor_b32 exec_lo, exec_lo, s35
	s_cbranch_execnz .LBB4_8573
.LBB4_8205:                             ;   in Loop: Header=BB4_7984 Depth=3
	s_or_b32 exec_lo, exec_lo, s35
	s_and_saveexec_b32 s34, s14
	s_cbranch_execz .LBB4_8207
.LBB4_8206:                             ;   in Loop: Header=BB4_7984 Depth=3
	v_bfe_u32 v13, v9, 24, 3
	s_delay_alu instid0(VALU_DEP_1) | instskip(NEXT) | instid1(VALU_DEP_1)
	v_clz_i32_u32_e32 v150, v13
	v_min_u32_e32 v150, 32, v150
	s_delay_alu instid0(VALU_DEP_1) | instskip(SKIP_1) | instid1(VALU_DEP_2)
	v_subrev_nc_u32_e32 v160, 28, v150
	v_sub_nc_u32_e32 v150, 29, v150
	v_lshlrev_b32_e32 v149, v160, v149
	v_bfe_u32 v160, v9, 27, 4
	v_and_b32_e32 v9, 0x80000000, v9
	s_delay_alu instid0(VALU_DEP_2) | instskip(NEXT) | instid1(VALU_DEP_4)
	v_cmp_eq_u32_e32 vcc_lo, 0, v160
	v_dual_cndmask_b32 v150, v160, v150 :: v_dual_and_b32 v149, 7, v149
	s_delay_alu instid0(VALU_DEP_1) | instskip(NEXT) | instid1(VALU_DEP_2)
	v_cndmask_b32_e32 v13, v13, v149, vcc_lo
	v_lshl_add_u32 v149, v150, 23, 0x3b800000
	s_delay_alu instid0(VALU_DEP_2) | instskip(NEXT) | instid1(VALU_DEP_1)
	v_lshlrev_b32_e32 v13, 20, v13
	v_or3_b32 v13, v9, v149, v13
.LBB4_8207:                             ;   in Loop: Header=BB4_7984 Depth=3
	s_or_b32 exec_lo, exec_lo, s34
	s_delay_alu instid0(VALU_DEP_1) | instskip(SKIP_1) | instid1(VALU_DEP_1)
	v_max_f32_e32 v9, v13, v13
	v_max_f32_e32 v13, v151, v151
	v_min_f32_e32 v151, v13, v9
.LBB4_8208:                             ;   in Loop: Header=BB4_7984 Depth=3
	s_delay_alu instid0(VALU_DEP_1) | instskip(NEXT) | instid1(VALU_DEP_1)
	v_and_b32_e32 v9, 0x7f800000, v151
	v_cmp_ne_u32_e32 vcc_lo, 0x7f800000, v9
	v_mov_b32_e32 v9, 0x8000
	s_and_saveexec_b32 s34, vcc_lo
	s_cbranch_execz .LBB4_8216
; %bb.8209:                             ;   in Loop: Header=BB4_7984 Depth=3
	v_mov_b32_e32 v9, 0
	s_mov_b32 s35, exec_lo
	v_cmpx_ne_u32_e32 0, v151
	s_cbranch_execz .LBB4_8215
; %bb.8210:                             ;   in Loop: Header=BB4_7984 Depth=3
	v_bfe_u32 v9, v151, 23, 8
	v_and_b32_e32 v13, 0x7fffff, v151
	s_delay_alu instid0(VALU_DEP_2) | instskip(SKIP_1) | instid1(VALU_DEP_3)
	v_sub_nc_u32_e32 v149, 0x78, v9
	v_cmp_gt_u32_e32 vcc_lo, 0x79, v9
	v_or_b32_e32 v150, 0x800000, v13
	s_delay_alu instid0(VALU_DEP_3) | instskip(SKIP_2) | instid1(VALU_DEP_3)
	v_cndmask_b32_e32 v149, 0, v149, vcc_lo
	v_cmp_eq_u32_e32 vcc_lo, 0, v9
	v_add_nc_u32_e32 v9, 0xffffff89, v9
	v_cndmask_b32_e64 v149, v149, 0x77, vcc_lo
	v_cndmask_b32_e32 v13, v150, v13, vcc_lo
	s_delay_alu instid0(VALU_DEP_3) | instskip(NEXT) | instid1(VALU_DEP_3)
	v_cndmask_b32_e64 v9, v9, 0xffffff8a, vcc_lo
	v_lshl_add_u32 v150, 0x100000, v149, -1
	s_delay_alu instid0(VALU_DEP_3) | instskip(SKIP_1) | instid1(VALU_DEP_4)
	v_lshrrev_b32_e32 v160, v149, v13
	v_lshlrev_b32_e64 v162, v149, 0x80000
	v_add_nc_u32_e32 v149, v149, v9
	s_delay_alu instid0(VALU_DEP_4) | instskip(NEXT) | instid1(VALU_DEP_4)
	v_and_b32_e32 v13, v150, v13
	v_bfe_u32 v161, v160, 20, 1
	s_delay_alu instid0(VALU_DEP_2) | instskip(NEXT) | instid1(VALU_DEP_2)
	v_cmp_eq_u32_e64 s14, v13, v162
	v_add_nc_u32_e32 v150, -1, v161
	s_delay_alu instid0(VALU_DEP_1) | instskip(SKIP_2) | instid1(VALU_DEP_2)
	v_cndmask_b32_e64 v13, 0, v150, s14
	v_lshrrev_b32_e32 v150, 23, v160
	s_mov_b32 s14, exec_lo
	v_add_nc_u32_e32 v13, v13, v160
	s_delay_alu instid0(VALU_DEP_2) | instskip(NEXT) | instid1(VALU_DEP_2)
	v_xor_b32_e32 v150, 1, v150
	v_and_b32_e32 v9, 0xfffff, v13
	s_delay_alu instid0(VALU_DEP_1) | instskip(NEXT) | instid1(VALU_DEP_3)
	v_add_nc_u32_e32 v13, v9, v160
                                        ; implicit-def: $vgpr9
	v_cmpx_ne_u32_e64 v149, v150
	s_xor_b32 s14, exec_lo, s14
; %bb.8211:                             ;   in Loop: Header=BB4_7984 Depth=3
	s_delay_alu instid0(VALU_DEP_2) | instskip(SKIP_2) | instid1(VALU_DEP_2)
	v_cmp_lt_u32_e32 vcc_lo, 0xffffff, v13
	v_sub_nc_u32_e32 v9, v149, v150
	v_cndmask_b32_e64 v149, 0, 1, vcc_lo
	v_add_co_ci_u32_e32 v9, vcc_lo, 0, v9, vcc_lo
	s_delay_alu instid0(VALU_DEP_2)
	v_lshrrev_b32_e32 v13, v149, v13
; %bb.8212:                             ;   in Loop: Header=BB4_7984 Depth=3
	s_and_not1_saveexec_b32 s14, s14
; %bb.8213:                             ;   in Loop: Header=BB4_7984 Depth=3
	s_delay_alu instid0(VALU_DEP_1)
	v_bfe_u32 v9, v13, 23, 1
; %bb.8214:                             ;   in Loop: Header=BB4_7984 Depth=3
	s_or_b32 exec_lo, exec_lo, s14
	v_lshrrev_b32_e32 v13, 20, v13
	s_delay_alu instid0(VALU_DEP_2) | instskip(SKIP_2) | instid1(VALU_DEP_3)
	v_min_i32_e32 v149, 15, v9
	v_cmp_gt_i32_e32 vcc_lo, 16, v9
	v_lshrrev_b32_e32 v150, 24, v151
	v_lshlrev_b32_e32 v149, 3, v149
	s_delay_alu instid0(VALU_DEP_2) | instskip(NEXT) | instid1(VALU_DEP_2)
	v_dual_cndmask_b32 v13, 7, v13 :: v_dual_and_b32 v150, 0x80, v150
	v_and_b32_e32 v149, 0xf8, v149
	s_delay_alu instid0(VALU_DEP_2) | instskip(SKIP_1) | instid1(VALU_DEP_2)
	v_and_b32_e32 v151, 7, v13
	v_or_b32_e32 v9, v9, v13
	v_or3_b32 v149, v150, v149, v151
	s_delay_alu instid0(VALU_DEP_2) | instskip(NEXT) | instid1(VALU_DEP_2)
	v_cmp_ne_u32_e32 vcc_lo, 0, v9
	v_lshlrev_b32_e32 v13, 8, v149
	s_delay_alu instid0(VALU_DEP_1)
	v_cndmask_b32_e32 v9, 0, v13, vcc_lo
.LBB4_8215:                             ;   in Loop: Header=BB4_7984 Depth=3
	s_or_b32 exec_lo, exec_lo, s35
.LBB4_8216:                             ;   in Loop: Header=BB4_7984 Depth=3
	s_delay_alu instid0(SALU_CYCLE_1) | instskip(NEXT) | instid1(SALU_CYCLE_1)
	s_or_b32 exec_lo, exec_lo, s34
	s_and_b32 vcc_lo, exec_lo, s31
	s_cbranch_vccz .LBB4_8226
; %bb.8217:                             ;   in Loop: Header=BB4_7984 Depth=3
	v_and_b32_e32 v149, 0xff, v14
	s_mov_b32 s14, 0
	s_mov_b32 s35, exec_lo
                                        ; implicit-def: $sgpr34
	s_delay_alu instid0(VALU_DEP_1)
	v_cmpx_lt_i16_e64 0x7f, v149
	s_xor_b32 s35, exec_lo, s35
	s_cbranch_execnz .LBB4_8574
; %bb.8218:                             ;   in Loop: Header=BB4_7984 Depth=3
	s_or_saveexec_b32 s35, s35
	v_mov_b32_e32 v13, s34
	s_xor_b32 exec_lo, exec_lo, s35
	s_cbranch_execnz .LBB4_8577
.LBB4_8219:                             ;   in Loop: Header=BB4_7984 Depth=3
	s_or_b32 exec_lo, exec_lo, s35
	s_and_saveexec_b32 s34, s14
	s_cbranch_execz .LBB4_8221
.LBB4_8220:                             ;   in Loop: Header=BB4_7984 Depth=3
	v_and_b32_e32 v13, 7, v14
	v_bfe_u32 v151, v14, 3, 4
	v_lshlrev_b32_e32 v160, 24, v14
	s_delay_alu instid0(VALU_DEP_3) | instskip(NEXT) | instid1(VALU_DEP_3)
	v_clz_i32_u32_e32 v149, v13
	v_cmp_eq_u32_e32 vcc_lo, 0, v151
	s_delay_alu instid0(VALU_DEP_2) | instskip(NEXT) | instid1(VALU_DEP_1)
	v_min_u32_e32 v149, 32, v149
	v_subrev_nc_u32_e32 v150, 28, v149
	v_sub_nc_u32_e32 v149, 29, v149
	s_delay_alu instid0(VALU_DEP_1) | instskip(NEXT) | instid1(VALU_DEP_1)
	v_dual_cndmask_b32 v149, v151, v149 :: v_dual_lshlrev_b32 v150, v150, v14
	v_and_b32_e32 v150, 7, v150
	s_delay_alu instid0(VALU_DEP_2) | instskip(NEXT) | instid1(VALU_DEP_2)
	v_lshl_add_u32 v149, v149, 23, 0x3b800000
	v_dual_cndmask_b32 v13, v13, v150 :: v_dual_and_b32 v150, 0x80000000, v160
	s_delay_alu instid0(VALU_DEP_1) | instskip(NEXT) | instid1(VALU_DEP_1)
	v_lshlrev_b32_e32 v13, 20, v13
	v_or3_b32 v13, v150, v149, v13
.LBB4_8221:                             ;   in Loop: Header=BB4_7984 Depth=3
	s_or_b32 exec_lo, exec_lo, s34
	v_and_b32_e32 v150, 0xff, v10
	s_mov_b32 s14, 0
	s_mov_b32 s35, exec_lo
                                        ; implicit-def: $sgpr34
	s_delay_alu instid0(VALU_DEP_1)
	v_cmpx_lt_i16_e64 0x7f, v150
	s_xor_b32 s35, exec_lo, s35
	s_cbranch_execnz .LBB4_8578
; %bb.8222:                             ;   in Loop: Header=BB4_7984 Depth=3
	s_or_saveexec_b32 s35, s35
	v_mov_b32_e32 v149, s34
	s_xor_b32 exec_lo, exec_lo, s35
	s_cbranch_execnz .LBB4_8581
.LBB4_8223:                             ;   in Loop: Header=BB4_7984 Depth=3
	s_or_b32 exec_lo, exec_lo, s35
	s_and_saveexec_b32 s34, s14
	s_cbranch_execz .LBB4_8225
.LBB4_8224:                             ;   in Loop: Header=BB4_7984 Depth=3
	v_and_b32_e32 v149, 7, v10
	v_bfe_u32 v160, v10, 3, 4
	v_lshlrev_b32_e32 v161, 24, v10
	s_delay_alu instid0(VALU_DEP_3) | instskip(NEXT) | instid1(VALU_DEP_3)
	v_clz_i32_u32_e32 v150, v149
	v_cmp_eq_u32_e32 vcc_lo, 0, v160
	s_delay_alu instid0(VALU_DEP_2) | instskip(NEXT) | instid1(VALU_DEP_1)
	v_min_u32_e32 v150, 32, v150
	v_subrev_nc_u32_e32 v151, 28, v150
	v_sub_nc_u32_e32 v150, 29, v150
	s_delay_alu instid0(VALU_DEP_2) | instskip(NEXT) | instid1(VALU_DEP_1)
	v_lshlrev_b32_e32 v151, v151, v10
	v_dual_cndmask_b32 v150, v160, v150 :: v_dual_and_b32 v151, 7, v151
	s_delay_alu instid0(VALU_DEP_1) | instskip(NEXT) | instid1(VALU_DEP_2)
	v_lshl_add_u32 v150, v150, 23, 0x3b800000
	v_cndmask_b32_e32 v149, v149, v151, vcc_lo
	v_and_b32_e32 v151, 0x80000000, v161
	s_delay_alu instid0(VALU_DEP_2) | instskip(NEXT) | instid1(VALU_DEP_1)
	v_lshlrev_b32_e32 v149, 20, v149
	v_or3_b32 v149, v151, v150, v149
.LBB4_8225:                             ;   in Loop: Header=BB4_7984 Depth=3
	s_or_b32 exec_lo, exec_lo, s34
	s_delay_alu instid0(VALU_DEP_1) | instskip(SKIP_2) | instid1(VALU_DEP_1)
	v_max_f32_e32 v149, v149, v149
	v_max_f32_e32 v13, v13, v13
	s_mov_b32 s14, 0
	v_max_f32_e32 v149, v13, v149
	s_branch .LBB4_8227
.LBB4_8226:                             ;   in Loop: Header=BB4_7984 Depth=3
	s_mov_b32 s14, -1
                                        ; implicit-def: $vgpr149
.LBB4_8227:                             ;   in Loop: Header=BB4_7984 Depth=3
	s_delay_alu instid0(SALU_CYCLE_1)
	s_and_b32 vcc_lo, exec_lo, s14
	s_cbranch_vccz .LBB4_8237
; %bb.8228:                             ;   in Loop: Header=BB4_7984 Depth=3
	v_and_b32_e32 v149, 0xff, v14
	s_mov_b32 s14, 0
	s_mov_b32 s35, exec_lo
                                        ; implicit-def: $sgpr34
	s_delay_alu instid0(VALU_DEP_1)
	v_cmpx_lt_i16_e64 0x7f, v149
	s_xor_b32 s35, exec_lo, s35
	s_cbranch_execnz .LBB4_8582
; %bb.8229:                             ;   in Loop: Header=BB4_7984 Depth=3
	s_or_saveexec_b32 s35, s35
	v_mov_b32_e32 v13, s34
	s_xor_b32 exec_lo, exec_lo, s35
	s_cbranch_execnz .LBB4_8585
.LBB4_8230:                             ;   in Loop: Header=BB4_7984 Depth=3
	s_or_b32 exec_lo, exec_lo, s35
	s_and_saveexec_b32 s34, s14
	s_cbranch_execz .LBB4_8232
.LBB4_8231:                             ;   in Loop: Header=BB4_7984 Depth=3
	v_and_b32_e32 v13, 7, v14
	v_bfe_u32 v151, v14, 3, 4
	v_lshlrev_b32_e32 v160, 24, v14
	s_delay_alu instid0(VALU_DEP_3) | instskip(NEXT) | instid1(VALU_DEP_3)
	v_clz_i32_u32_e32 v149, v13
	v_cmp_eq_u32_e32 vcc_lo, 0, v151
	s_delay_alu instid0(VALU_DEP_2) | instskip(NEXT) | instid1(VALU_DEP_1)
	v_min_u32_e32 v149, 32, v149
	v_subrev_nc_u32_e32 v150, 28, v149
	v_sub_nc_u32_e32 v149, 29, v149
	s_delay_alu instid0(VALU_DEP_1) | instskip(NEXT) | instid1(VALU_DEP_1)
	v_dual_cndmask_b32 v149, v151, v149 :: v_dual_lshlrev_b32 v150, v150, v14
	v_and_b32_e32 v150, 7, v150
	s_delay_alu instid0(VALU_DEP_2) | instskip(NEXT) | instid1(VALU_DEP_2)
	v_lshl_add_u32 v149, v149, 23, 0x3b800000
	v_dual_cndmask_b32 v13, v13, v150 :: v_dual_and_b32 v150, 0x80000000, v160
	s_delay_alu instid0(VALU_DEP_1) | instskip(NEXT) | instid1(VALU_DEP_1)
	v_lshlrev_b32_e32 v13, 20, v13
	v_or3_b32 v13, v150, v149, v13
.LBB4_8232:                             ;   in Loop: Header=BB4_7984 Depth=3
	s_or_b32 exec_lo, exec_lo, s34
	v_and_b32_e32 v150, 0xff, v10
	s_mov_b32 s14, 0
	s_mov_b32 s35, exec_lo
                                        ; implicit-def: $sgpr34
	s_delay_alu instid0(VALU_DEP_1)
	v_cmpx_lt_i16_e64 0x7f, v150
	s_xor_b32 s35, exec_lo, s35
	s_cbranch_execnz .LBB4_8586
; %bb.8233:                             ;   in Loop: Header=BB4_7984 Depth=3
	s_or_saveexec_b32 s35, s35
	v_mov_b32_e32 v149, s34
	s_xor_b32 exec_lo, exec_lo, s35
	s_cbranch_execnz .LBB4_8589
.LBB4_8234:                             ;   in Loop: Header=BB4_7984 Depth=3
	s_or_b32 exec_lo, exec_lo, s35
	s_and_saveexec_b32 s34, s14
	s_cbranch_execz .LBB4_8236
.LBB4_8235:                             ;   in Loop: Header=BB4_7984 Depth=3
	v_and_b32_e32 v149, 7, v10
	v_bfe_u32 v160, v10, 3, 4
	v_lshlrev_b32_e32 v161, 24, v10
	s_delay_alu instid0(VALU_DEP_3) | instskip(NEXT) | instid1(VALU_DEP_3)
	v_clz_i32_u32_e32 v150, v149
	v_cmp_eq_u32_e32 vcc_lo, 0, v160
	s_delay_alu instid0(VALU_DEP_2) | instskip(NEXT) | instid1(VALU_DEP_1)
	v_min_u32_e32 v150, 32, v150
	v_subrev_nc_u32_e32 v151, 28, v150
	v_sub_nc_u32_e32 v150, 29, v150
	s_delay_alu instid0(VALU_DEP_2) | instskip(NEXT) | instid1(VALU_DEP_1)
	v_lshlrev_b32_e32 v151, v151, v10
	v_dual_cndmask_b32 v150, v160, v150 :: v_dual_and_b32 v151, 7, v151
	s_delay_alu instid0(VALU_DEP_1) | instskip(NEXT) | instid1(VALU_DEP_2)
	v_lshl_add_u32 v150, v150, 23, 0x3b800000
	v_cndmask_b32_e32 v149, v149, v151, vcc_lo
	v_and_b32_e32 v151, 0x80000000, v161
	s_delay_alu instid0(VALU_DEP_2) | instskip(NEXT) | instid1(VALU_DEP_1)
	v_lshlrev_b32_e32 v149, 20, v149
	v_or3_b32 v149, v151, v150, v149
.LBB4_8236:                             ;   in Loop: Header=BB4_7984 Depth=3
	s_or_b32 exec_lo, exec_lo, s34
	s_delay_alu instid0(VALU_DEP_1) | instskip(SKIP_1) | instid1(VALU_DEP_1)
	v_max_f32_e32 v149, v149, v149
	v_max_f32_e32 v13, v13, v13
	v_min_f32_e32 v149, v13, v149
.LBB4_8237:                             ;   in Loop: Header=BB4_7984 Depth=3
	s_delay_alu instid0(VALU_DEP_1) | instskip(NEXT) | instid1(VALU_DEP_1)
	v_and_b32_e32 v13, 0x7f800000, v149
	v_cmp_ne_u32_e32 vcc_lo, 0x7f800000, v13
	v_mov_b32_e32 v13, 0x80
	s_and_saveexec_b32 s34, vcc_lo
	s_cbranch_execz .LBB4_8245
; %bb.8238:                             ;   in Loop: Header=BB4_7984 Depth=3
	v_mov_b32_e32 v13, 0
	s_mov_b32 s35, exec_lo
	v_cmpx_ne_u32_e32 0, v149
	s_cbranch_execz .LBB4_8244
; %bb.8239:                             ;   in Loop: Header=BB4_7984 Depth=3
	v_bfe_u32 v13, v149, 23, 8
	s_delay_alu instid0(VALU_DEP_1) | instskip(SKIP_1) | instid1(VALU_DEP_2)
	v_sub_nc_u32_e32 v151, 0x78, v13
	v_cmp_gt_u32_e32 vcc_lo, 0x79, v13
	v_dual_cndmask_b32 v151, 0, v151 :: v_dual_and_b32 v150, 0x7fffff, v149
	s_delay_alu instid0(VALU_DEP_1) | instskip(SKIP_2) | instid1(VALU_DEP_4)
	v_or_b32_e32 v160, 0x800000, v150
	v_cmp_eq_u32_e32 vcc_lo, 0, v13
	v_add_nc_u32_e32 v13, 0xffffff89, v13
	v_cndmask_b32_e64 v151, v151, 0x77, vcc_lo
	s_delay_alu instid0(VALU_DEP_4) | instskip(NEXT) | instid1(VALU_DEP_3)
	v_cndmask_b32_e32 v150, v160, v150, vcc_lo
	v_cndmask_b32_e64 v13, v13, 0xffffff8a, vcc_lo
	s_delay_alu instid0(VALU_DEP_3) | instskip(NEXT) | instid1(VALU_DEP_3)
	v_lshl_add_u32 v160, 0x100000, v151, -1
	v_lshrrev_b32_e32 v161, v151, v150
	v_lshlrev_b32_e64 v163, v151, 0x80000
	s_delay_alu instid0(VALU_DEP_4) | instskip(NEXT) | instid1(VALU_DEP_4)
	v_add_nc_u32_e32 v151, v151, v13
	v_and_b32_e32 v150, v160, v150
	s_delay_alu instid0(VALU_DEP_4) | instskip(NEXT) | instid1(VALU_DEP_2)
	v_bfe_u32 v162, v161, 20, 1
	v_cmp_eq_u32_e64 s14, v150, v163
	s_delay_alu instid0(VALU_DEP_2) | instskip(NEXT) | instid1(VALU_DEP_1)
	v_add_nc_u32_e32 v160, -1, v162
	v_cndmask_b32_e64 v150, 0, v160, s14
	v_lshrrev_b32_e32 v160, 23, v161
	s_mov_b32 s14, exec_lo
	s_delay_alu instid0(VALU_DEP_2) | instskip(NEXT) | instid1(VALU_DEP_2)
	v_add_nc_u32_e32 v150, v150, v161
	v_xor_b32_e32 v160, 1, v160
	s_delay_alu instid0(VALU_DEP_2) | instskip(NEXT) | instid1(VALU_DEP_1)
	v_and_b32_e32 v13, 0xfffff, v150
	v_add_nc_u32_e32 v150, v13, v161
                                        ; implicit-def: $vgpr13
	s_delay_alu instid0(VALU_DEP_3)
	v_cmpx_ne_u32_e64 v151, v160
	s_xor_b32 s14, exec_lo, s14
; %bb.8240:                             ;   in Loop: Header=BB4_7984 Depth=3
	s_delay_alu instid0(VALU_DEP_2) | instskip(SKIP_2) | instid1(VALU_DEP_2)
	v_cmp_lt_u32_e32 vcc_lo, 0xffffff, v150
	v_sub_nc_u32_e32 v13, v151, v160
	v_cndmask_b32_e64 v151, 0, 1, vcc_lo
	v_add_co_ci_u32_e32 v13, vcc_lo, 0, v13, vcc_lo
	s_delay_alu instid0(VALU_DEP_2)
	v_lshrrev_b32_e32 v150, v151, v150
; %bb.8241:                             ;   in Loop: Header=BB4_7984 Depth=3
	s_and_not1_saveexec_b32 s14, s14
; %bb.8242:                             ;   in Loop: Header=BB4_7984 Depth=3
	s_delay_alu instid0(VALU_DEP_1)
	v_bfe_u32 v13, v150, 23, 1
; %bb.8243:                             ;   in Loop: Header=BB4_7984 Depth=3
	s_or_b32 exec_lo, exec_lo, s14
	v_lshrrev_b32_e32 v150, 20, v150
	s_delay_alu instid0(VALU_DEP_2) | instskip(SKIP_2) | instid1(VALU_DEP_2)
	v_cmp_gt_i32_e32 vcc_lo, 16, v13
	v_lshrrev_b32_e32 v149, 24, v149
	v_min_i32_e32 v151, 15, v13
	v_dual_cndmask_b32 v150, 7, v150 :: v_dual_and_b32 v149, 0x80, v149
	s_delay_alu instid0(VALU_DEP_2) | instskip(NEXT) | instid1(VALU_DEP_2)
	v_lshlrev_b32_e32 v151, 3, v151
	v_or_b32_e32 v13, v13, v150
	s_delay_alu instid0(VALU_DEP_1) | instskip(SKIP_1) | instid1(VALU_DEP_1)
	v_cmp_ne_u32_e32 vcc_lo, 0, v13
	v_and_b32_e32 v160, 7, v150
	v_or3_b32 v149, v151, v149, v160
	s_delay_alu instid0(VALU_DEP_1)
	v_cndmask_b32_e32 v13, 0, v149, vcc_lo
.LBB4_8244:                             ;   in Loop: Header=BB4_7984 Depth=3
	s_or_b32 exec_lo, exec_lo, s35
.LBB4_8245:                             ;   in Loop: Header=BB4_7984 Depth=3
	s_delay_alu instid0(SALU_CYCLE_1)
	s_or_b32 exec_lo, exec_lo, s34
	v_lshrrev_b16 v150, 8, v14
	v_lshrrev_b16 v149, 8, v10
	s_and_b32 vcc_lo, exec_lo, s31
	s_cbranch_vccz .LBB4_8255
; %bb.8246:                             ;   in Loop: Header=BB4_7984 Depth=3
	s_mov_b32 s14, 0
	s_mov_b32 s35, exec_lo
                                        ; implicit-def: $sgpr34
	v_cmpx_lt_i16_e64 0x7f, v150
	s_xor_b32 s35, exec_lo, s35
	s_cbranch_execnz .LBB4_8590
; %bb.8247:                             ;   in Loop: Header=BB4_7984 Depth=3
	s_or_saveexec_b32 s35, s35
	v_mov_b32_e32 v151, s34
	s_xor_b32 exec_lo, exec_lo, s35
	s_cbranch_execnz .LBB4_8593
.LBB4_8248:                             ;   in Loop: Header=BB4_7984 Depth=3
	s_or_b32 exec_lo, exec_lo, s35
	s_and_saveexec_b32 s34, s14
	s_cbranch_execz .LBB4_8250
.LBB4_8249:                             ;   in Loop: Header=BB4_7984 Depth=3
	v_and_b32_e32 v151, 0xffff, v150
	v_lshlrev_b32_e32 v163, 16, v14
	s_delay_alu instid0(VALU_DEP_2) | instskip(NEXT) | instid1(VALU_DEP_1)
	v_and_b32_e32 v160, 7, v151
	v_clz_i32_u32_e32 v161, v160
	s_delay_alu instid0(VALU_DEP_1) | instskip(NEXT) | instid1(VALU_DEP_1)
	v_min_u32_e32 v161, 32, v161
	v_subrev_nc_u32_e32 v162, 28, v161
	v_sub_nc_u32_e32 v161, 29, v161
	s_delay_alu instid0(VALU_DEP_2) | instskip(SKIP_1) | instid1(VALU_DEP_2)
	v_lshlrev_b32_e32 v162, v162, v151
	v_bfe_u32 v151, v151, 3, 4
	v_and_b32_e32 v162, 7, v162
	s_delay_alu instid0(VALU_DEP_2) | instskip(NEXT) | instid1(VALU_DEP_2)
	v_cmp_eq_u32_e32 vcc_lo, 0, v151
	v_dual_cndmask_b32 v151, v151, v161 :: v_dual_cndmask_b32 v160, v160, v162
	v_and_b32_e32 v161, 0x80000000, v163
	s_delay_alu instid0(VALU_DEP_2) | instskip(NEXT) | instid1(VALU_DEP_3)
	v_lshl_add_u32 v151, v151, 23, 0x3b800000
	v_lshlrev_b32_e32 v160, 20, v160
	s_delay_alu instid0(VALU_DEP_1)
	v_or3_b32 v151, v161, v151, v160
.LBB4_8250:                             ;   in Loop: Header=BB4_7984 Depth=3
	s_or_b32 exec_lo, exec_lo, s34
	s_mov_b32 s14, 0
	s_mov_b32 s35, exec_lo
                                        ; implicit-def: $sgpr34
	v_cmpx_lt_i16_e64 0x7f, v149
	s_xor_b32 s35, exec_lo, s35
	s_cbranch_execnz .LBB4_8594
; %bb.8251:                             ;   in Loop: Header=BB4_7984 Depth=3
	s_or_saveexec_b32 s35, s35
	v_mov_b32_e32 v160, s34
	s_xor_b32 exec_lo, exec_lo, s35
	s_cbranch_execnz .LBB4_8597
.LBB4_8252:                             ;   in Loop: Header=BB4_7984 Depth=3
	s_or_b32 exec_lo, exec_lo, s35
	s_and_saveexec_b32 s34, s14
	s_cbranch_execz .LBB4_8254
.LBB4_8253:                             ;   in Loop: Header=BB4_7984 Depth=3
	v_and_b32_e32 v160, 0xffff, v149
	v_lshlrev_b32_e32 v164, 16, v10
	s_delay_alu instid0(VALU_DEP_2) | instskip(NEXT) | instid1(VALU_DEP_1)
	v_and_b32_e32 v161, 7, v160
	v_clz_i32_u32_e32 v162, v161
	s_delay_alu instid0(VALU_DEP_1) | instskip(NEXT) | instid1(VALU_DEP_1)
	v_min_u32_e32 v162, 32, v162
	v_subrev_nc_u32_e32 v163, 28, v162
	v_sub_nc_u32_e32 v162, 29, v162
	s_delay_alu instid0(VALU_DEP_2) | instskip(SKIP_1) | instid1(VALU_DEP_2)
	v_lshlrev_b32_e32 v163, v163, v160
	v_bfe_u32 v160, v160, 3, 4
	v_and_b32_e32 v163, 7, v163
	s_delay_alu instid0(VALU_DEP_2) | instskip(NEXT) | instid1(VALU_DEP_2)
	v_cmp_eq_u32_e32 vcc_lo, 0, v160
	v_dual_cndmask_b32 v160, v160, v162 :: v_dual_cndmask_b32 v161, v161, v163
	v_and_b32_e32 v162, 0x80000000, v164
	s_delay_alu instid0(VALU_DEP_2) | instskip(NEXT) | instid1(VALU_DEP_3)
	v_lshl_add_u32 v160, v160, 23, 0x3b800000
	v_lshlrev_b32_e32 v161, 20, v161
	s_delay_alu instid0(VALU_DEP_1)
	v_or3_b32 v160, v162, v160, v161
.LBB4_8254:                             ;   in Loop: Header=BB4_7984 Depth=3
	s_or_b32 exec_lo, exec_lo, s34
	s_delay_alu instid0(VALU_DEP_1) | instskip(SKIP_1) | instid1(VALU_DEP_1)
	v_dual_max_f32 v160, v160, v160 :: v_dual_max_f32 v151, v151, v151
	s_mov_b32 s14, 0
	v_max_f32_e32 v151, v151, v160
	s_branch .LBB4_8256
.LBB4_8255:                             ;   in Loop: Header=BB4_7984 Depth=3
	s_mov_b32 s14, -1
                                        ; implicit-def: $vgpr151
.LBB4_8256:                             ;   in Loop: Header=BB4_7984 Depth=3
	s_delay_alu instid0(SALU_CYCLE_1)
	s_and_b32 vcc_lo, exec_lo, s14
	s_cbranch_vccz .LBB4_8266
; %bb.8257:                             ;   in Loop: Header=BB4_7984 Depth=3
	s_mov_b32 s14, 0
	s_mov_b32 s35, exec_lo
                                        ; implicit-def: $sgpr34
	v_cmpx_lt_i16_e64 0x7f, v150
	s_xor_b32 s35, exec_lo, s35
	s_cbranch_execnz .LBB4_8598
; %bb.8258:                             ;   in Loop: Header=BB4_7984 Depth=3
	s_or_saveexec_b32 s35, s35
	v_mov_b32_e32 v151, s34
	s_xor_b32 exec_lo, exec_lo, s35
	s_cbranch_execnz .LBB4_8601
.LBB4_8259:                             ;   in Loop: Header=BB4_7984 Depth=3
	s_or_b32 exec_lo, exec_lo, s35
	s_and_saveexec_b32 s34, s14
	s_cbranch_execz .LBB4_8261
.LBB4_8260:                             ;   in Loop: Header=BB4_7984 Depth=3
	v_and_b32_e32 v150, 0xffff, v150
	v_lshlrev_b32_e32 v162, 16, v14
	s_delay_alu instid0(VALU_DEP_2) | instskip(NEXT) | instid1(VALU_DEP_1)
	v_and_b32_e32 v151, 7, v150
	v_clz_i32_u32_e32 v160, v151
	s_delay_alu instid0(VALU_DEP_1) | instskip(NEXT) | instid1(VALU_DEP_1)
	v_min_u32_e32 v160, 32, v160
	v_subrev_nc_u32_e32 v161, 28, v160
	v_sub_nc_u32_e32 v160, 29, v160
	s_delay_alu instid0(VALU_DEP_2) | instskip(SKIP_1) | instid1(VALU_DEP_2)
	v_lshlrev_b32_e32 v161, v161, v150
	v_bfe_u32 v150, v150, 3, 4
	v_and_b32_e32 v161, 7, v161
	s_delay_alu instid0(VALU_DEP_2) | instskip(NEXT) | instid1(VALU_DEP_2)
	v_cmp_eq_u32_e32 vcc_lo, 0, v150
	v_dual_cndmask_b32 v150, v150, v160 :: v_dual_cndmask_b32 v151, v151, v161
	v_and_b32_e32 v160, 0x80000000, v162
	s_delay_alu instid0(VALU_DEP_2) | instskip(NEXT) | instid1(VALU_DEP_3)
	v_lshl_add_u32 v150, v150, 23, 0x3b800000
	v_lshlrev_b32_e32 v151, 20, v151
	s_delay_alu instid0(VALU_DEP_1)
	v_or3_b32 v151, v160, v150, v151
.LBB4_8261:                             ;   in Loop: Header=BB4_7984 Depth=3
	s_or_b32 exec_lo, exec_lo, s34
	s_mov_b32 s14, 0
	s_mov_b32 s35, exec_lo
                                        ; implicit-def: $sgpr34
	v_cmpx_lt_i16_e64 0x7f, v149
	s_xor_b32 s35, exec_lo, s35
	s_cbranch_execnz .LBB4_8602
; %bb.8262:                             ;   in Loop: Header=BB4_7984 Depth=3
	s_or_saveexec_b32 s35, s35
	v_mov_b32_e32 v150, s34
	s_xor_b32 exec_lo, exec_lo, s35
	s_cbranch_execnz .LBB4_8605
.LBB4_8263:                             ;   in Loop: Header=BB4_7984 Depth=3
	s_or_b32 exec_lo, exec_lo, s35
	s_and_saveexec_b32 s34, s14
	s_cbranch_execz .LBB4_8265
.LBB4_8264:                             ;   in Loop: Header=BB4_7984 Depth=3
	v_and_b32_e32 v149, 0xffff, v149
	v_lshlrev_b32_e32 v162, 16, v10
	s_delay_alu instid0(VALU_DEP_2) | instskip(NEXT) | instid1(VALU_DEP_1)
	v_and_b32_e32 v150, 7, v149
	v_clz_i32_u32_e32 v160, v150
	s_delay_alu instid0(VALU_DEP_1) | instskip(NEXT) | instid1(VALU_DEP_1)
	v_min_u32_e32 v160, 32, v160
	v_subrev_nc_u32_e32 v161, 28, v160
	v_sub_nc_u32_e32 v160, 29, v160
	s_delay_alu instid0(VALU_DEP_2) | instskip(SKIP_1) | instid1(VALU_DEP_2)
	v_lshlrev_b32_e32 v161, v161, v149
	v_bfe_u32 v149, v149, 3, 4
	v_and_b32_e32 v161, 7, v161
	s_delay_alu instid0(VALU_DEP_2) | instskip(NEXT) | instid1(VALU_DEP_2)
	v_cmp_eq_u32_e32 vcc_lo, 0, v149
	v_dual_cndmask_b32 v149, v149, v160 :: v_dual_cndmask_b32 v150, v150, v161
	v_and_b32_e32 v160, 0x80000000, v162
	s_delay_alu instid0(VALU_DEP_2) | instskip(NEXT) | instid1(VALU_DEP_3)
	v_lshl_add_u32 v149, v149, 23, 0x3b800000
	v_lshlrev_b32_e32 v150, 20, v150
	s_delay_alu instid0(VALU_DEP_1)
	v_or3_b32 v150, v160, v149, v150
.LBB4_8265:                             ;   in Loop: Header=BB4_7984 Depth=3
	s_or_b32 exec_lo, exec_lo, s34
	s_delay_alu instid0(VALU_DEP_1) | instskip(NEXT) | instid1(VALU_DEP_1)
	v_dual_max_f32 v149, v150, v150 :: v_dual_max_f32 v150, v151, v151
	v_min_f32_e32 v151, v150, v149
.LBB4_8266:                             ;   in Loop: Header=BB4_7984 Depth=3
	s_delay_alu instid0(VALU_DEP_1) | instskip(NEXT) | instid1(VALU_DEP_1)
	v_and_b32_e32 v149, 0x7f800000, v151
	v_cmp_ne_u32_e32 vcc_lo, 0x7f800000, v149
	v_mov_b32_e32 v149, 0x80
	s_and_saveexec_b32 s34, vcc_lo
	s_cbranch_execz .LBB4_8274
; %bb.8267:                             ;   in Loop: Header=BB4_7984 Depth=3
	v_mov_b32_e32 v149, 0
	s_mov_b32 s35, exec_lo
	v_cmpx_ne_u32_e32 0, v151
	s_cbranch_execz .LBB4_8273
; %bb.8268:                             ;   in Loop: Header=BB4_7984 Depth=3
	v_bfe_u32 v149, v151, 23, 8
	v_and_b32_e32 v150, 0x7fffff, v151
	s_delay_alu instid0(VALU_DEP_2) | instskip(SKIP_1) | instid1(VALU_DEP_3)
	v_sub_nc_u32_e32 v160, 0x78, v149
	v_cmp_gt_u32_e32 vcc_lo, 0x79, v149
	v_or_b32_e32 v161, 0x800000, v150
	s_delay_alu instid0(VALU_DEP_3) | instskip(SKIP_2) | instid1(VALU_DEP_3)
	v_cndmask_b32_e32 v160, 0, v160, vcc_lo
	v_cmp_eq_u32_e32 vcc_lo, 0, v149
	v_add_nc_u32_e32 v149, 0xffffff89, v149
	v_cndmask_b32_e64 v160, v160, 0x77, vcc_lo
	v_cndmask_b32_e32 v150, v161, v150, vcc_lo
	s_delay_alu instid0(VALU_DEP_3) | instskip(NEXT) | instid1(VALU_DEP_3)
	v_cndmask_b32_e64 v149, v149, 0xffffff8a, vcc_lo
	v_lshl_add_u32 v161, 0x100000, v160, -1
	s_delay_alu instid0(VALU_DEP_3) | instskip(SKIP_1) | instid1(VALU_DEP_4)
	v_lshrrev_b32_e32 v162, v160, v150
	v_lshlrev_b32_e64 v164, v160, 0x80000
	v_add_nc_u32_e32 v160, v160, v149
	s_delay_alu instid0(VALU_DEP_4) | instskip(NEXT) | instid1(VALU_DEP_4)
	v_and_b32_e32 v150, v161, v150
	v_bfe_u32 v163, v162, 20, 1
	s_delay_alu instid0(VALU_DEP_2) | instskip(NEXT) | instid1(VALU_DEP_2)
	v_cmp_eq_u32_e64 s14, v150, v164
	v_add_nc_u32_e32 v161, -1, v163
	s_delay_alu instid0(VALU_DEP_1) | instskip(SKIP_2) | instid1(VALU_DEP_2)
	v_cndmask_b32_e64 v150, 0, v161, s14
	v_lshrrev_b32_e32 v161, 23, v162
	s_mov_b32 s14, exec_lo
	v_add_nc_u32_e32 v150, v150, v162
	s_delay_alu instid0(VALU_DEP_2) | instskip(NEXT) | instid1(VALU_DEP_2)
	v_xor_b32_e32 v161, 1, v161
	v_and_b32_e32 v149, 0xfffff, v150
	s_delay_alu instid0(VALU_DEP_1) | instskip(NEXT) | instid1(VALU_DEP_3)
	v_add_nc_u32_e32 v150, v149, v162
                                        ; implicit-def: $vgpr149
	v_cmpx_ne_u32_e64 v160, v161
	s_xor_b32 s14, exec_lo, s14
; %bb.8269:                             ;   in Loop: Header=BB4_7984 Depth=3
	s_delay_alu instid0(VALU_DEP_2) | instskip(SKIP_2) | instid1(VALU_DEP_2)
	v_cmp_lt_u32_e32 vcc_lo, 0xffffff, v150
	v_sub_nc_u32_e32 v149, v160, v161
	v_cndmask_b32_e64 v160, 0, 1, vcc_lo
	v_add_co_ci_u32_e32 v149, vcc_lo, 0, v149, vcc_lo
	s_delay_alu instid0(VALU_DEP_2)
	v_lshrrev_b32_e32 v150, v160, v150
; %bb.8270:                             ;   in Loop: Header=BB4_7984 Depth=3
	s_and_not1_saveexec_b32 s14, s14
; %bb.8271:                             ;   in Loop: Header=BB4_7984 Depth=3
	s_delay_alu instid0(VALU_DEP_1)
	v_bfe_u32 v149, v150, 23, 1
; %bb.8272:                             ;   in Loop: Header=BB4_7984 Depth=3
	s_or_b32 exec_lo, exec_lo, s14
	v_lshrrev_b32_e32 v150, 20, v150
	s_delay_alu instid0(VALU_DEP_2) | instskip(SKIP_2) | instid1(VALU_DEP_2)
	v_cmp_gt_i32_e32 vcc_lo, 16, v149
	v_lshrrev_b32_e32 v151, 24, v151
	v_min_i32_e32 v160, 15, v149
	v_dual_cndmask_b32 v150, 7, v150 :: v_dual_and_b32 v151, 0x80, v151
	s_delay_alu instid0(VALU_DEP_1) | instskip(SKIP_1) | instid1(VALU_DEP_2)
	v_or_b32_e32 v149, v149, v150
	v_and_b32_e32 v161, 7, v150
	v_cmp_ne_u32_e32 vcc_lo, 0, v149
	v_lshlrev_b32_e32 v160, 3, v160
	s_delay_alu instid0(VALU_DEP_1) | instskip(NEXT) | instid1(VALU_DEP_1)
	v_or3_b32 v150, v160, v151, v161
	v_cndmask_b32_e32 v149, 0, v150, vcc_lo
.LBB4_8273:                             ;   in Loop: Header=BB4_7984 Depth=3
	s_or_b32 exec_lo, exec_lo, s35
.LBB4_8274:                             ;   in Loop: Header=BB4_7984 Depth=3
	s_delay_alu instid0(SALU_CYCLE_1)
	s_or_b32 exec_lo, exec_lo, s34
	v_lshrrev_b32_e32 v151, 16, v14
	v_lshrrev_b32_e32 v150, 16, v10
	s_and_b32 vcc_lo, exec_lo, s31
	s_cbranch_vccz .LBB4_8284
; %bb.8275:                             ;   in Loop: Header=BB4_7984 Depth=3
	s_delay_alu instid0(VALU_DEP_2) | instskip(SKIP_2) | instid1(VALU_DEP_1)
	v_and_b32_e32 v161, 0xff, v151
	s_mov_b32 s14, 0
	s_mov_b32 s35, exec_lo
                                        ; implicit-def: $sgpr34
	v_cmpx_lt_i16_e64 0x7f, v161
	s_xor_b32 s35, exec_lo, s35
	s_cbranch_execnz .LBB4_8606
; %bb.8276:                             ;   in Loop: Header=BB4_7984 Depth=3
	s_or_saveexec_b32 s35, s35
	v_mov_b32_e32 v160, s34
	s_xor_b32 exec_lo, exec_lo, s35
	s_cbranch_execnz .LBB4_8609
.LBB4_8277:                             ;   in Loop: Header=BB4_7984 Depth=3
	s_or_b32 exec_lo, exec_lo, s35
	s_and_saveexec_b32 s34, s14
	s_cbranch_execz .LBB4_8279
.LBB4_8278:                             ;   in Loop: Header=BB4_7984 Depth=3
	v_bfe_u32 v160, v14, 16, 3
	v_bfe_u32 v163, v14, 19, 4
	v_lshlrev_b32_e32 v164, 24, v151
	s_delay_alu instid0(VALU_DEP_3) | instskip(NEXT) | instid1(VALU_DEP_3)
	v_clz_i32_u32_e32 v161, v160
	v_cmp_eq_u32_e32 vcc_lo, 0, v163
	s_delay_alu instid0(VALU_DEP_2) | instskip(NEXT) | instid1(VALU_DEP_1)
	v_min_u32_e32 v161, 32, v161
	v_subrev_nc_u32_e32 v162, 28, v161
	v_sub_nc_u32_e32 v161, 29, v161
	s_delay_alu instid0(VALU_DEP_1) | instskip(NEXT) | instid1(VALU_DEP_1)
	v_dual_cndmask_b32 v161, v163, v161 :: v_dual_lshlrev_b32 v162, v162, v151
	v_and_b32_e32 v162, 7, v162
	s_delay_alu instid0(VALU_DEP_2) | instskip(NEXT) | instid1(VALU_DEP_2)
	v_lshl_add_u32 v161, v161, 23, 0x3b800000
	v_cndmask_b32_e32 v160, v160, v162, vcc_lo
	v_and_b32_e32 v162, 0x80000000, v164
	s_delay_alu instid0(VALU_DEP_2) | instskip(NEXT) | instid1(VALU_DEP_1)
	v_lshlrev_b32_e32 v160, 20, v160
	v_or3_b32 v160, v162, v161, v160
.LBB4_8279:                             ;   in Loop: Header=BB4_7984 Depth=3
	s_or_b32 exec_lo, exec_lo, s34
	v_and_b32_e32 v162, 0xff, v150
	s_mov_b32 s14, 0
	s_mov_b32 s35, exec_lo
                                        ; implicit-def: $sgpr34
	s_delay_alu instid0(VALU_DEP_1)
	v_cmpx_lt_i16_e64 0x7f, v162
	s_xor_b32 s35, exec_lo, s35
	s_cbranch_execnz .LBB4_8610
; %bb.8280:                             ;   in Loop: Header=BB4_7984 Depth=3
	s_or_saveexec_b32 s35, s35
	v_mov_b32_e32 v161, s34
	s_xor_b32 exec_lo, exec_lo, s35
	s_cbranch_execnz .LBB4_8613
.LBB4_8281:                             ;   in Loop: Header=BB4_7984 Depth=3
	s_or_b32 exec_lo, exec_lo, s35
	s_and_saveexec_b32 s34, s14
	s_cbranch_execz .LBB4_8283
.LBB4_8282:                             ;   in Loop: Header=BB4_7984 Depth=3
	v_bfe_u32 v161, v10, 16, 3
	v_bfe_u32 v164, v10, 19, 4
	v_lshlrev_b32_e32 v165, 24, v150
	s_delay_alu instid0(VALU_DEP_3) | instskip(NEXT) | instid1(VALU_DEP_3)
	v_clz_i32_u32_e32 v162, v161
	v_cmp_eq_u32_e32 vcc_lo, 0, v164
	s_delay_alu instid0(VALU_DEP_2) | instskip(NEXT) | instid1(VALU_DEP_1)
	v_min_u32_e32 v162, 32, v162
	v_subrev_nc_u32_e32 v163, 28, v162
	v_sub_nc_u32_e32 v162, 29, v162
	s_delay_alu instid0(VALU_DEP_2) | instskip(NEXT) | instid1(VALU_DEP_1)
	v_lshlrev_b32_e32 v163, v163, v150
	v_dual_cndmask_b32 v162, v164, v162 :: v_dual_and_b32 v163, 7, v163
	s_delay_alu instid0(VALU_DEP_1) | instskip(NEXT) | instid1(VALU_DEP_2)
	v_lshl_add_u32 v162, v162, 23, 0x3b800000
	v_cndmask_b32_e32 v161, v161, v163, vcc_lo
	v_and_b32_e32 v163, 0x80000000, v165
	s_delay_alu instid0(VALU_DEP_2) | instskip(NEXT) | instid1(VALU_DEP_1)
	v_lshlrev_b32_e32 v161, 20, v161
	v_or3_b32 v161, v163, v162, v161
.LBB4_8283:                             ;   in Loop: Header=BB4_7984 Depth=3
	s_or_b32 exec_lo, exec_lo, s34
	s_delay_alu instid0(VALU_DEP_1) | instskip(SKIP_1) | instid1(VALU_DEP_1)
	v_dual_max_f32 v161, v161, v161 :: v_dual_max_f32 v160, v160, v160
	s_mov_b32 s14, 0
	v_max_f32_e32 v160, v160, v161
	s_branch .LBB4_8285
.LBB4_8284:                             ;   in Loop: Header=BB4_7984 Depth=3
	s_mov_b32 s14, -1
                                        ; implicit-def: $vgpr160
.LBB4_8285:                             ;   in Loop: Header=BB4_7984 Depth=3
	s_delay_alu instid0(SALU_CYCLE_1)
	s_and_b32 vcc_lo, exec_lo, s14
	s_cbranch_vccz .LBB4_8295
; %bb.8286:                             ;   in Loop: Header=BB4_7984 Depth=3
	v_and_b32_e32 v161, 0xff, v151
	s_mov_b32 s14, 0
	s_mov_b32 s35, exec_lo
                                        ; implicit-def: $sgpr34
	s_delay_alu instid0(VALU_DEP_1)
	v_cmpx_lt_i16_e64 0x7f, v161
	s_xor_b32 s35, exec_lo, s35
	s_cbranch_execnz .LBB4_8614
; %bb.8287:                             ;   in Loop: Header=BB4_7984 Depth=3
	s_or_saveexec_b32 s35, s35
	v_mov_b32_e32 v160, s34
	s_xor_b32 exec_lo, exec_lo, s35
	s_cbranch_execnz .LBB4_8617
.LBB4_8288:                             ;   in Loop: Header=BB4_7984 Depth=3
	s_or_b32 exec_lo, exec_lo, s35
	s_and_saveexec_b32 s34, s14
	s_cbranch_execz .LBB4_8290
.LBB4_8289:                             ;   in Loop: Header=BB4_7984 Depth=3
	v_bfe_u32 v160, v14, 16, 3
	v_bfe_u32 v163, v14, 19, 4
	s_delay_alu instid0(VALU_DEP_2) | instskip(NEXT) | instid1(VALU_DEP_2)
	v_clz_i32_u32_e32 v161, v160
	v_cmp_eq_u32_e32 vcc_lo, 0, v163
	s_delay_alu instid0(VALU_DEP_2) | instskip(NEXT) | instid1(VALU_DEP_1)
	v_min_u32_e32 v161, 32, v161
	v_subrev_nc_u32_e32 v162, 28, v161
	v_sub_nc_u32_e32 v161, 29, v161
	s_delay_alu instid0(VALU_DEP_1) | instskip(NEXT) | instid1(VALU_DEP_1)
	v_dual_cndmask_b32 v161, v163, v161 :: v_dual_lshlrev_b32 v162, v162, v151
	v_and_b32_e32 v162, 7, v162
	v_lshlrev_b32_e32 v151, 24, v151
	s_delay_alu instid0(VALU_DEP_3) | instskip(NEXT) | instid1(VALU_DEP_2)
	v_lshl_add_u32 v161, v161, 23, 0x3b800000
	v_dual_cndmask_b32 v160, v160, v162 :: v_dual_and_b32 v151, 0x80000000, v151
	s_delay_alu instid0(VALU_DEP_1) | instskip(NEXT) | instid1(VALU_DEP_1)
	v_lshlrev_b32_e32 v160, 20, v160
	v_or3_b32 v160, v151, v161, v160
.LBB4_8290:                             ;   in Loop: Header=BB4_7984 Depth=3
	s_or_b32 exec_lo, exec_lo, s34
	v_and_b32_e32 v161, 0xff, v150
	s_mov_b32 s14, 0
	s_mov_b32 s35, exec_lo
                                        ; implicit-def: $sgpr34
	s_delay_alu instid0(VALU_DEP_1)
	v_cmpx_lt_i16_e64 0x7f, v161
	s_xor_b32 s35, exec_lo, s35
	s_cbranch_execnz .LBB4_8618
; %bb.8291:                             ;   in Loop: Header=BB4_7984 Depth=3
	s_or_saveexec_b32 s35, s35
	v_mov_b32_e32 v151, s34
	s_xor_b32 exec_lo, exec_lo, s35
	s_cbranch_execnz .LBB4_8621
.LBB4_8292:                             ;   in Loop: Header=BB4_7984 Depth=3
	s_or_b32 exec_lo, exec_lo, s35
	s_and_saveexec_b32 s34, s14
	s_cbranch_execz .LBB4_8294
.LBB4_8293:                             ;   in Loop: Header=BB4_7984 Depth=3
	v_bfe_u32 v151, v10, 16, 3
	v_bfe_u32 v163, v10, 19, 4
	s_delay_alu instid0(VALU_DEP_2) | instskip(NEXT) | instid1(VALU_DEP_2)
	v_clz_i32_u32_e32 v161, v151
	v_cmp_eq_u32_e32 vcc_lo, 0, v163
	s_delay_alu instid0(VALU_DEP_2) | instskip(NEXT) | instid1(VALU_DEP_1)
	v_min_u32_e32 v161, 32, v161
	v_subrev_nc_u32_e32 v162, 28, v161
	v_sub_nc_u32_e32 v161, 29, v161
	s_delay_alu instid0(VALU_DEP_1) | instskip(SKIP_1) | instid1(VALU_DEP_2)
	v_dual_cndmask_b32 v161, v163, v161 :: v_dual_lshlrev_b32 v162, v162, v150
	v_lshlrev_b32_e32 v150, 24, v150
	v_and_b32_e32 v162, 7, v162
	s_delay_alu instid0(VALU_DEP_3) | instskip(NEXT) | instid1(VALU_DEP_3)
	v_lshl_add_u32 v161, v161, 23, 0x3b800000
	v_and_b32_e32 v150, 0x80000000, v150
	s_delay_alu instid0(VALU_DEP_3) | instskip(NEXT) | instid1(VALU_DEP_1)
	v_cndmask_b32_e32 v151, v151, v162, vcc_lo
	v_lshlrev_b32_e32 v151, 20, v151
	s_delay_alu instid0(VALU_DEP_1)
	v_or3_b32 v151, v150, v161, v151
.LBB4_8294:                             ;   in Loop: Header=BB4_7984 Depth=3
	s_or_b32 exec_lo, exec_lo, s34
	s_delay_alu instid0(VALU_DEP_1) | instskip(NEXT) | instid1(VALU_DEP_1)
	v_dual_max_f32 v150, v151, v151 :: v_dual_max_f32 v151, v160, v160
	v_min_f32_e32 v160, v151, v150
.LBB4_8295:                             ;   in Loop: Header=BB4_7984 Depth=3
	s_delay_alu instid0(VALU_DEP_1) | instskip(NEXT) | instid1(VALU_DEP_1)
	v_and_b32_e32 v150, 0x7f800000, v160
	v_cmp_ne_u32_e32 vcc_lo, 0x7f800000, v150
	v_mov_b32_e32 v150, 0x80
	s_and_saveexec_b32 s34, vcc_lo
	s_cbranch_execz .LBB4_8303
; %bb.8296:                             ;   in Loop: Header=BB4_7984 Depth=3
	v_mov_b32_e32 v150, 0
	s_mov_b32 s35, exec_lo
	v_cmpx_ne_u32_e32 0, v160
	s_cbranch_execz .LBB4_8302
; %bb.8297:                             ;   in Loop: Header=BB4_7984 Depth=3
	v_bfe_u32 v150, v160, 23, 8
	v_and_b32_e32 v151, 0x7fffff, v160
	s_delay_alu instid0(VALU_DEP_2) | instskip(SKIP_1) | instid1(VALU_DEP_3)
	v_sub_nc_u32_e32 v161, 0x78, v150
	v_cmp_gt_u32_e32 vcc_lo, 0x79, v150
	v_or_b32_e32 v162, 0x800000, v151
	s_delay_alu instid0(VALU_DEP_3) | instskip(SKIP_2) | instid1(VALU_DEP_3)
	v_cndmask_b32_e32 v161, 0, v161, vcc_lo
	v_cmp_eq_u32_e32 vcc_lo, 0, v150
	v_add_nc_u32_e32 v150, 0xffffff89, v150
	v_cndmask_b32_e64 v161, v161, 0x77, vcc_lo
	v_cndmask_b32_e32 v151, v162, v151, vcc_lo
	s_delay_alu instid0(VALU_DEP_3) | instskip(NEXT) | instid1(VALU_DEP_3)
	v_cndmask_b32_e64 v150, v150, 0xffffff8a, vcc_lo
	v_lshl_add_u32 v162, 0x100000, v161, -1
	s_delay_alu instid0(VALU_DEP_3) | instskip(SKIP_1) | instid1(VALU_DEP_4)
	v_lshrrev_b32_e32 v163, v161, v151
	v_lshlrev_b32_e64 v165, v161, 0x80000
	v_add_nc_u32_e32 v161, v161, v150
	s_delay_alu instid0(VALU_DEP_4) | instskip(NEXT) | instid1(VALU_DEP_4)
	v_and_b32_e32 v151, v162, v151
	v_bfe_u32 v164, v163, 20, 1
	s_delay_alu instid0(VALU_DEP_2) | instskip(NEXT) | instid1(VALU_DEP_2)
	v_cmp_eq_u32_e64 s14, v151, v165
	v_add_nc_u32_e32 v162, -1, v164
	s_delay_alu instid0(VALU_DEP_1) | instskip(SKIP_2) | instid1(VALU_DEP_2)
	v_cndmask_b32_e64 v151, 0, v162, s14
	v_lshrrev_b32_e32 v162, 23, v163
	s_mov_b32 s14, exec_lo
	v_add_nc_u32_e32 v151, v151, v163
	s_delay_alu instid0(VALU_DEP_2) | instskip(NEXT) | instid1(VALU_DEP_2)
	v_xor_b32_e32 v162, 1, v162
	v_and_b32_e32 v150, 0xfffff, v151
	s_delay_alu instid0(VALU_DEP_1) | instskip(NEXT) | instid1(VALU_DEP_3)
	v_add_nc_u32_e32 v151, v150, v163
                                        ; implicit-def: $vgpr150
	v_cmpx_ne_u32_e64 v161, v162
	s_xor_b32 s14, exec_lo, s14
; %bb.8298:                             ;   in Loop: Header=BB4_7984 Depth=3
	s_delay_alu instid0(VALU_DEP_2) | instskip(SKIP_2) | instid1(VALU_DEP_2)
	v_cmp_lt_u32_e32 vcc_lo, 0xffffff, v151
	v_sub_nc_u32_e32 v150, v161, v162
	v_cndmask_b32_e64 v161, 0, 1, vcc_lo
	v_add_co_ci_u32_e32 v150, vcc_lo, 0, v150, vcc_lo
	s_delay_alu instid0(VALU_DEP_2)
	v_lshrrev_b32_e32 v151, v161, v151
; %bb.8299:                             ;   in Loop: Header=BB4_7984 Depth=3
	s_and_not1_saveexec_b32 s14, s14
; %bb.8300:                             ;   in Loop: Header=BB4_7984 Depth=3
	s_delay_alu instid0(VALU_DEP_1)
	v_bfe_u32 v150, v151, 23, 1
; %bb.8301:                             ;   in Loop: Header=BB4_7984 Depth=3
	s_or_b32 exec_lo, exec_lo, s14
	v_lshrrev_b32_e32 v151, 20, v151
	s_delay_alu instid0(VALU_DEP_2) | instskip(SKIP_2) | instid1(VALU_DEP_2)
	v_cmp_gt_i32_e32 vcc_lo, 16, v150
	v_lshrrev_b32_e32 v160, 24, v160
	v_min_i32_e32 v161, 15, v150
	v_dual_cndmask_b32 v151, 7, v151 :: v_dual_and_b32 v160, 0x80, v160
	s_delay_alu instid0(VALU_DEP_1) | instskip(SKIP_1) | instid1(VALU_DEP_2)
	v_or_b32_e32 v150, v150, v151
	v_and_b32_e32 v162, 7, v151
	v_cmp_ne_u32_e32 vcc_lo, 0, v150
	v_lshlrev_b32_e32 v161, 3, v161
	s_delay_alu instid0(VALU_DEP_1) | instskip(NEXT) | instid1(VALU_DEP_1)
	v_or3_b32 v151, v161, v160, v162
	v_cndmask_b32_e32 v150, 0, v151, vcc_lo
.LBB4_8302:                             ;   in Loop: Header=BB4_7984 Depth=3
	s_or_b32 exec_lo, exec_lo, s35
.LBB4_8303:                             ;   in Loop: Header=BB4_7984 Depth=3
	s_delay_alu instid0(SALU_CYCLE_1)
	s_or_b32 exec_lo, exec_lo, s34
	v_lshrrev_b32_e32 v160, 24, v14
	v_lshrrev_b32_e32 v151, 24, v10
	s_and_b32 vcc_lo, exec_lo, s31
	s_cbranch_vccz .LBB4_8313
; %bb.8304:                             ;   in Loop: Header=BB4_7984 Depth=3
	s_mov_b32 s14, 0
	s_mov_b32 s35, exec_lo
                                        ; implicit-def: $sgpr34
	v_cmpx_lt_i16_e64 0x7f, v160
	s_xor_b32 s35, exec_lo, s35
	s_cbranch_execnz .LBB4_8622
; %bb.8305:                             ;   in Loop: Header=BB4_7984 Depth=3
	s_or_saveexec_b32 s35, s35
	v_mov_b32_e32 v161, s34
	s_xor_b32 exec_lo, exec_lo, s35
	s_cbranch_execnz .LBB4_8625
.LBB4_8306:                             ;   in Loop: Header=BB4_7984 Depth=3
	s_or_b32 exec_lo, exec_lo, s35
	s_and_saveexec_b32 s34, s14
	s_cbranch_execz .LBB4_8308
.LBB4_8307:                             ;   in Loop: Header=BB4_7984 Depth=3
	v_bfe_u32 v161, v14, 24, 3
	v_bfe_u32 v164, v14, 27, 4
	s_delay_alu instid0(VALU_DEP_2) | instskip(NEXT) | instid1(VALU_DEP_2)
	v_clz_i32_u32_e32 v162, v161
	v_cmp_eq_u32_e32 vcc_lo, 0, v164
	s_delay_alu instid0(VALU_DEP_2) | instskip(NEXT) | instid1(VALU_DEP_1)
	v_min_u32_e32 v162, 32, v162
	v_subrev_nc_u32_e32 v163, 28, v162
	v_sub_nc_u32_e32 v162, 29, v162
	s_delay_alu instid0(VALU_DEP_1) | instskip(NEXT) | instid1(VALU_DEP_1)
	v_dual_cndmask_b32 v162, v164, v162 :: v_dual_lshlrev_b32 v163, v163, v160
	v_and_b32_e32 v163, 7, v163
	s_delay_alu instid0(VALU_DEP_2) | instskip(NEXT) | instid1(VALU_DEP_2)
	v_lshl_add_u32 v162, v162, 23, 0x3b800000
	v_cndmask_b32_e32 v161, v161, v163, vcc_lo
	v_and_b32_e32 v163, 0x80000000, v14
	s_delay_alu instid0(VALU_DEP_2) | instskip(NEXT) | instid1(VALU_DEP_1)
	v_lshlrev_b32_e32 v161, 20, v161
	v_or3_b32 v161, v163, v162, v161
.LBB4_8308:                             ;   in Loop: Header=BB4_7984 Depth=3
	s_or_b32 exec_lo, exec_lo, s34
	s_mov_b32 s14, 0
	s_mov_b32 s35, exec_lo
                                        ; implicit-def: $sgpr34
	v_cmpx_lt_i16_e64 0x7f, v151
	s_xor_b32 s35, exec_lo, s35
	s_cbranch_execnz .LBB4_8626
; %bb.8309:                             ;   in Loop: Header=BB4_7984 Depth=3
	s_or_saveexec_b32 s35, s35
	v_mov_b32_e32 v162, s34
	s_xor_b32 exec_lo, exec_lo, s35
	s_cbranch_execnz .LBB4_8629
.LBB4_8310:                             ;   in Loop: Header=BB4_7984 Depth=3
	s_or_b32 exec_lo, exec_lo, s35
	s_and_saveexec_b32 s34, s14
	s_cbranch_execz .LBB4_8312
.LBB4_8311:                             ;   in Loop: Header=BB4_7984 Depth=3
	v_bfe_u32 v162, v10, 24, 3
	v_bfe_u32 v165, v10, 27, 4
	s_delay_alu instid0(VALU_DEP_2) | instskip(NEXT) | instid1(VALU_DEP_2)
	v_clz_i32_u32_e32 v163, v162
	v_cmp_eq_u32_e32 vcc_lo, 0, v165
	s_delay_alu instid0(VALU_DEP_2) | instskip(NEXT) | instid1(VALU_DEP_1)
	v_min_u32_e32 v163, 32, v163
	v_subrev_nc_u32_e32 v164, 28, v163
	v_sub_nc_u32_e32 v163, 29, v163
	s_delay_alu instid0(VALU_DEP_2) | instskip(NEXT) | instid1(VALU_DEP_1)
	v_lshlrev_b32_e32 v164, v164, v151
	v_dual_cndmask_b32 v163, v165, v163 :: v_dual_and_b32 v164, 7, v164
	s_delay_alu instid0(VALU_DEP_1) | instskip(NEXT) | instid1(VALU_DEP_2)
	v_lshl_add_u32 v163, v163, 23, 0x3b800000
	v_cndmask_b32_e32 v162, v162, v164, vcc_lo
	v_and_b32_e32 v164, 0x80000000, v10
	s_delay_alu instid0(VALU_DEP_2) | instskip(NEXT) | instid1(VALU_DEP_1)
	v_lshlrev_b32_e32 v162, 20, v162
	v_or3_b32 v162, v164, v163, v162
.LBB4_8312:                             ;   in Loop: Header=BB4_7984 Depth=3
	s_or_b32 exec_lo, exec_lo, s34
	s_delay_alu instid0(VALU_DEP_1) | instskip(SKIP_1) | instid1(VALU_DEP_1)
	v_dual_max_f32 v162, v162, v162 :: v_dual_max_f32 v161, v161, v161
	s_mov_b32 s14, 0
	v_max_f32_e32 v161, v161, v162
	s_branch .LBB4_8314
.LBB4_8313:                             ;   in Loop: Header=BB4_7984 Depth=3
	s_mov_b32 s14, -1
                                        ; implicit-def: $vgpr161
.LBB4_8314:                             ;   in Loop: Header=BB4_7984 Depth=3
	s_delay_alu instid0(SALU_CYCLE_1)
	s_and_b32 vcc_lo, exec_lo, s14
	s_cbranch_vccz .LBB4_8324
; %bb.8315:                             ;   in Loop: Header=BB4_7984 Depth=3
	s_mov_b32 s14, 0
	s_mov_b32 s35, exec_lo
                                        ; implicit-def: $sgpr34
	v_cmpx_lt_i16_e64 0x7f, v160
	s_xor_b32 s35, exec_lo, s35
	s_cbranch_execnz .LBB4_8630
; %bb.8316:                             ;   in Loop: Header=BB4_7984 Depth=3
	s_or_saveexec_b32 s35, s35
	v_mov_b32_e32 v161, s34
	s_xor_b32 exec_lo, exec_lo, s35
	s_cbranch_execnz .LBB4_8633
.LBB4_8317:                             ;   in Loop: Header=BB4_7984 Depth=3
	s_or_b32 exec_lo, exec_lo, s35
	s_and_saveexec_b32 s34, s14
	s_cbranch_execz .LBB4_8319
.LBB4_8318:                             ;   in Loop: Header=BB4_7984 Depth=3
	v_bfe_u32 v161, v14, 24, 3
	s_delay_alu instid0(VALU_DEP_1) | instskip(NEXT) | instid1(VALU_DEP_1)
	v_clz_i32_u32_e32 v162, v161
	v_min_u32_e32 v162, 32, v162
	s_delay_alu instid0(VALU_DEP_1) | instskip(SKIP_1) | instid1(VALU_DEP_2)
	v_subrev_nc_u32_e32 v163, 28, v162
	v_sub_nc_u32_e32 v162, 29, v162
	v_lshlrev_b32_e32 v160, v163, v160
	v_bfe_u32 v163, v14, 27, 4
	v_and_b32_e32 v14, 0x80000000, v14
	s_delay_alu instid0(VALU_DEP_3) | instskip(NEXT) | instid1(VALU_DEP_3)
	v_and_b32_e32 v160, 7, v160
	v_cmp_eq_u32_e32 vcc_lo, 0, v163
	v_cndmask_b32_e32 v162, v163, v162, vcc_lo
	s_delay_alu instid0(VALU_DEP_3) | instskip(NEXT) | instid1(VALU_DEP_2)
	v_cndmask_b32_e32 v160, v161, v160, vcc_lo
	v_lshl_add_u32 v161, v162, 23, 0x3b800000
	s_delay_alu instid0(VALU_DEP_2) | instskip(NEXT) | instid1(VALU_DEP_1)
	v_lshlrev_b32_e32 v160, 20, v160
	v_or3_b32 v161, v14, v161, v160
.LBB4_8319:                             ;   in Loop: Header=BB4_7984 Depth=3
	s_or_b32 exec_lo, exec_lo, s34
	s_mov_b32 s14, 0
	s_mov_b32 s35, exec_lo
                                        ; implicit-def: $sgpr34
	v_cmpx_lt_i16_e64 0x7f, v151
	s_xor_b32 s35, exec_lo, s35
	s_cbranch_execnz .LBB4_8634
; %bb.8320:                             ;   in Loop: Header=BB4_7984 Depth=3
	s_or_saveexec_b32 s35, s35
	v_mov_b32_e32 v14, s34
	s_xor_b32 exec_lo, exec_lo, s35
	s_cbranch_execnz .LBB4_8637
.LBB4_8321:                             ;   in Loop: Header=BB4_7984 Depth=3
	s_or_b32 exec_lo, exec_lo, s35
	s_and_saveexec_b32 s34, s14
	s_cbranch_execz .LBB4_8323
.LBB4_8322:                             ;   in Loop: Header=BB4_7984 Depth=3
	v_bfe_u32 v14, v10, 24, 3
	s_delay_alu instid0(VALU_DEP_1) | instskip(NEXT) | instid1(VALU_DEP_1)
	v_clz_i32_u32_e32 v160, v14
	v_min_u32_e32 v160, 32, v160
	s_delay_alu instid0(VALU_DEP_1) | instskip(SKIP_1) | instid1(VALU_DEP_2)
	v_subrev_nc_u32_e32 v162, 28, v160
	v_sub_nc_u32_e32 v160, 29, v160
	v_lshlrev_b32_e32 v151, v162, v151
	v_bfe_u32 v162, v10, 27, 4
	v_and_b32_e32 v10, 0x80000000, v10
	s_delay_alu instid0(VALU_DEP_2) | instskip(NEXT) | instid1(VALU_DEP_4)
	v_cmp_eq_u32_e32 vcc_lo, 0, v162
	v_dual_cndmask_b32 v160, v162, v160 :: v_dual_and_b32 v151, 7, v151
	s_delay_alu instid0(VALU_DEP_1) | instskip(NEXT) | instid1(VALU_DEP_2)
	v_cndmask_b32_e32 v14, v14, v151, vcc_lo
	v_lshl_add_u32 v151, v160, 23, 0x3b800000
	s_delay_alu instid0(VALU_DEP_2) | instskip(NEXT) | instid1(VALU_DEP_1)
	v_lshlrev_b32_e32 v14, 20, v14
	v_or3_b32 v14, v10, v151, v14
.LBB4_8323:                             ;   in Loop: Header=BB4_7984 Depth=3
	s_or_b32 exec_lo, exec_lo, s34
	s_delay_alu instid0(VALU_DEP_1) | instskip(SKIP_1) | instid1(VALU_DEP_1)
	v_max_f32_e32 v10, v14, v14
	v_max_f32_e32 v14, v161, v161
	v_min_f32_e32 v161, v14, v10
.LBB4_8324:                             ;   in Loop: Header=BB4_7984 Depth=3
	s_delay_alu instid0(VALU_DEP_1) | instskip(NEXT) | instid1(VALU_DEP_1)
	v_and_b32_e32 v10, 0x7f800000, v161
	v_cmp_ne_u32_e32 vcc_lo, 0x7f800000, v10
	v_mov_b32_e32 v10, 0x80
	s_and_saveexec_b32 s34, vcc_lo
	s_cbranch_execz .LBB4_8332
; %bb.8325:                             ;   in Loop: Header=BB4_7984 Depth=3
	v_mov_b32_e32 v10, 0
	s_mov_b32 s35, exec_lo
	v_cmpx_ne_u32_e32 0, v161
	s_cbranch_execz .LBB4_8331
; %bb.8326:                             ;   in Loop: Header=BB4_7984 Depth=3
	v_bfe_u32 v10, v161, 23, 8
	s_delay_alu instid0(VALU_DEP_1) | instskip(SKIP_1) | instid1(VALU_DEP_2)
	v_sub_nc_u32_e32 v151, 0x78, v10
	v_cmp_gt_u32_e32 vcc_lo, 0x79, v10
	v_dual_cndmask_b32 v151, 0, v151 :: v_dual_and_b32 v14, 0x7fffff, v161
	s_delay_alu instid0(VALU_DEP_1) | instskip(SKIP_2) | instid1(VALU_DEP_4)
	v_or_b32_e32 v160, 0x800000, v14
	v_cmp_eq_u32_e32 vcc_lo, 0, v10
	v_add_nc_u32_e32 v10, 0xffffff89, v10
	v_cndmask_b32_e64 v151, v151, 0x77, vcc_lo
	s_delay_alu instid0(VALU_DEP_4) | instskip(NEXT) | instid1(VALU_DEP_3)
	v_cndmask_b32_e32 v14, v160, v14, vcc_lo
	v_cndmask_b32_e64 v10, v10, 0xffffff8a, vcc_lo
	s_delay_alu instid0(VALU_DEP_3) | instskip(NEXT) | instid1(VALU_DEP_3)
	v_lshl_add_u32 v160, 0x100000, v151, -1
	v_lshrrev_b32_e32 v162, v151, v14
	v_lshlrev_b32_e64 v164, v151, 0x80000
	s_delay_alu instid0(VALU_DEP_4) | instskip(NEXT) | instid1(VALU_DEP_4)
	v_add_nc_u32_e32 v151, v151, v10
	v_and_b32_e32 v14, v160, v14
	s_delay_alu instid0(VALU_DEP_4) | instskip(NEXT) | instid1(VALU_DEP_2)
	v_bfe_u32 v163, v162, 20, 1
	v_cmp_eq_u32_e64 s14, v14, v164
	s_delay_alu instid0(VALU_DEP_2) | instskip(NEXT) | instid1(VALU_DEP_1)
	v_add_nc_u32_e32 v160, -1, v163
	v_cndmask_b32_e64 v14, 0, v160, s14
	v_lshrrev_b32_e32 v160, 23, v162
	s_mov_b32 s14, exec_lo
	s_delay_alu instid0(VALU_DEP_2) | instskip(NEXT) | instid1(VALU_DEP_2)
	v_add_nc_u32_e32 v14, v14, v162
	v_xor_b32_e32 v160, 1, v160
	s_delay_alu instid0(VALU_DEP_2) | instskip(NEXT) | instid1(VALU_DEP_1)
	v_and_b32_e32 v10, 0xfffff, v14
	v_add_nc_u32_e32 v14, v10, v162
                                        ; implicit-def: $vgpr10
	s_delay_alu instid0(VALU_DEP_3)
	v_cmpx_ne_u32_e64 v151, v160
	s_xor_b32 s14, exec_lo, s14
; %bb.8327:                             ;   in Loop: Header=BB4_7984 Depth=3
	s_delay_alu instid0(VALU_DEP_2) | instskip(SKIP_2) | instid1(VALU_DEP_2)
	v_cmp_lt_u32_e32 vcc_lo, 0xffffff, v14
	v_sub_nc_u32_e32 v10, v151, v160
	v_cndmask_b32_e64 v151, 0, 1, vcc_lo
	v_add_co_ci_u32_e32 v10, vcc_lo, 0, v10, vcc_lo
	s_delay_alu instid0(VALU_DEP_2)
	v_lshrrev_b32_e32 v14, v151, v14
; %bb.8328:                             ;   in Loop: Header=BB4_7984 Depth=3
	s_and_not1_saveexec_b32 s14, s14
; %bb.8329:                             ;   in Loop: Header=BB4_7984 Depth=3
	s_delay_alu instid0(VALU_DEP_1)
	v_bfe_u32 v10, v14, 23, 1
; %bb.8330:                             ;   in Loop: Header=BB4_7984 Depth=3
	s_or_b32 exec_lo, exec_lo, s14
	v_lshrrev_b32_e32 v14, 20, v14
	s_delay_alu instid0(VALU_DEP_2) | instskip(SKIP_2) | instid1(VALU_DEP_2)
	v_cmp_gt_i32_e32 vcc_lo, 16, v10
	v_lshrrev_b32_e32 v151, 24, v161
	v_min_i32_e32 v160, 15, v10
	v_dual_cndmask_b32 v14, 7, v14 :: v_dual_and_b32 v151, 0x80, v151
	s_delay_alu instid0(VALU_DEP_2) | instskip(NEXT) | instid1(VALU_DEP_2)
	v_lshlrev_b32_e32 v160, 3, v160
	v_and_b32_e32 v161, 7, v14
	v_or_b32_e32 v10, v10, v14
	s_delay_alu instid0(VALU_DEP_2) | instskip(NEXT) | instid1(VALU_DEP_2)
	v_or3_b32 v14, v160, v151, v161
	v_cmp_ne_u32_e32 vcc_lo, 0, v10
	s_delay_alu instid0(VALU_DEP_2)
	v_cndmask_b32_e32 v10, 0, v14, vcc_lo
.LBB4_8331:                             ;   in Loop: Header=BB4_7984 Depth=3
	s_or_b32 exec_lo, exec_lo, s35
.LBB4_8332:                             ;   in Loop: Header=BB4_7984 Depth=3
	s_delay_alu instid0(SALU_CYCLE_1) | instskip(NEXT) | instid1(SALU_CYCLE_1)
	s_or_b32 exec_lo, exec_lo, s34
	s_and_b32 vcc_lo, exec_lo, s31
	s_cbranch_vccz .LBB4_8342
; %bb.8333:                             ;   in Loop: Header=BB4_7984 Depth=3
	v_and_b32_e32 v151, 0xff, v15
	s_mov_b32 s14, 0
	s_mov_b32 s35, exec_lo
                                        ; implicit-def: $sgpr34
	s_delay_alu instid0(VALU_DEP_1)
	v_cmpx_lt_i16_e64 0x7f, v151
	s_xor_b32 s35, exec_lo, s35
	s_cbranch_execnz .LBB4_8638
; %bb.8334:                             ;   in Loop: Header=BB4_7984 Depth=3
	s_or_saveexec_b32 s35, s35
	v_mov_b32_e32 v14, s34
	s_xor_b32 exec_lo, exec_lo, s35
	s_cbranch_execnz .LBB4_8641
.LBB4_8335:                             ;   in Loop: Header=BB4_7984 Depth=3
	s_or_b32 exec_lo, exec_lo, s35
	s_and_saveexec_b32 s34, s14
	s_cbranch_execz .LBB4_8337
.LBB4_8336:                             ;   in Loop: Header=BB4_7984 Depth=3
	v_and_b32_e32 v14, 7, v15
	v_bfe_u32 v161, v15, 3, 4
	v_lshlrev_b32_e32 v162, 24, v15
	s_delay_alu instid0(VALU_DEP_3) | instskip(NEXT) | instid1(VALU_DEP_3)
	v_clz_i32_u32_e32 v151, v14
	v_cmp_eq_u32_e32 vcc_lo, 0, v161
	s_delay_alu instid0(VALU_DEP_2) | instskip(NEXT) | instid1(VALU_DEP_1)
	v_min_u32_e32 v151, 32, v151
	v_subrev_nc_u32_e32 v160, 28, v151
	v_sub_nc_u32_e32 v151, 29, v151
	s_delay_alu instid0(VALU_DEP_2) | instskip(NEXT) | instid1(VALU_DEP_1)
	v_lshlrev_b32_e32 v160, v160, v15
	v_dual_cndmask_b32 v151, v161, v151 :: v_dual_and_b32 v160, 7, v160
	s_delay_alu instid0(VALU_DEP_1) | instskip(NEXT) | instid1(VALU_DEP_2)
	v_lshl_add_u32 v151, v151, 23, 0x3b800000
	v_cndmask_b32_e32 v14, v14, v160, vcc_lo
	v_and_b32_e32 v160, 0x80000000, v162
	s_delay_alu instid0(VALU_DEP_2) | instskip(NEXT) | instid1(VALU_DEP_1)
	v_lshlrev_b32_e32 v14, 20, v14
	v_or3_b32 v14, v160, v151, v14
.LBB4_8337:                             ;   in Loop: Header=BB4_7984 Depth=3
	s_or_b32 exec_lo, exec_lo, s34
	v_and_b32_e32 v160, 0xff, v11
	s_mov_b32 s14, 0
	s_mov_b32 s35, exec_lo
                                        ; implicit-def: $sgpr34
	s_delay_alu instid0(VALU_DEP_1)
	v_cmpx_lt_i16_e64 0x7f, v160
	s_xor_b32 s35, exec_lo, s35
	s_cbranch_execnz .LBB4_8642
; %bb.8338:                             ;   in Loop: Header=BB4_7984 Depth=3
	s_or_saveexec_b32 s35, s35
	v_mov_b32_e32 v151, s34
	s_xor_b32 exec_lo, exec_lo, s35
	s_cbranch_execnz .LBB4_8645
.LBB4_8339:                             ;   in Loop: Header=BB4_7984 Depth=3
	s_or_b32 exec_lo, exec_lo, s35
	s_and_saveexec_b32 s34, s14
	s_cbranch_execz .LBB4_8341
.LBB4_8340:                             ;   in Loop: Header=BB4_7984 Depth=3
	v_bfe_u32 v162, v11, 3, 4
	v_lshlrev_b32_e32 v163, 24, v11
	s_delay_alu instid0(VALU_DEP_2) | instskip(SKIP_1) | instid1(VALU_DEP_1)
	v_cmp_eq_u32_e32 vcc_lo, 0, v162
	v_and_b32_e32 v151, 7, v11
	v_clz_i32_u32_e32 v160, v151
	s_delay_alu instid0(VALU_DEP_1) | instskip(NEXT) | instid1(VALU_DEP_1)
	v_min_u32_e32 v160, 32, v160
	v_subrev_nc_u32_e32 v161, 28, v160
	v_sub_nc_u32_e32 v160, 29, v160
	s_delay_alu instid0(VALU_DEP_1) | instskip(NEXT) | instid1(VALU_DEP_1)
	v_dual_cndmask_b32 v160, v162, v160 :: v_dual_lshlrev_b32 v161, v161, v11
	v_and_b32_e32 v161, 7, v161
	s_delay_alu instid0(VALU_DEP_2) | instskip(NEXT) | instid1(VALU_DEP_2)
	v_lshl_add_u32 v160, v160, 23, 0x3b800000
	v_cndmask_b32_e32 v151, v151, v161, vcc_lo
	v_and_b32_e32 v161, 0x80000000, v163
	s_delay_alu instid0(VALU_DEP_2) | instskip(NEXT) | instid1(VALU_DEP_1)
	v_lshlrev_b32_e32 v151, 20, v151
	v_or3_b32 v151, v161, v160, v151
.LBB4_8341:                             ;   in Loop: Header=BB4_7984 Depth=3
	s_or_b32 exec_lo, exec_lo, s34
	s_delay_alu instid0(VALU_DEP_1) | instskip(SKIP_1) | instid1(VALU_DEP_1)
	v_dual_max_f32 v151, v151, v151 :: v_dual_max_f32 v14, v14, v14
	s_mov_b32 s14, 0
	v_max_f32_e32 v151, v14, v151
	s_branch .LBB4_8343
.LBB4_8342:                             ;   in Loop: Header=BB4_7984 Depth=3
	s_mov_b32 s14, -1
                                        ; implicit-def: $vgpr151
.LBB4_8343:                             ;   in Loop: Header=BB4_7984 Depth=3
	s_delay_alu instid0(SALU_CYCLE_1)
	s_and_b32 vcc_lo, exec_lo, s14
	s_cbranch_vccz .LBB4_8353
; %bb.8344:                             ;   in Loop: Header=BB4_7984 Depth=3
	v_and_b32_e32 v151, 0xff, v15
	s_mov_b32 s14, 0
	s_mov_b32 s35, exec_lo
                                        ; implicit-def: $sgpr34
	s_delay_alu instid0(VALU_DEP_1)
	v_cmpx_lt_i16_e64 0x7f, v151
	s_xor_b32 s35, exec_lo, s35
	s_cbranch_execnz .LBB4_8646
; %bb.8345:                             ;   in Loop: Header=BB4_7984 Depth=3
	s_or_saveexec_b32 s35, s35
	v_mov_b32_e32 v14, s34
	s_xor_b32 exec_lo, exec_lo, s35
	s_cbranch_execnz .LBB4_8649
.LBB4_8346:                             ;   in Loop: Header=BB4_7984 Depth=3
	s_or_b32 exec_lo, exec_lo, s35
	s_and_saveexec_b32 s34, s14
	s_cbranch_execz .LBB4_8348
.LBB4_8347:                             ;   in Loop: Header=BB4_7984 Depth=3
	v_and_b32_e32 v14, 7, v15
	v_bfe_u32 v161, v15, 3, 4
	v_lshlrev_b32_e32 v162, 24, v15
	s_delay_alu instid0(VALU_DEP_3) | instskip(NEXT) | instid1(VALU_DEP_3)
	v_clz_i32_u32_e32 v151, v14
	v_cmp_eq_u32_e32 vcc_lo, 0, v161
	s_delay_alu instid0(VALU_DEP_2) | instskip(NEXT) | instid1(VALU_DEP_1)
	v_min_u32_e32 v151, 32, v151
	v_subrev_nc_u32_e32 v160, 28, v151
	v_sub_nc_u32_e32 v151, 29, v151
	s_delay_alu instid0(VALU_DEP_2) | instskip(NEXT) | instid1(VALU_DEP_1)
	v_lshlrev_b32_e32 v160, v160, v15
	v_dual_cndmask_b32 v151, v161, v151 :: v_dual_and_b32 v160, 7, v160
	s_delay_alu instid0(VALU_DEP_1) | instskip(NEXT) | instid1(VALU_DEP_2)
	v_lshl_add_u32 v151, v151, 23, 0x3b800000
	v_cndmask_b32_e32 v14, v14, v160, vcc_lo
	v_and_b32_e32 v160, 0x80000000, v162
	s_delay_alu instid0(VALU_DEP_2) | instskip(NEXT) | instid1(VALU_DEP_1)
	v_lshlrev_b32_e32 v14, 20, v14
	v_or3_b32 v14, v160, v151, v14
.LBB4_8348:                             ;   in Loop: Header=BB4_7984 Depth=3
	s_or_b32 exec_lo, exec_lo, s34
	v_and_b32_e32 v160, 0xff, v11
	s_mov_b32 s14, 0
	s_mov_b32 s35, exec_lo
                                        ; implicit-def: $sgpr34
	s_delay_alu instid0(VALU_DEP_1)
	v_cmpx_lt_i16_e64 0x7f, v160
	s_xor_b32 s35, exec_lo, s35
	s_cbranch_execnz .LBB4_8650
; %bb.8349:                             ;   in Loop: Header=BB4_7984 Depth=3
	s_or_saveexec_b32 s35, s35
	v_mov_b32_e32 v151, s34
	s_xor_b32 exec_lo, exec_lo, s35
	s_cbranch_execnz .LBB4_8653
.LBB4_8350:                             ;   in Loop: Header=BB4_7984 Depth=3
	s_or_b32 exec_lo, exec_lo, s35
	s_and_saveexec_b32 s34, s14
	s_cbranch_execz .LBB4_8352
.LBB4_8351:                             ;   in Loop: Header=BB4_7984 Depth=3
	v_bfe_u32 v162, v11, 3, 4
	v_lshlrev_b32_e32 v163, 24, v11
	s_delay_alu instid0(VALU_DEP_2) | instskip(SKIP_1) | instid1(VALU_DEP_1)
	v_cmp_eq_u32_e32 vcc_lo, 0, v162
	v_and_b32_e32 v151, 7, v11
	v_clz_i32_u32_e32 v160, v151
	s_delay_alu instid0(VALU_DEP_1) | instskip(NEXT) | instid1(VALU_DEP_1)
	v_min_u32_e32 v160, 32, v160
	v_subrev_nc_u32_e32 v161, 28, v160
	v_sub_nc_u32_e32 v160, 29, v160
	s_delay_alu instid0(VALU_DEP_1) | instskip(NEXT) | instid1(VALU_DEP_1)
	v_dual_cndmask_b32 v160, v162, v160 :: v_dual_lshlrev_b32 v161, v161, v11
	v_and_b32_e32 v161, 7, v161
	s_delay_alu instid0(VALU_DEP_2) | instskip(NEXT) | instid1(VALU_DEP_2)
	v_lshl_add_u32 v160, v160, 23, 0x3b800000
	v_cndmask_b32_e32 v151, v151, v161, vcc_lo
	v_and_b32_e32 v161, 0x80000000, v163
	s_delay_alu instid0(VALU_DEP_2) | instskip(NEXT) | instid1(VALU_DEP_1)
	v_lshlrev_b32_e32 v151, 20, v151
	v_or3_b32 v151, v161, v160, v151
.LBB4_8352:                             ;   in Loop: Header=BB4_7984 Depth=3
	s_or_b32 exec_lo, exec_lo, s34
	s_delay_alu instid0(VALU_DEP_1) | instskip(NEXT) | instid1(VALU_DEP_1)
	v_dual_max_f32 v151, v151, v151 :: v_dual_max_f32 v14, v14, v14
	v_min_f32_e32 v151, v14, v151
.LBB4_8353:                             ;   in Loop: Header=BB4_7984 Depth=3
	s_delay_alu instid0(VALU_DEP_1) | instskip(NEXT) | instid1(VALU_DEP_1)
	v_and_b32_e32 v14, 0x7f800000, v151
	v_cmp_ne_u32_e32 vcc_lo, 0x7f800000, v14
	v_mov_b32_e32 v14, 0x80
	s_and_saveexec_b32 s34, vcc_lo
	s_cbranch_execz .LBB4_8361
; %bb.8354:                             ;   in Loop: Header=BB4_7984 Depth=3
	v_mov_b32_e32 v14, 0
	s_mov_b32 s35, exec_lo
	v_cmpx_ne_u32_e32 0, v151
	s_cbranch_execz .LBB4_8360
; %bb.8355:                             ;   in Loop: Header=BB4_7984 Depth=3
	v_bfe_u32 v14, v151, 23, 8
	s_delay_alu instid0(VALU_DEP_1) | instskip(SKIP_1) | instid1(VALU_DEP_2)
	v_sub_nc_u32_e32 v161, 0x78, v14
	v_cmp_gt_u32_e32 vcc_lo, 0x79, v14
	v_dual_cndmask_b32 v161, 0, v161 :: v_dual_and_b32 v160, 0x7fffff, v151
	s_delay_alu instid0(VALU_DEP_1) | instskip(SKIP_2) | instid1(VALU_DEP_4)
	v_or_b32_e32 v162, 0x800000, v160
	v_cmp_eq_u32_e32 vcc_lo, 0, v14
	v_add_nc_u32_e32 v14, 0xffffff89, v14
	v_cndmask_b32_e64 v161, v161, 0x77, vcc_lo
	s_delay_alu instid0(VALU_DEP_2) | instskip(SKIP_1) | instid1(VALU_DEP_3)
	v_cndmask_b32_e64 v14, v14, 0xffffff8a, vcc_lo
	v_cndmask_b32_e32 v160, v162, v160, vcc_lo
	v_lshl_add_u32 v162, 0x100000, v161, -1
	v_lshlrev_b32_e64 v165, v161, 0x80000
	s_delay_alu instid0(VALU_DEP_3) | instskip(SKIP_1) | instid1(VALU_DEP_4)
	v_lshrrev_b32_e32 v163, v161, v160
	v_add_nc_u32_e32 v161, v161, v14
	v_and_b32_e32 v160, v162, v160
	s_delay_alu instid0(VALU_DEP_3) | instskip(NEXT) | instid1(VALU_DEP_2)
	v_bfe_u32 v164, v163, 20, 1
	v_cmp_eq_u32_e64 s14, v160, v165
	s_delay_alu instid0(VALU_DEP_2) | instskip(NEXT) | instid1(VALU_DEP_1)
	v_add_nc_u32_e32 v162, -1, v164
	v_cndmask_b32_e64 v160, 0, v162, s14
	v_lshrrev_b32_e32 v162, 23, v163
	s_mov_b32 s14, exec_lo
	s_delay_alu instid0(VALU_DEP_2) | instskip(NEXT) | instid1(VALU_DEP_2)
	v_add_nc_u32_e32 v160, v160, v163
	v_xor_b32_e32 v162, 1, v162
	s_delay_alu instid0(VALU_DEP_2) | instskip(NEXT) | instid1(VALU_DEP_1)
	v_and_b32_e32 v14, 0xfffff, v160
	v_add_nc_u32_e32 v160, v14, v163
                                        ; implicit-def: $vgpr14
	s_delay_alu instid0(VALU_DEP_3)
	v_cmpx_ne_u32_e64 v161, v162
	s_xor_b32 s14, exec_lo, s14
; %bb.8356:                             ;   in Loop: Header=BB4_7984 Depth=3
	s_delay_alu instid0(VALU_DEP_2) | instskip(SKIP_2) | instid1(VALU_DEP_2)
	v_cmp_lt_u32_e32 vcc_lo, 0xffffff, v160
	v_sub_nc_u32_e32 v14, v161, v162
	v_cndmask_b32_e64 v161, 0, 1, vcc_lo
	v_add_co_ci_u32_e32 v14, vcc_lo, 0, v14, vcc_lo
	s_delay_alu instid0(VALU_DEP_2)
	v_lshrrev_b32_e32 v160, v161, v160
; %bb.8357:                             ;   in Loop: Header=BB4_7984 Depth=3
	s_and_not1_saveexec_b32 s14, s14
; %bb.8358:                             ;   in Loop: Header=BB4_7984 Depth=3
	s_delay_alu instid0(VALU_DEP_1)
	v_bfe_u32 v14, v160, 23, 1
; %bb.8359:                             ;   in Loop: Header=BB4_7984 Depth=3
	s_or_b32 exec_lo, exec_lo, s14
	v_lshrrev_b32_e32 v160, 20, v160
	s_delay_alu instid0(VALU_DEP_2) | instskip(SKIP_2) | instid1(VALU_DEP_2)
	v_cmp_gt_i32_e32 vcc_lo, 16, v14
	v_lshrrev_b32_e32 v151, 24, v151
	v_min_i32_e32 v161, 15, v14
	v_dual_cndmask_b32 v160, 7, v160 :: v_dual_and_b32 v151, 0x80, v151
	s_delay_alu instid0(VALU_DEP_1) | instskip(SKIP_1) | instid1(VALU_DEP_2)
	v_or_b32_e32 v14, v14, v160
	v_and_b32_e32 v162, 7, v160
	v_cmp_ne_u32_e32 vcc_lo, 0, v14
	v_lshlrev_b32_e32 v161, 3, v161
	s_delay_alu instid0(VALU_DEP_1) | instskip(NEXT) | instid1(VALU_DEP_1)
	v_or3_b32 v151, v161, v151, v162
	v_cndmask_b32_e32 v14, 0, v151, vcc_lo
.LBB4_8360:                             ;   in Loop: Header=BB4_7984 Depth=3
	s_or_b32 exec_lo, exec_lo, s35
.LBB4_8361:                             ;   in Loop: Header=BB4_7984 Depth=3
	s_delay_alu instid0(SALU_CYCLE_1)
	s_or_b32 exec_lo, exec_lo, s34
	v_lshrrev_b16 v160, 8, v15
	v_lshrrev_b16 v151, 8, v11
	s_and_b32 vcc_lo, exec_lo, s31
	s_cbranch_vccz .LBB4_8371
; %bb.8362:                             ;   in Loop: Header=BB4_7984 Depth=3
	s_mov_b32 s14, 0
	s_mov_b32 s35, exec_lo
                                        ; implicit-def: $sgpr34
	v_cmpx_lt_i16_e64 0x7f, v160
	s_xor_b32 s35, exec_lo, s35
	s_cbranch_execnz .LBB4_8654
; %bb.8363:                             ;   in Loop: Header=BB4_7984 Depth=3
	s_or_saveexec_b32 s35, s35
	v_mov_b32_e32 v161, s34
	s_xor_b32 exec_lo, exec_lo, s35
	s_cbranch_execnz .LBB4_8657
.LBB4_8364:                             ;   in Loop: Header=BB4_7984 Depth=3
	s_or_b32 exec_lo, exec_lo, s35
	s_and_saveexec_b32 s34, s14
	s_cbranch_execz .LBB4_8366
.LBB4_8365:                             ;   in Loop: Header=BB4_7984 Depth=3
	v_and_b32_e32 v161, 0xffff, v160
	s_delay_alu instid0(VALU_DEP_1) | instskip(NEXT) | instid1(VALU_DEP_1)
	v_and_b32_e32 v162, 7, v161
	v_clz_i32_u32_e32 v163, v162
	s_delay_alu instid0(VALU_DEP_1) | instskip(NEXT) | instid1(VALU_DEP_1)
	v_min_u32_e32 v163, 32, v163
	v_subrev_nc_u32_e32 v164, 28, v163
	v_sub_nc_u32_e32 v163, 29, v163
	s_delay_alu instid0(VALU_DEP_2) | instskip(SKIP_1) | instid1(VALU_DEP_2)
	v_lshlrev_b32_e32 v164, v164, v161
	v_bfe_u32 v161, v161, 3, 4
	v_and_b32_e32 v164, 7, v164
	s_delay_alu instid0(VALU_DEP_2) | instskip(SKIP_1) | instid1(VALU_DEP_3)
	v_cmp_eq_u32_e32 vcc_lo, 0, v161
	v_cndmask_b32_e32 v161, v161, v163, vcc_lo
	v_dual_cndmask_b32 v162, v162, v164 :: v_dual_lshlrev_b32 v165, 16, v15
	s_delay_alu instid0(VALU_DEP_2) | instskip(NEXT) | instid1(VALU_DEP_2)
	v_lshl_add_u32 v161, v161, 23, 0x3b800000
	v_and_b32_e32 v163, 0x80000000, v165
	s_delay_alu instid0(VALU_DEP_3) | instskip(NEXT) | instid1(VALU_DEP_1)
	v_lshlrev_b32_e32 v162, 20, v162
	v_or3_b32 v161, v163, v161, v162
.LBB4_8366:                             ;   in Loop: Header=BB4_7984 Depth=3
	s_or_b32 exec_lo, exec_lo, s34
	s_mov_b32 s14, 0
	s_mov_b32 s35, exec_lo
                                        ; implicit-def: $sgpr34
	v_cmpx_lt_i16_e64 0x7f, v151
	s_xor_b32 s35, exec_lo, s35
	s_cbranch_execnz .LBB4_8658
; %bb.8367:                             ;   in Loop: Header=BB4_7984 Depth=3
	s_or_saveexec_b32 s35, s35
	v_mov_b32_e32 v162, s34
	s_xor_b32 exec_lo, exec_lo, s35
	s_cbranch_execnz .LBB4_8661
.LBB4_8368:                             ;   in Loop: Header=BB4_7984 Depth=3
	s_or_b32 exec_lo, exec_lo, s35
	s_and_saveexec_b32 s34, s14
	s_cbranch_execz .LBB4_8370
.LBB4_8369:                             ;   in Loop: Header=BB4_7984 Depth=3
	v_and_b32_e32 v162, 0xffff, v151
	v_lshlrev_b32_e32 v166, 16, v11
	s_delay_alu instid0(VALU_DEP_2) | instskip(NEXT) | instid1(VALU_DEP_1)
	v_and_b32_e32 v163, 7, v162
	v_clz_i32_u32_e32 v164, v163
	s_delay_alu instid0(VALU_DEP_1) | instskip(NEXT) | instid1(VALU_DEP_1)
	v_min_u32_e32 v164, 32, v164
	v_subrev_nc_u32_e32 v165, 28, v164
	v_sub_nc_u32_e32 v164, 29, v164
	s_delay_alu instid0(VALU_DEP_2) | instskip(SKIP_1) | instid1(VALU_DEP_2)
	v_lshlrev_b32_e32 v165, v165, v162
	v_bfe_u32 v162, v162, 3, 4
	v_and_b32_e32 v165, 7, v165
	s_delay_alu instid0(VALU_DEP_2) | instskip(NEXT) | instid1(VALU_DEP_2)
	v_cmp_eq_u32_e32 vcc_lo, 0, v162
	v_dual_cndmask_b32 v162, v162, v164 :: v_dual_cndmask_b32 v163, v163, v165
	v_and_b32_e32 v164, 0x80000000, v166
	s_delay_alu instid0(VALU_DEP_2) | instskip(NEXT) | instid1(VALU_DEP_3)
	v_lshl_add_u32 v162, v162, 23, 0x3b800000
	v_lshlrev_b32_e32 v163, 20, v163
	s_delay_alu instid0(VALU_DEP_1)
	v_or3_b32 v162, v164, v162, v163
.LBB4_8370:                             ;   in Loop: Header=BB4_7984 Depth=3
	s_or_b32 exec_lo, exec_lo, s34
	s_delay_alu instid0(VALU_DEP_1) | instskip(SKIP_1) | instid1(VALU_DEP_1)
	v_dual_max_f32 v162, v162, v162 :: v_dual_max_f32 v161, v161, v161
	s_mov_b32 s14, 0
	v_max_f32_e32 v161, v161, v162
	s_branch .LBB4_8372
.LBB4_8371:                             ;   in Loop: Header=BB4_7984 Depth=3
	s_mov_b32 s14, -1
                                        ; implicit-def: $vgpr161
.LBB4_8372:                             ;   in Loop: Header=BB4_7984 Depth=3
	s_delay_alu instid0(SALU_CYCLE_1)
	s_and_b32 vcc_lo, exec_lo, s14
	s_cbranch_vccz .LBB4_8382
; %bb.8373:                             ;   in Loop: Header=BB4_7984 Depth=3
	s_mov_b32 s14, 0
	s_mov_b32 s35, exec_lo
                                        ; implicit-def: $sgpr34
	v_cmpx_lt_i16_e64 0x7f, v160
	s_xor_b32 s35, exec_lo, s35
	s_cbranch_execnz .LBB4_8662
; %bb.8374:                             ;   in Loop: Header=BB4_7984 Depth=3
	s_or_saveexec_b32 s35, s35
	v_mov_b32_e32 v161, s34
	s_xor_b32 exec_lo, exec_lo, s35
	s_cbranch_execnz .LBB4_8665
.LBB4_8375:                             ;   in Loop: Header=BB4_7984 Depth=3
	s_or_b32 exec_lo, exec_lo, s35
	s_and_saveexec_b32 s34, s14
	s_cbranch_execz .LBB4_8377
.LBB4_8376:                             ;   in Loop: Header=BB4_7984 Depth=3
	v_and_b32_e32 v160, 0xffff, v160
	v_lshlrev_b32_e32 v164, 16, v15
	s_delay_alu instid0(VALU_DEP_2) | instskip(NEXT) | instid1(VALU_DEP_1)
	v_and_b32_e32 v161, 7, v160
	v_clz_i32_u32_e32 v162, v161
	s_delay_alu instid0(VALU_DEP_1) | instskip(NEXT) | instid1(VALU_DEP_1)
	v_min_u32_e32 v162, 32, v162
	v_subrev_nc_u32_e32 v163, 28, v162
	v_sub_nc_u32_e32 v162, 29, v162
	s_delay_alu instid0(VALU_DEP_2) | instskip(SKIP_1) | instid1(VALU_DEP_2)
	v_lshlrev_b32_e32 v163, v163, v160
	v_bfe_u32 v160, v160, 3, 4
	v_and_b32_e32 v163, 7, v163
	s_delay_alu instid0(VALU_DEP_2) | instskip(NEXT) | instid1(VALU_DEP_2)
	v_cmp_eq_u32_e32 vcc_lo, 0, v160
	v_dual_cndmask_b32 v160, v160, v162 :: v_dual_cndmask_b32 v161, v161, v163
	v_and_b32_e32 v162, 0x80000000, v164
	s_delay_alu instid0(VALU_DEP_2) | instskip(NEXT) | instid1(VALU_DEP_3)
	v_lshl_add_u32 v160, v160, 23, 0x3b800000
	v_lshlrev_b32_e32 v161, 20, v161
	s_delay_alu instid0(VALU_DEP_1)
	v_or3_b32 v161, v162, v160, v161
.LBB4_8377:                             ;   in Loop: Header=BB4_7984 Depth=3
	s_or_b32 exec_lo, exec_lo, s34
	s_mov_b32 s14, 0
	s_mov_b32 s35, exec_lo
                                        ; implicit-def: $sgpr34
	v_cmpx_lt_i16_e64 0x7f, v151
	s_xor_b32 s35, exec_lo, s35
	s_cbranch_execnz .LBB4_8666
; %bb.8378:                             ;   in Loop: Header=BB4_7984 Depth=3
	s_or_saveexec_b32 s35, s35
	v_mov_b32_e32 v160, s34
	s_xor_b32 exec_lo, exec_lo, s35
	s_cbranch_execnz .LBB4_8669
.LBB4_8379:                             ;   in Loop: Header=BB4_7984 Depth=3
	s_or_b32 exec_lo, exec_lo, s35
	s_and_saveexec_b32 s34, s14
	s_cbranch_execz .LBB4_8381
.LBB4_8380:                             ;   in Loop: Header=BB4_7984 Depth=3
	v_and_b32_e32 v151, 0xffff, v151
	v_lshlrev_b32_e32 v164, 16, v11
	s_delay_alu instid0(VALU_DEP_2) | instskip(NEXT) | instid1(VALU_DEP_1)
	v_and_b32_e32 v160, 7, v151
	v_clz_i32_u32_e32 v162, v160
	s_delay_alu instid0(VALU_DEP_1) | instskip(NEXT) | instid1(VALU_DEP_1)
	v_min_u32_e32 v162, 32, v162
	v_subrev_nc_u32_e32 v163, 28, v162
	v_sub_nc_u32_e32 v162, 29, v162
	s_delay_alu instid0(VALU_DEP_2) | instskip(SKIP_1) | instid1(VALU_DEP_2)
	v_lshlrev_b32_e32 v163, v163, v151
	v_bfe_u32 v151, v151, 3, 4
	v_and_b32_e32 v163, 7, v163
	s_delay_alu instid0(VALU_DEP_2) | instskip(NEXT) | instid1(VALU_DEP_2)
	v_cmp_eq_u32_e32 vcc_lo, 0, v151
	v_dual_cndmask_b32 v151, v151, v162 :: v_dual_cndmask_b32 v160, v160, v163
	v_and_b32_e32 v162, 0x80000000, v164
	s_delay_alu instid0(VALU_DEP_2) | instskip(NEXT) | instid1(VALU_DEP_3)
	v_lshl_add_u32 v151, v151, 23, 0x3b800000
	v_lshlrev_b32_e32 v160, 20, v160
	s_delay_alu instid0(VALU_DEP_1)
	v_or3_b32 v160, v162, v151, v160
.LBB4_8381:                             ;   in Loop: Header=BB4_7984 Depth=3
	s_or_b32 exec_lo, exec_lo, s34
	s_delay_alu instid0(VALU_DEP_1) | instskip(NEXT) | instid1(VALU_DEP_1)
	v_dual_max_f32 v151, v160, v160 :: v_dual_max_f32 v160, v161, v161
	v_min_f32_e32 v161, v160, v151
.LBB4_8382:                             ;   in Loop: Header=BB4_7984 Depth=3
	s_delay_alu instid0(VALU_DEP_1) | instskip(NEXT) | instid1(VALU_DEP_1)
	v_and_b32_e32 v151, 0x7f800000, v161
	v_cmp_ne_u32_e32 vcc_lo, 0x7f800000, v151
	v_mov_b32_e32 v151, 0x80
	s_and_saveexec_b32 s34, vcc_lo
	s_cbranch_execz .LBB4_8390
; %bb.8383:                             ;   in Loop: Header=BB4_7984 Depth=3
	v_mov_b32_e32 v151, 0
	s_mov_b32 s35, exec_lo
	v_cmpx_ne_u32_e32 0, v161
	s_cbranch_execz .LBB4_8389
; %bb.8384:                             ;   in Loop: Header=BB4_7984 Depth=3
	v_bfe_u32 v151, v161, 23, 8
	v_and_b32_e32 v160, 0x7fffff, v161
	s_delay_alu instid0(VALU_DEP_2) | instskip(SKIP_1) | instid1(VALU_DEP_3)
	v_sub_nc_u32_e32 v162, 0x78, v151
	v_cmp_gt_u32_e32 vcc_lo, 0x79, v151
	v_or_b32_e32 v163, 0x800000, v160
	s_delay_alu instid0(VALU_DEP_3) | instskip(SKIP_2) | instid1(VALU_DEP_3)
	v_cndmask_b32_e32 v162, 0, v162, vcc_lo
	v_cmp_eq_u32_e32 vcc_lo, 0, v151
	v_add_nc_u32_e32 v151, 0xffffff89, v151
	v_cndmask_b32_e64 v162, v162, 0x77, vcc_lo
	v_cndmask_b32_e32 v160, v163, v160, vcc_lo
	s_delay_alu instid0(VALU_DEP_3) | instskip(NEXT) | instid1(VALU_DEP_3)
	v_cndmask_b32_e64 v151, v151, 0xffffff8a, vcc_lo
	v_lshl_add_u32 v163, 0x100000, v162, -1
	s_delay_alu instid0(VALU_DEP_3) | instskip(SKIP_1) | instid1(VALU_DEP_4)
	v_lshrrev_b32_e32 v164, v162, v160
	v_lshlrev_b32_e64 v166, v162, 0x80000
	v_add_nc_u32_e32 v162, v162, v151
	s_delay_alu instid0(VALU_DEP_4) | instskip(NEXT) | instid1(VALU_DEP_4)
	v_and_b32_e32 v160, v163, v160
	v_bfe_u32 v165, v164, 20, 1
	s_delay_alu instid0(VALU_DEP_2) | instskip(NEXT) | instid1(VALU_DEP_2)
	v_cmp_eq_u32_e64 s14, v160, v166
	v_add_nc_u32_e32 v163, -1, v165
	s_delay_alu instid0(VALU_DEP_1) | instskip(SKIP_2) | instid1(VALU_DEP_2)
	v_cndmask_b32_e64 v160, 0, v163, s14
	v_lshrrev_b32_e32 v163, 23, v164
	s_mov_b32 s14, exec_lo
	v_add_nc_u32_e32 v160, v160, v164
	s_delay_alu instid0(VALU_DEP_2) | instskip(NEXT) | instid1(VALU_DEP_2)
	v_xor_b32_e32 v163, 1, v163
	v_and_b32_e32 v151, 0xfffff, v160
	s_delay_alu instid0(VALU_DEP_1) | instskip(NEXT) | instid1(VALU_DEP_3)
	v_add_nc_u32_e32 v160, v151, v164
                                        ; implicit-def: $vgpr151
	v_cmpx_ne_u32_e64 v162, v163
	s_xor_b32 s14, exec_lo, s14
; %bb.8385:                             ;   in Loop: Header=BB4_7984 Depth=3
	s_delay_alu instid0(VALU_DEP_2) | instskip(SKIP_2) | instid1(VALU_DEP_2)
	v_cmp_lt_u32_e32 vcc_lo, 0xffffff, v160
	v_sub_nc_u32_e32 v151, v162, v163
	v_cndmask_b32_e64 v162, 0, 1, vcc_lo
	v_add_co_ci_u32_e32 v151, vcc_lo, 0, v151, vcc_lo
	s_delay_alu instid0(VALU_DEP_2)
	v_lshrrev_b32_e32 v160, v162, v160
; %bb.8386:                             ;   in Loop: Header=BB4_7984 Depth=3
	s_and_not1_saveexec_b32 s14, s14
; %bb.8387:                             ;   in Loop: Header=BB4_7984 Depth=3
	s_delay_alu instid0(VALU_DEP_1)
	v_bfe_u32 v151, v160, 23, 1
; %bb.8388:                             ;   in Loop: Header=BB4_7984 Depth=3
	s_or_b32 exec_lo, exec_lo, s14
	v_lshrrev_b32_e32 v160, 20, v160
	s_delay_alu instid0(VALU_DEP_2) | instskip(SKIP_2) | instid1(VALU_DEP_2)
	v_cmp_gt_i32_e32 vcc_lo, 16, v151
	v_lshrrev_b32_e32 v161, 24, v161
	v_min_i32_e32 v162, 15, v151
	v_dual_cndmask_b32 v160, 7, v160 :: v_dual_and_b32 v161, 0x80, v161
	s_delay_alu instid0(VALU_DEP_1) | instskip(SKIP_1) | instid1(VALU_DEP_2)
	v_or_b32_e32 v151, v151, v160
	v_and_b32_e32 v163, 7, v160
	v_cmp_ne_u32_e32 vcc_lo, 0, v151
	v_lshlrev_b32_e32 v162, 3, v162
	s_delay_alu instid0(VALU_DEP_1) | instskip(NEXT) | instid1(VALU_DEP_1)
	v_or3_b32 v160, v162, v161, v163
	v_cndmask_b32_e32 v151, 0, v160, vcc_lo
.LBB4_8389:                             ;   in Loop: Header=BB4_7984 Depth=3
	s_or_b32 exec_lo, exec_lo, s35
.LBB4_8390:                             ;   in Loop: Header=BB4_7984 Depth=3
	s_delay_alu instid0(SALU_CYCLE_1)
	s_or_b32 exec_lo, exec_lo, s34
	v_lshrrev_b32_e32 v161, 16, v15
	v_lshrrev_b32_e32 v160, 16, v11
	s_and_b32 vcc_lo, exec_lo, s31
	s_cbranch_vccz .LBB4_8400
; %bb.8391:                             ;   in Loop: Header=BB4_7984 Depth=3
	s_delay_alu instid0(VALU_DEP_2) | instskip(SKIP_2) | instid1(VALU_DEP_1)
	v_and_b32_e32 v163, 0xff, v161
	s_mov_b32 s14, 0
	s_mov_b32 s35, exec_lo
                                        ; implicit-def: $sgpr34
	v_cmpx_lt_i16_e64 0x7f, v163
	s_xor_b32 s35, exec_lo, s35
	s_cbranch_execnz .LBB4_8670
; %bb.8392:                             ;   in Loop: Header=BB4_7984 Depth=3
	s_or_saveexec_b32 s35, s35
	v_mov_b32_e32 v162, s34
	s_xor_b32 exec_lo, exec_lo, s35
	s_cbranch_execnz .LBB4_8673
.LBB4_8393:                             ;   in Loop: Header=BB4_7984 Depth=3
	s_or_b32 exec_lo, exec_lo, s35
	s_and_saveexec_b32 s34, s14
	s_cbranch_execz .LBB4_8395
.LBB4_8394:                             ;   in Loop: Header=BB4_7984 Depth=3
	v_bfe_u32 v162, v15, 16, 3
	v_bfe_u32 v165, v15, 19, 4
	v_lshlrev_b32_e32 v166, 24, v161
	s_delay_alu instid0(VALU_DEP_3) | instskip(NEXT) | instid1(VALU_DEP_3)
	v_clz_i32_u32_e32 v163, v162
	v_cmp_eq_u32_e32 vcc_lo, 0, v165
	s_delay_alu instid0(VALU_DEP_2) | instskip(NEXT) | instid1(VALU_DEP_1)
	v_min_u32_e32 v163, 32, v163
	v_subrev_nc_u32_e32 v164, 28, v163
	v_sub_nc_u32_e32 v163, 29, v163
	s_delay_alu instid0(VALU_DEP_1) | instskip(NEXT) | instid1(VALU_DEP_1)
	v_dual_cndmask_b32 v163, v165, v163 :: v_dual_lshlrev_b32 v164, v164, v161
	v_and_b32_e32 v164, 7, v164
	s_delay_alu instid0(VALU_DEP_2) | instskip(NEXT) | instid1(VALU_DEP_2)
	v_lshl_add_u32 v163, v163, 23, 0x3b800000
	v_cndmask_b32_e32 v162, v162, v164, vcc_lo
	v_and_b32_e32 v164, 0x80000000, v166
	s_delay_alu instid0(VALU_DEP_2) | instskip(NEXT) | instid1(VALU_DEP_1)
	v_lshlrev_b32_e32 v162, 20, v162
	v_or3_b32 v162, v164, v163, v162
.LBB4_8395:                             ;   in Loop: Header=BB4_7984 Depth=3
	s_or_b32 exec_lo, exec_lo, s34
	v_and_b32_e32 v164, 0xff, v160
	s_mov_b32 s14, 0
	s_mov_b32 s35, exec_lo
                                        ; implicit-def: $sgpr34
	s_delay_alu instid0(VALU_DEP_1)
	v_cmpx_lt_i16_e64 0x7f, v164
	s_xor_b32 s35, exec_lo, s35
	s_cbranch_execnz .LBB4_8674
; %bb.8396:                             ;   in Loop: Header=BB4_7984 Depth=3
	s_or_saveexec_b32 s35, s35
	v_mov_b32_e32 v163, s34
	s_xor_b32 exec_lo, exec_lo, s35
	s_cbranch_execnz .LBB4_8677
.LBB4_8397:                             ;   in Loop: Header=BB4_7984 Depth=3
	s_or_b32 exec_lo, exec_lo, s35
	s_and_saveexec_b32 s34, s14
	s_cbranch_execz .LBB4_8399
.LBB4_8398:                             ;   in Loop: Header=BB4_7984 Depth=3
	v_bfe_u32 v163, v11, 16, 3
	v_bfe_u32 v166, v11, 19, 4
	v_lshlrev_b32_e32 v167, 24, v160
	s_delay_alu instid0(VALU_DEP_3) | instskip(NEXT) | instid1(VALU_DEP_3)
	v_clz_i32_u32_e32 v164, v163
	v_cmp_eq_u32_e32 vcc_lo, 0, v166
	s_delay_alu instid0(VALU_DEP_2) | instskip(NEXT) | instid1(VALU_DEP_1)
	v_min_u32_e32 v164, 32, v164
	v_subrev_nc_u32_e32 v165, 28, v164
	v_sub_nc_u32_e32 v164, 29, v164
	s_delay_alu instid0(VALU_DEP_2) | instskip(NEXT) | instid1(VALU_DEP_1)
	v_lshlrev_b32_e32 v165, v165, v160
	v_dual_cndmask_b32 v164, v166, v164 :: v_dual_and_b32 v165, 7, v165
	s_delay_alu instid0(VALU_DEP_1) | instskip(NEXT) | instid1(VALU_DEP_2)
	v_lshl_add_u32 v164, v164, 23, 0x3b800000
	v_cndmask_b32_e32 v163, v163, v165, vcc_lo
	v_and_b32_e32 v165, 0x80000000, v167
	s_delay_alu instid0(VALU_DEP_2) | instskip(NEXT) | instid1(VALU_DEP_1)
	v_lshlrev_b32_e32 v163, 20, v163
	v_or3_b32 v163, v165, v164, v163
.LBB4_8399:                             ;   in Loop: Header=BB4_7984 Depth=3
	s_or_b32 exec_lo, exec_lo, s34
	s_delay_alu instid0(VALU_DEP_1) | instskip(SKIP_1) | instid1(VALU_DEP_1)
	v_dual_max_f32 v163, v163, v163 :: v_dual_max_f32 v162, v162, v162
	s_mov_b32 s14, 0
	v_max_f32_e32 v162, v162, v163
	s_branch .LBB4_8401
.LBB4_8400:                             ;   in Loop: Header=BB4_7984 Depth=3
	s_mov_b32 s14, -1
                                        ; implicit-def: $vgpr162
.LBB4_8401:                             ;   in Loop: Header=BB4_7984 Depth=3
	s_delay_alu instid0(SALU_CYCLE_1)
	s_and_b32 vcc_lo, exec_lo, s14
	s_cbranch_vccz .LBB4_8411
; %bb.8402:                             ;   in Loop: Header=BB4_7984 Depth=3
	v_and_b32_e32 v163, 0xff, v161
	s_mov_b32 s14, 0
	s_mov_b32 s35, exec_lo
                                        ; implicit-def: $sgpr34
	s_delay_alu instid0(VALU_DEP_1)
	v_cmpx_lt_i16_e64 0x7f, v163
	s_xor_b32 s35, exec_lo, s35
	s_cbranch_execnz .LBB4_8678
; %bb.8403:                             ;   in Loop: Header=BB4_7984 Depth=3
	s_or_saveexec_b32 s35, s35
	v_mov_b32_e32 v162, s34
	s_xor_b32 exec_lo, exec_lo, s35
	s_cbranch_execnz .LBB4_8681
.LBB4_8404:                             ;   in Loop: Header=BB4_7984 Depth=3
	s_or_b32 exec_lo, exec_lo, s35
	s_and_saveexec_b32 s34, s14
	s_cbranch_execz .LBB4_8406
.LBB4_8405:                             ;   in Loop: Header=BB4_7984 Depth=3
	v_bfe_u32 v162, v15, 16, 3
	v_bfe_u32 v165, v15, 19, 4
	s_delay_alu instid0(VALU_DEP_2) | instskip(NEXT) | instid1(VALU_DEP_2)
	v_clz_i32_u32_e32 v163, v162
	v_cmp_eq_u32_e32 vcc_lo, 0, v165
	s_delay_alu instid0(VALU_DEP_2) | instskip(NEXT) | instid1(VALU_DEP_1)
	v_min_u32_e32 v163, 32, v163
	v_subrev_nc_u32_e32 v164, 28, v163
	v_sub_nc_u32_e32 v163, 29, v163
	s_delay_alu instid0(VALU_DEP_1) | instskip(NEXT) | instid1(VALU_DEP_1)
	v_dual_cndmask_b32 v163, v165, v163 :: v_dual_lshlrev_b32 v164, v164, v161
	v_and_b32_e32 v164, 7, v164
	v_lshlrev_b32_e32 v161, 24, v161
	s_delay_alu instid0(VALU_DEP_3) | instskip(NEXT) | instid1(VALU_DEP_2)
	v_lshl_add_u32 v163, v163, 23, 0x3b800000
	v_dual_cndmask_b32 v162, v162, v164 :: v_dual_and_b32 v161, 0x80000000, v161
	s_delay_alu instid0(VALU_DEP_1) | instskip(NEXT) | instid1(VALU_DEP_1)
	v_lshlrev_b32_e32 v162, 20, v162
	v_or3_b32 v162, v161, v163, v162
.LBB4_8406:                             ;   in Loop: Header=BB4_7984 Depth=3
	s_or_b32 exec_lo, exec_lo, s34
	v_and_b32_e32 v163, 0xff, v160
	s_mov_b32 s14, 0
	s_mov_b32 s35, exec_lo
                                        ; implicit-def: $sgpr34
	s_delay_alu instid0(VALU_DEP_1)
	v_cmpx_lt_i16_e64 0x7f, v163
	s_xor_b32 s35, exec_lo, s35
	s_cbranch_execnz .LBB4_8682
; %bb.8407:                             ;   in Loop: Header=BB4_7984 Depth=3
	s_or_saveexec_b32 s35, s35
	v_mov_b32_e32 v161, s34
	s_xor_b32 exec_lo, exec_lo, s35
	s_cbranch_execnz .LBB4_8685
.LBB4_8408:                             ;   in Loop: Header=BB4_7984 Depth=3
	s_or_b32 exec_lo, exec_lo, s35
	s_and_saveexec_b32 s34, s14
	s_cbranch_execz .LBB4_8410
.LBB4_8409:                             ;   in Loop: Header=BB4_7984 Depth=3
	v_bfe_u32 v161, v11, 16, 3
	v_bfe_u32 v165, v11, 19, 4
	s_delay_alu instid0(VALU_DEP_2) | instskip(NEXT) | instid1(VALU_DEP_2)
	v_clz_i32_u32_e32 v163, v161
	v_cmp_eq_u32_e32 vcc_lo, 0, v165
	s_delay_alu instid0(VALU_DEP_2) | instskip(NEXT) | instid1(VALU_DEP_1)
	v_min_u32_e32 v163, 32, v163
	v_subrev_nc_u32_e32 v164, 28, v163
	v_sub_nc_u32_e32 v163, 29, v163
	s_delay_alu instid0(VALU_DEP_1) | instskip(SKIP_1) | instid1(VALU_DEP_2)
	v_dual_cndmask_b32 v163, v165, v163 :: v_dual_lshlrev_b32 v164, v164, v160
	v_lshlrev_b32_e32 v160, 24, v160
	v_and_b32_e32 v164, 7, v164
	s_delay_alu instid0(VALU_DEP_3) | instskip(NEXT) | instid1(VALU_DEP_3)
	v_lshl_add_u32 v163, v163, 23, 0x3b800000
	v_and_b32_e32 v160, 0x80000000, v160
	s_delay_alu instid0(VALU_DEP_3) | instskip(NEXT) | instid1(VALU_DEP_1)
	v_cndmask_b32_e32 v161, v161, v164, vcc_lo
	v_lshlrev_b32_e32 v161, 20, v161
	s_delay_alu instid0(VALU_DEP_1)
	v_or3_b32 v161, v160, v163, v161
.LBB4_8410:                             ;   in Loop: Header=BB4_7984 Depth=3
	s_or_b32 exec_lo, exec_lo, s34
	s_delay_alu instid0(VALU_DEP_1) | instskip(NEXT) | instid1(VALU_DEP_1)
	v_dual_max_f32 v160, v161, v161 :: v_dual_max_f32 v161, v162, v162
	v_min_f32_e32 v162, v161, v160
.LBB4_8411:                             ;   in Loop: Header=BB4_7984 Depth=3
	s_delay_alu instid0(VALU_DEP_1) | instskip(NEXT) | instid1(VALU_DEP_1)
	v_and_b32_e32 v160, 0x7f800000, v162
	v_cmp_ne_u32_e32 vcc_lo, 0x7f800000, v160
	v_mov_b32_e32 v160, 0x80
	s_and_saveexec_b32 s34, vcc_lo
	s_cbranch_execz .LBB4_8419
; %bb.8412:                             ;   in Loop: Header=BB4_7984 Depth=3
	v_mov_b32_e32 v160, 0
	s_mov_b32 s35, exec_lo
	v_cmpx_ne_u32_e32 0, v162
	s_cbranch_execz .LBB4_8418
; %bb.8413:                             ;   in Loop: Header=BB4_7984 Depth=3
	v_bfe_u32 v160, v162, 23, 8
	v_and_b32_e32 v161, 0x7fffff, v162
	s_delay_alu instid0(VALU_DEP_2) | instskip(SKIP_1) | instid1(VALU_DEP_3)
	v_sub_nc_u32_e32 v163, 0x78, v160
	v_cmp_gt_u32_e32 vcc_lo, 0x79, v160
	v_or_b32_e32 v164, 0x800000, v161
	s_delay_alu instid0(VALU_DEP_3) | instskip(SKIP_2) | instid1(VALU_DEP_3)
	v_cndmask_b32_e32 v163, 0, v163, vcc_lo
	v_cmp_eq_u32_e32 vcc_lo, 0, v160
	v_add_nc_u32_e32 v160, 0xffffff89, v160
	v_cndmask_b32_e64 v163, v163, 0x77, vcc_lo
	v_cndmask_b32_e32 v161, v164, v161, vcc_lo
	s_delay_alu instid0(VALU_DEP_3) | instskip(NEXT) | instid1(VALU_DEP_3)
	v_cndmask_b32_e64 v160, v160, 0xffffff8a, vcc_lo
	v_lshl_add_u32 v164, 0x100000, v163, -1
	s_delay_alu instid0(VALU_DEP_3) | instskip(SKIP_1) | instid1(VALU_DEP_4)
	v_lshrrev_b32_e32 v165, v163, v161
	v_lshlrev_b32_e64 v167, v163, 0x80000
	v_add_nc_u32_e32 v163, v163, v160
	s_delay_alu instid0(VALU_DEP_4) | instskip(NEXT) | instid1(VALU_DEP_4)
	v_and_b32_e32 v161, v164, v161
	v_bfe_u32 v166, v165, 20, 1
	s_delay_alu instid0(VALU_DEP_2) | instskip(NEXT) | instid1(VALU_DEP_2)
	v_cmp_eq_u32_e64 s14, v161, v167
	v_add_nc_u32_e32 v164, -1, v166
	s_delay_alu instid0(VALU_DEP_1) | instskip(SKIP_2) | instid1(VALU_DEP_2)
	v_cndmask_b32_e64 v161, 0, v164, s14
	v_lshrrev_b32_e32 v164, 23, v165
	s_mov_b32 s14, exec_lo
	v_add_nc_u32_e32 v161, v161, v165
	s_delay_alu instid0(VALU_DEP_2) | instskip(NEXT) | instid1(VALU_DEP_2)
	v_xor_b32_e32 v164, 1, v164
	v_and_b32_e32 v160, 0xfffff, v161
	s_delay_alu instid0(VALU_DEP_1) | instskip(NEXT) | instid1(VALU_DEP_3)
	v_add_nc_u32_e32 v161, v160, v165
                                        ; implicit-def: $vgpr160
	v_cmpx_ne_u32_e64 v163, v164
	s_xor_b32 s14, exec_lo, s14
; %bb.8414:                             ;   in Loop: Header=BB4_7984 Depth=3
	s_delay_alu instid0(VALU_DEP_2) | instskip(SKIP_2) | instid1(VALU_DEP_2)
	v_cmp_lt_u32_e32 vcc_lo, 0xffffff, v161
	v_sub_nc_u32_e32 v160, v163, v164
	v_cndmask_b32_e64 v163, 0, 1, vcc_lo
	v_add_co_ci_u32_e32 v160, vcc_lo, 0, v160, vcc_lo
	s_delay_alu instid0(VALU_DEP_2)
	v_lshrrev_b32_e32 v161, v163, v161
; %bb.8415:                             ;   in Loop: Header=BB4_7984 Depth=3
	s_and_not1_saveexec_b32 s14, s14
; %bb.8416:                             ;   in Loop: Header=BB4_7984 Depth=3
	s_delay_alu instid0(VALU_DEP_1)
	v_bfe_u32 v160, v161, 23, 1
; %bb.8417:                             ;   in Loop: Header=BB4_7984 Depth=3
	s_or_b32 exec_lo, exec_lo, s14
	v_lshrrev_b32_e32 v161, 20, v161
	s_delay_alu instid0(VALU_DEP_2) | instskip(SKIP_2) | instid1(VALU_DEP_2)
	v_cmp_gt_i32_e32 vcc_lo, 16, v160
	v_lshrrev_b32_e32 v162, 24, v162
	v_min_i32_e32 v163, 15, v160
	v_dual_cndmask_b32 v161, 7, v161 :: v_dual_and_b32 v162, 0x80, v162
	s_delay_alu instid0(VALU_DEP_1) | instskip(SKIP_1) | instid1(VALU_DEP_2)
	v_or_b32_e32 v160, v160, v161
	v_and_b32_e32 v164, 7, v161
	v_cmp_ne_u32_e32 vcc_lo, 0, v160
	v_lshlrev_b32_e32 v163, 3, v163
	s_delay_alu instid0(VALU_DEP_1) | instskip(NEXT) | instid1(VALU_DEP_1)
	v_and_b32_e32 v163, 0xf8, v163
	v_or3_b32 v161, v163, v162, v164
	s_delay_alu instid0(VALU_DEP_1)
	v_cndmask_b32_e32 v160, 0, v161, vcc_lo
.LBB4_8418:                             ;   in Loop: Header=BB4_7984 Depth=3
	s_or_b32 exec_lo, exec_lo, s35
.LBB4_8419:                             ;   in Loop: Header=BB4_7984 Depth=3
	s_delay_alu instid0(SALU_CYCLE_1)
	s_or_b32 exec_lo, exec_lo, s34
	v_lshrrev_b32_e32 v162, 24, v15
	v_lshrrev_b32_e32 v161, 24, v11
	s_and_b32 vcc_lo, exec_lo, s31
	s_cbranch_vccz .LBB4_8429
; %bb.8420:                             ;   in Loop: Header=BB4_7984 Depth=3
	s_mov_b32 s14, 0
	s_mov_b32 s35, exec_lo
                                        ; implicit-def: $sgpr34
	v_cmpx_lt_i16_e64 0x7f, v162
	s_xor_b32 s35, exec_lo, s35
	s_cbranch_execnz .LBB4_8686
; %bb.8421:                             ;   in Loop: Header=BB4_7984 Depth=3
	s_or_saveexec_b32 s35, s35
	v_mov_b32_e32 v163, s34
	s_xor_b32 exec_lo, exec_lo, s35
	s_cbranch_execnz .LBB4_8689
.LBB4_8422:                             ;   in Loop: Header=BB4_7984 Depth=3
	s_or_b32 exec_lo, exec_lo, s35
	s_and_saveexec_b32 s34, s14
	s_cbranch_execz .LBB4_8424
.LBB4_8423:                             ;   in Loop: Header=BB4_7984 Depth=3
	v_bfe_u32 v163, v15, 24, 3
	v_bfe_u32 v166, v15, 27, 4
	s_delay_alu instid0(VALU_DEP_2) | instskip(NEXT) | instid1(VALU_DEP_2)
	v_clz_i32_u32_e32 v164, v163
	v_cmp_eq_u32_e32 vcc_lo, 0, v166
	s_delay_alu instid0(VALU_DEP_2) | instskip(NEXT) | instid1(VALU_DEP_1)
	v_min_u32_e32 v164, 32, v164
	v_subrev_nc_u32_e32 v165, 28, v164
	v_sub_nc_u32_e32 v164, 29, v164
	s_delay_alu instid0(VALU_DEP_1) | instskip(NEXT) | instid1(VALU_DEP_1)
	v_dual_cndmask_b32 v164, v166, v164 :: v_dual_lshlrev_b32 v165, v165, v162
	v_and_b32_e32 v165, 7, v165
	s_delay_alu instid0(VALU_DEP_2) | instskip(NEXT) | instid1(VALU_DEP_2)
	v_lshl_add_u32 v164, v164, 23, 0x3b800000
	v_cndmask_b32_e32 v163, v163, v165, vcc_lo
	v_and_b32_e32 v165, 0x80000000, v15
	s_delay_alu instid0(VALU_DEP_2) | instskip(NEXT) | instid1(VALU_DEP_1)
	v_lshlrev_b32_e32 v163, 20, v163
	v_or3_b32 v163, v165, v164, v163
.LBB4_8424:                             ;   in Loop: Header=BB4_7984 Depth=3
	s_or_b32 exec_lo, exec_lo, s34
	s_mov_b32 s14, 0
	s_mov_b32 s35, exec_lo
                                        ; implicit-def: $sgpr34
	v_cmpx_lt_i16_e64 0x7f, v161
	s_xor_b32 s35, exec_lo, s35
	s_cbranch_execnz .LBB4_8690
; %bb.8425:                             ;   in Loop: Header=BB4_7984 Depth=3
	s_or_saveexec_b32 s35, s35
	v_mov_b32_e32 v164, s34
	s_xor_b32 exec_lo, exec_lo, s35
	s_cbranch_execnz .LBB4_8693
.LBB4_8426:                             ;   in Loop: Header=BB4_7984 Depth=3
	s_or_b32 exec_lo, exec_lo, s35
	s_and_saveexec_b32 s34, s14
	s_cbranch_execz .LBB4_8428
.LBB4_8427:                             ;   in Loop: Header=BB4_7984 Depth=3
	v_bfe_u32 v164, v11, 24, 3
	v_bfe_u32 v167, v11, 27, 4
	s_delay_alu instid0(VALU_DEP_2) | instskip(NEXT) | instid1(VALU_DEP_2)
	v_clz_i32_u32_e32 v165, v164
	v_cmp_eq_u32_e32 vcc_lo, 0, v167
	s_delay_alu instid0(VALU_DEP_2) | instskip(NEXT) | instid1(VALU_DEP_1)
	v_min_u32_e32 v165, 32, v165
	v_subrev_nc_u32_e32 v166, 28, v165
	v_sub_nc_u32_e32 v165, 29, v165
	s_delay_alu instid0(VALU_DEP_2) | instskip(NEXT) | instid1(VALU_DEP_1)
	v_lshlrev_b32_e32 v166, v166, v161
	v_dual_cndmask_b32 v165, v167, v165 :: v_dual_and_b32 v166, 7, v166
	s_delay_alu instid0(VALU_DEP_1) | instskip(NEXT) | instid1(VALU_DEP_2)
	v_lshl_add_u32 v165, v165, 23, 0x3b800000
	v_cndmask_b32_e32 v164, v164, v166, vcc_lo
	v_and_b32_e32 v166, 0x80000000, v11
	s_delay_alu instid0(VALU_DEP_2) | instskip(NEXT) | instid1(VALU_DEP_1)
	v_lshlrev_b32_e32 v164, 20, v164
	v_or3_b32 v164, v166, v165, v164
.LBB4_8428:                             ;   in Loop: Header=BB4_7984 Depth=3
	s_or_b32 exec_lo, exec_lo, s34
	s_delay_alu instid0(VALU_DEP_1) | instskip(SKIP_1) | instid1(VALU_DEP_1)
	v_dual_max_f32 v164, v164, v164 :: v_dual_max_f32 v163, v163, v163
	s_mov_b32 s14, 0
	v_max_f32_e32 v163, v163, v164
	s_branch .LBB4_8430
.LBB4_8429:                             ;   in Loop: Header=BB4_7984 Depth=3
	s_mov_b32 s14, -1
                                        ; implicit-def: $vgpr163
.LBB4_8430:                             ;   in Loop: Header=BB4_7984 Depth=3
	s_delay_alu instid0(SALU_CYCLE_1)
	s_and_b32 vcc_lo, exec_lo, s14
	s_cbranch_vccz .LBB4_8440
; %bb.8431:                             ;   in Loop: Header=BB4_7984 Depth=3
	s_mov_b32 s14, 0
	s_mov_b32 s35, exec_lo
                                        ; implicit-def: $sgpr34
	v_cmpx_lt_i16_e64 0x7f, v162
	s_xor_b32 s35, exec_lo, s35
	s_cbranch_execnz .LBB4_8694
; %bb.8432:                             ;   in Loop: Header=BB4_7984 Depth=3
	s_or_saveexec_b32 s35, s35
	v_mov_b32_e32 v163, s34
	s_xor_b32 exec_lo, exec_lo, s35
	s_cbranch_execnz .LBB4_8697
.LBB4_8433:                             ;   in Loop: Header=BB4_7984 Depth=3
	s_or_b32 exec_lo, exec_lo, s35
	s_and_saveexec_b32 s34, s14
	s_cbranch_execz .LBB4_8435
.LBB4_8434:                             ;   in Loop: Header=BB4_7984 Depth=3
	v_bfe_u32 v163, v15, 24, 3
	s_delay_alu instid0(VALU_DEP_1) | instskip(NEXT) | instid1(VALU_DEP_1)
	v_clz_i32_u32_e32 v164, v163
	v_min_u32_e32 v164, 32, v164
	s_delay_alu instid0(VALU_DEP_1) | instskip(SKIP_1) | instid1(VALU_DEP_2)
	v_subrev_nc_u32_e32 v165, 28, v164
	v_sub_nc_u32_e32 v164, 29, v164
	v_lshlrev_b32_e32 v162, v165, v162
	v_bfe_u32 v165, v15, 27, 4
	v_and_b32_e32 v15, 0x80000000, v15
	s_delay_alu instid0(VALU_DEP_3) | instskip(NEXT) | instid1(VALU_DEP_3)
	v_and_b32_e32 v162, 7, v162
	v_cmp_eq_u32_e32 vcc_lo, 0, v165
	v_cndmask_b32_e32 v164, v165, v164, vcc_lo
	s_delay_alu instid0(VALU_DEP_3) | instskip(NEXT) | instid1(VALU_DEP_2)
	v_cndmask_b32_e32 v162, v163, v162, vcc_lo
	v_lshl_add_u32 v163, v164, 23, 0x3b800000
	s_delay_alu instid0(VALU_DEP_2) | instskip(NEXT) | instid1(VALU_DEP_1)
	v_lshlrev_b32_e32 v162, 20, v162
	v_or3_b32 v163, v15, v163, v162
.LBB4_8435:                             ;   in Loop: Header=BB4_7984 Depth=3
	s_or_b32 exec_lo, exec_lo, s34
	s_mov_b32 s14, 0
	s_mov_b32 s35, exec_lo
                                        ; implicit-def: $sgpr34
	v_cmpx_lt_i16_e64 0x7f, v161
	s_xor_b32 s35, exec_lo, s35
	s_cbranch_execnz .LBB4_8698
; %bb.8436:                             ;   in Loop: Header=BB4_7984 Depth=3
	s_or_saveexec_b32 s35, s35
	v_mov_b32_e32 v15, s34
	s_xor_b32 exec_lo, exec_lo, s35
	s_cbranch_execnz .LBB4_8701
.LBB4_8437:                             ;   in Loop: Header=BB4_7984 Depth=3
	s_or_b32 exec_lo, exec_lo, s35
	s_and_saveexec_b32 s34, s14
	s_cbranch_execz .LBB4_8439
.LBB4_8438:                             ;   in Loop: Header=BB4_7984 Depth=3
	v_bfe_u32 v15, v11, 24, 3
	s_delay_alu instid0(VALU_DEP_1) | instskip(NEXT) | instid1(VALU_DEP_1)
	v_clz_i32_u32_e32 v162, v15
	v_min_u32_e32 v162, 32, v162
	s_delay_alu instid0(VALU_DEP_1) | instskip(SKIP_1) | instid1(VALU_DEP_2)
	v_subrev_nc_u32_e32 v164, 28, v162
	v_sub_nc_u32_e32 v162, 29, v162
	v_lshlrev_b32_e32 v161, v164, v161
	v_bfe_u32 v164, v11, 27, 4
	v_and_b32_e32 v11, 0x80000000, v11
	s_delay_alu instid0(VALU_DEP_2) | instskip(NEXT) | instid1(VALU_DEP_4)
	v_cmp_eq_u32_e32 vcc_lo, 0, v164
	v_dual_cndmask_b32 v162, v164, v162 :: v_dual_and_b32 v161, 7, v161
	s_delay_alu instid0(VALU_DEP_1) | instskip(NEXT) | instid1(VALU_DEP_2)
	v_cndmask_b32_e32 v15, v15, v161, vcc_lo
	v_lshl_add_u32 v161, v162, 23, 0x3b800000
	s_delay_alu instid0(VALU_DEP_2) | instskip(NEXT) | instid1(VALU_DEP_1)
	v_lshlrev_b32_e32 v15, 20, v15
	v_or3_b32 v15, v11, v161, v15
.LBB4_8439:                             ;   in Loop: Header=BB4_7984 Depth=3
	s_or_b32 exec_lo, exec_lo, s34
	s_delay_alu instid0(VALU_DEP_1) | instskip(SKIP_1) | instid1(VALU_DEP_1)
	v_max_f32_e32 v11, v15, v15
	v_max_f32_e32 v15, v163, v163
	v_min_f32_e32 v163, v15, v11
.LBB4_8440:                             ;   in Loop: Header=BB4_7984 Depth=3
	s_delay_alu instid0(VALU_DEP_1) | instskip(NEXT) | instid1(VALU_DEP_1)
	v_and_b32_e32 v11, 0x7f800000, v163
	v_cmp_ne_u32_e32 vcc_lo, 0x7f800000, v11
	v_mov_b32_e32 v11, 0x8000
	s_and_saveexec_b32 s34, vcc_lo
	s_cbranch_execz .LBB4_7983
; %bb.8441:                             ;   in Loop: Header=BB4_7984 Depth=3
	v_mov_b32_e32 v11, 0
	s_mov_b32 s35, exec_lo
	v_cmpx_ne_u32_e32 0, v163
	s_cbranch_execz .LBB4_7982
; %bb.8442:                             ;   in Loop: Header=BB4_7984 Depth=3
	v_bfe_u32 v11, v163, 23, 8
	v_and_b32_e32 v15, 0x7fffff, v163
	s_delay_alu instid0(VALU_DEP_2) | instskip(SKIP_1) | instid1(VALU_DEP_3)
	v_sub_nc_u32_e32 v161, 0x78, v11
	v_cmp_gt_u32_e32 vcc_lo, 0x79, v11
	v_or_b32_e32 v162, 0x800000, v15
	s_delay_alu instid0(VALU_DEP_3) | instskip(SKIP_2) | instid1(VALU_DEP_3)
	v_cndmask_b32_e32 v161, 0, v161, vcc_lo
	v_cmp_eq_u32_e32 vcc_lo, 0, v11
	v_add_nc_u32_e32 v11, 0xffffff89, v11
	v_cndmask_b32_e64 v161, v161, 0x77, vcc_lo
	v_cndmask_b32_e32 v15, v162, v15, vcc_lo
	s_delay_alu instid0(VALU_DEP_3) | instskip(NEXT) | instid1(VALU_DEP_3)
	v_cndmask_b32_e64 v11, v11, 0xffffff8a, vcc_lo
	v_lshl_add_u32 v162, 0x100000, v161, -1
	s_delay_alu instid0(VALU_DEP_3) | instskip(SKIP_1) | instid1(VALU_DEP_4)
	v_lshrrev_b32_e32 v164, v161, v15
	v_lshlrev_b32_e64 v166, v161, 0x80000
	v_add_nc_u32_e32 v161, v161, v11
	s_delay_alu instid0(VALU_DEP_4) | instskip(NEXT) | instid1(VALU_DEP_4)
	v_and_b32_e32 v15, v162, v15
	v_bfe_u32 v165, v164, 20, 1
	s_delay_alu instid0(VALU_DEP_2) | instskip(NEXT) | instid1(VALU_DEP_2)
	v_cmp_eq_u32_e64 s14, v15, v166
	v_add_nc_u32_e32 v162, -1, v165
	s_delay_alu instid0(VALU_DEP_1) | instskip(SKIP_2) | instid1(VALU_DEP_2)
	v_cndmask_b32_e64 v15, 0, v162, s14
	v_lshrrev_b32_e32 v162, 23, v164
	s_mov_b32 s14, exec_lo
	v_add_nc_u32_e32 v15, v15, v164
	s_delay_alu instid0(VALU_DEP_2) | instskip(NEXT) | instid1(VALU_DEP_2)
	v_xor_b32_e32 v162, 1, v162
	v_and_b32_e32 v11, 0xfffff, v15
	s_delay_alu instid0(VALU_DEP_1) | instskip(NEXT) | instid1(VALU_DEP_3)
	v_add_nc_u32_e32 v15, v11, v164
                                        ; implicit-def: $vgpr11
	v_cmpx_ne_u32_e64 v161, v162
	s_xor_b32 s14, exec_lo, s14
; %bb.8443:                             ;   in Loop: Header=BB4_7984 Depth=3
	s_delay_alu instid0(VALU_DEP_2) | instskip(SKIP_2) | instid1(VALU_DEP_2)
	v_cmp_lt_u32_e32 vcc_lo, 0xffffff, v15
	v_sub_nc_u32_e32 v11, v161, v162
	v_cndmask_b32_e64 v161, 0, 1, vcc_lo
	v_add_co_ci_u32_e32 v11, vcc_lo, 0, v11, vcc_lo
	s_delay_alu instid0(VALU_DEP_2)
	v_lshrrev_b32_e32 v15, v161, v15
; %bb.8444:                             ;   in Loop: Header=BB4_7984 Depth=3
	s_and_not1_saveexec_b32 s14, s14
	s_cbranch_execz .LBB4_7981
; %bb.8445:                             ;   in Loop: Header=BB4_7984 Depth=3
	s_delay_alu instid0(VALU_DEP_1)
	v_bfe_u32 v11, v15, 23, 1
	s_branch .LBB4_7981
.LBB4_8446:                             ;   in Loop: Header=BB4_7984 Depth=3
	s_mov_b32 s14, -1
	s_mov_b32 s36, exec_lo
                                        ; implicit-def: $sgpr34
	v_cmpx_eq_u16_e32 0x80, v82
; %bb.8447:                             ;   in Loop: Header=BB4_7984 Depth=3
	s_mov_b32 s34, 0x7f800001
	s_xor_b32 s14, exec_lo, -1
; %bb.8448:                             ;   in Loop: Header=BB4_7984 Depth=3
	s_or_b32 exec_lo, exec_lo, s36
	s_delay_alu instid0(SALU_CYCLE_1)
	s_and_b32 s14, s14, exec_lo
                                        ; implicit-def: $vgpr82
	s_or_saveexec_b32 s35, s35
	v_mov_b32_e32 v81, s34
	s_xor_b32 exec_lo, exec_lo, s35
	s_cbranch_execz .LBB4_7987
.LBB4_8449:                             ;   in Loop: Header=BB4_7984 Depth=3
	v_cmp_ne_u16_e32 vcc_lo, 0, v82
	v_mov_b32_e32 v81, 0
	s_and_not1_b32 s14, s14, exec_lo
	s_and_b32 vcc_lo, vcc_lo, exec_lo
	s_delay_alu instid0(SALU_CYCLE_1)
	s_or_b32 s14, s14, vcc_lo
	s_or_b32 exec_lo, exec_lo, s35
	s_and_saveexec_b32 s34, s14
	s_cbranch_execnz .LBB4_7988
	s_branch .LBB4_7989
.LBB4_8450:                             ;   in Loop: Header=BB4_7984 Depth=3
	s_mov_b32 s14, -1
	s_mov_b32 s36, exec_lo
                                        ; implicit-def: $sgpr34
	v_cmpx_eq_u16_e32 0x80, v83
; %bb.8451:                             ;   in Loop: Header=BB4_7984 Depth=3
	s_mov_b32 s34, 0x7f800001
	s_xor_b32 s14, exec_lo, -1
; %bb.8452:                             ;   in Loop: Header=BB4_7984 Depth=3
	s_or_b32 exec_lo, exec_lo, s36
	s_delay_alu instid0(SALU_CYCLE_1)
	s_and_b32 s14, s14, exec_lo
                                        ; implicit-def: $vgpr83
	s_or_saveexec_b32 s35, s35
	v_mov_b32_e32 v82, s34
	s_xor_b32 exec_lo, exec_lo, s35
	s_cbranch_execz .LBB4_7991
.LBB4_8453:                             ;   in Loop: Header=BB4_7984 Depth=3
	v_cmp_ne_u16_e32 vcc_lo, 0, v83
	v_mov_b32_e32 v82, 0
	s_and_not1_b32 s14, s14, exec_lo
	s_and_b32 vcc_lo, vcc_lo, exec_lo
	s_delay_alu instid0(SALU_CYCLE_1)
	s_or_b32 s14, s14, vcc_lo
	s_or_b32 exec_lo, exec_lo, s35
	s_and_saveexec_b32 s34, s14
	s_cbranch_execnz .LBB4_7992
	s_branch .LBB4_7993
.LBB4_8454:                             ;   in Loop: Header=BB4_7984 Depth=3
	s_mov_b32 s14, -1
	s_mov_b32 s36, exec_lo
                                        ; implicit-def: $sgpr34
	v_cmpx_eq_u16_e32 0x80, v82
; %bb.8455:                             ;   in Loop: Header=BB4_7984 Depth=3
	s_mov_b32 s34, 0x7f800001
	s_xor_b32 s14, exec_lo, -1
; %bb.8456:                             ;   in Loop: Header=BB4_7984 Depth=3
	s_or_b32 exec_lo, exec_lo, s36
	s_delay_alu instid0(SALU_CYCLE_1)
	s_and_b32 s14, s14, exec_lo
                                        ; implicit-def: $vgpr82
	s_or_saveexec_b32 s35, s35
	v_mov_b32_e32 v81, s34
	s_xor_b32 exec_lo, exec_lo, s35
	s_cbranch_execz .LBB4_7998
.LBB4_8457:                             ;   in Loop: Header=BB4_7984 Depth=3
	v_cmp_ne_u16_e32 vcc_lo, 0, v82
	v_mov_b32_e32 v81, 0
	s_and_not1_b32 s14, s14, exec_lo
	s_and_b32 vcc_lo, vcc_lo, exec_lo
	s_delay_alu instid0(SALU_CYCLE_1)
	s_or_b32 s14, s14, vcc_lo
	s_or_b32 exec_lo, exec_lo, s35
	s_and_saveexec_b32 s34, s14
	s_cbranch_execnz .LBB4_7999
	s_branch .LBB4_8000
.LBB4_8458:                             ;   in Loop: Header=BB4_7984 Depth=3
	s_mov_b32 s14, -1
	s_mov_b32 s36, exec_lo
                                        ; implicit-def: $sgpr34
	v_cmpx_eq_u16_e32 0x80, v83
; %bb.8459:                             ;   in Loop: Header=BB4_7984 Depth=3
	s_mov_b32 s34, 0x7f800001
	s_xor_b32 s14, exec_lo, -1
; %bb.8460:                             ;   in Loop: Header=BB4_7984 Depth=3
	s_or_b32 exec_lo, exec_lo, s36
	s_delay_alu instid0(SALU_CYCLE_1)
	s_and_b32 s14, s14, exec_lo
                                        ; implicit-def: $vgpr83
	s_or_saveexec_b32 s35, s35
	v_mov_b32_e32 v82, s34
	s_xor_b32 exec_lo, exec_lo, s35
	s_cbranch_execz .LBB4_8002
.LBB4_8461:                             ;   in Loop: Header=BB4_7984 Depth=3
	v_cmp_ne_u16_e32 vcc_lo, 0, v83
	v_mov_b32_e32 v82, 0
	s_and_not1_b32 s14, s14, exec_lo
	s_and_b32 vcc_lo, vcc_lo, exec_lo
	s_delay_alu instid0(SALU_CYCLE_1)
	s_or_b32 s14, s14, vcc_lo
	s_or_b32 exec_lo, exec_lo, s35
	s_and_saveexec_b32 s34, s14
	s_cbranch_execnz .LBB4_8003
	s_branch .LBB4_8004
.LBB4_8462:                             ;   in Loop: Header=BB4_7984 Depth=3
	s_mov_b32 s14, -1
	s_mov_b32 s36, exec_lo
                                        ; implicit-def: $sgpr34
	v_cmpx_eq_u16_e32 0x80, v83
; %bb.8463:                             ;   in Loop: Header=BB4_7984 Depth=3
	s_mov_b32 s34, 0x7f800001
	s_xor_b32 s14, exec_lo, -1
; %bb.8464:                             ;   in Loop: Header=BB4_7984 Depth=3
	s_or_b32 exec_lo, exec_lo, s36
	s_delay_alu instid0(SALU_CYCLE_1)
	s_and_b32 s14, s14, exec_lo
	s_or_saveexec_b32 s35, s35
	v_mov_b32_e32 v84, s34
	s_xor_b32 exec_lo, exec_lo, s35
	s_cbranch_execz .LBB4_8016
.LBB4_8465:                             ;   in Loop: Header=BB4_7984 Depth=3
	v_cmp_ne_u16_e32 vcc_lo, 0, v83
	v_mov_b32_e32 v84, 0
	s_and_not1_b32 s14, s14, exec_lo
	s_and_b32 vcc_lo, vcc_lo, exec_lo
	s_delay_alu instid0(SALU_CYCLE_1)
	s_or_b32 s14, s14, vcc_lo
	s_or_b32 exec_lo, exec_lo, s35
	s_and_saveexec_b32 s34, s14
	s_cbranch_execnz .LBB4_8017
	s_branch .LBB4_8018
.LBB4_8466:                             ;   in Loop: Header=BB4_7984 Depth=3
	s_mov_b32 s14, -1
	s_mov_b32 s36, exec_lo
                                        ; implicit-def: $sgpr34
	v_cmpx_eq_u16_e32 0x80, v82
; %bb.8467:                             ;   in Loop: Header=BB4_7984 Depth=3
	s_mov_b32 s34, 0x7f800001
	s_xor_b32 s14, exec_lo, -1
; %bb.8468:                             ;   in Loop: Header=BB4_7984 Depth=3
	s_or_b32 exec_lo, exec_lo, s36
	s_delay_alu instid0(SALU_CYCLE_1)
	s_and_b32 s14, s14, exec_lo
	s_or_saveexec_b32 s35, s35
	v_mov_b32_e32 v85, s34
	s_xor_b32 exec_lo, exec_lo, s35
	s_cbranch_execz .LBB4_8020
.LBB4_8469:                             ;   in Loop: Header=BB4_7984 Depth=3
	v_cmp_ne_u16_e32 vcc_lo, 0, v82
	v_mov_b32_e32 v85, 0
	s_and_not1_b32 s14, s14, exec_lo
	s_and_b32 vcc_lo, vcc_lo, exec_lo
	s_delay_alu instid0(SALU_CYCLE_1)
	s_or_b32 s14, s14, vcc_lo
	s_or_b32 exec_lo, exec_lo, s35
	s_and_saveexec_b32 s34, s14
	s_cbranch_execnz .LBB4_8021
	s_branch .LBB4_8022
.LBB4_8470:                             ;   in Loop: Header=BB4_7984 Depth=3
	s_mov_b32 s14, -1
	s_mov_b32 s36, exec_lo
                                        ; implicit-def: $sgpr34
	v_cmpx_eq_u16_e32 0x80, v83
; %bb.8471:                             ;   in Loop: Header=BB4_7984 Depth=3
	s_mov_b32 s34, 0x7f800001
	s_xor_b32 s14, exec_lo, -1
; %bb.8472:                             ;   in Loop: Header=BB4_7984 Depth=3
	s_or_b32 exec_lo, exec_lo, s36
	s_delay_alu instid0(SALU_CYCLE_1)
	s_and_b32 s14, s14, exec_lo
	s_or_saveexec_b32 s35, s35
	v_mov_b32_e32 v84, s34
	s_xor_b32 exec_lo, exec_lo, s35
	s_cbranch_execz .LBB4_8027
.LBB4_8473:                             ;   in Loop: Header=BB4_7984 Depth=3
	v_cmp_ne_u16_e32 vcc_lo, 0, v83
	v_mov_b32_e32 v84, 0
	s_and_not1_b32 s14, s14, exec_lo
	s_and_b32 vcc_lo, vcc_lo, exec_lo
	s_delay_alu instid0(SALU_CYCLE_1)
	s_or_b32 s14, s14, vcc_lo
	s_or_b32 exec_lo, exec_lo, s35
	s_and_saveexec_b32 s34, s14
	s_cbranch_execnz .LBB4_8028
	s_branch .LBB4_8029
.LBB4_8474:                             ;   in Loop: Header=BB4_7984 Depth=3
	s_mov_b32 s14, -1
	s_mov_b32 s36, exec_lo
                                        ; implicit-def: $sgpr34
	v_cmpx_eq_u16_e32 0x80, v82
; %bb.8475:                             ;   in Loop: Header=BB4_7984 Depth=3
	s_mov_b32 s34, 0x7f800001
	s_xor_b32 s14, exec_lo, -1
; %bb.8476:                             ;   in Loop: Header=BB4_7984 Depth=3
	s_or_b32 exec_lo, exec_lo, s36
	s_delay_alu instid0(SALU_CYCLE_1)
	s_and_b32 s14, s14, exec_lo
	s_or_saveexec_b32 s35, s35
	v_mov_b32_e32 v83, s34
	s_xor_b32 exec_lo, exec_lo, s35
	s_cbranch_execz .LBB4_8031
.LBB4_8477:                             ;   in Loop: Header=BB4_7984 Depth=3
	v_cmp_ne_u16_e32 vcc_lo, 0, v82
	v_mov_b32_e32 v83, 0
	s_and_not1_b32 s14, s14, exec_lo
	s_and_b32 vcc_lo, vcc_lo, exec_lo
	s_delay_alu instid0(SALU_CYCLE_1)
	s_or_b32 s14, s14, vcc_lo
	s_or_b32 exec_lo, exec_lo, s35
	s_and_saveexec_b32 s34, s14
	s_cbranch_execnz .LBB4_8032
	s_branch .LBB4_8033
.LBB4_8478:                             ;   in Loop: Header=BB4_7984 Depth=3
	s_mov_b32 s14, -1
	s_mov_b32 s36, exec_lo
                                        ; implicit-def: $sgpr34
	v_cmpx_eq_u16_e64 0x80, v149
; %bb.8479:                             ;   in Loop: Header=BB4_7984 Depth=3
	s_mov_b32 s34, 0x7f800001
	s_xor_b32 s14, exec_lo, -1
; %bb.8480:                             ;   in Loop: Header=BB4_7984 Depth=3
	s_or_b32 exec_lo, exec_lo, s36
	s_delay_alu instid0(SALU_CYCLE_1)
	s_and_b32 s14, s14, exec_lo
                                        ; implicit-def: $vgpr149
	s_or_saveexec_b32 s35, s35
	v_mov_b32_e32 v85, s34
	s_xor_b32 exec_lo, exec_lo, s35
	s_cbranch_execz .LBB4_8045
.LBB4_8481:                             ;   in Loop: Header=BB4_7984 Depth=3
	v_cmp_ne_u16_e64 vcc_lo, 0, v149
	v_mov_b32_e32 v85, 0
	s_and_not1_b32 s14, s14, exec_lo
	s_delay_alu instid0(VALU_DEP_2) | instskip(NEXT) | instid1(SALU_CYCLE_1)
	s_and_b32 vcc_lo, vcc_lo, exec_lo
	s_or_b32 s14, s14, vcc_lo
	s_or_b32 exec_lo, exec_lo, s35
	s_and_saveexec_b32 s34, s14
	s_cbranch_execnz .LBB4_8046
	s_branch .LBB4_8047
.LBB4_8482:                             ;   in Loop: Header=BB4_7984 Depth=3
	s_mov_b32 s14, -1
	s_mov_b32 s36, exec_lo
                                        ; implicit-def: $sgpr34
	v_cmpx_eq_u16_e64 0x80, v150
; %bb.8483:                             ;   in Loop: Header=BB4_7984 Depth=3
	s_mov_b32 s34, 0x7f800001
	s_xor_b32 s14, exec_lo, -1
; %bb.8484:                             ;   in Loop: Header=BB4_7984 Depth=3
	s_or_b32 exec_lo, exec_lo, s36
	s_delay_alu instid0(SALU_CYCLE_1)
	s_and_b32 s14, s14, exec_lo
                                        ; implicit-def: $vgpr150
	s_or_saveexec_b32 s35, s35
	v_mov_b32_e32 v149, s34
	s_xor_b32 exec_lo, exec_lo, s35
	s_cbranch_execz .LBB4_8049
.LBB4_8485:                             ;   in Loop: Header=BB4_7984 Depth=3
	v_cmp_ne_u16_e64 vcc_lo, 0, v150
	v_mov_b32_e32 v149, 0
	s_and_not1_b32 s14, s14, exec_lo
	s_delay_alu instid0(VALU_DEP_2) | instskip(NEXT) | instid1(SALU_CYCLE_1)
	s_and_b32 vcc_lo, vcc_lo, exec_lo
	s_or_b32 s14, s14, vcc_lo
	s_or_b32 exec_lo, exec_lo, s35
	s_and_saveexec_b32 s34, s14
	s_cbranch_execnz .LBB4_8050
	s_branch .LBB4_8051
.LBB4_8486:                             ;   in Loop: Header=BB4_7984 Depth=3
	s_mov_b32 s14, -1
	s_mov_b32 s36, exec_lo
                                        ; implicit-def: $sgpr34
	v_cmpx_eq_u16_e64 0x80, v149
; %bb.8487:                             ;   in Loop: Header=BB4_7984 Depth=3
	s_mov_b32 s34, 0x7f800001
	s_xor_b32 s14, exec_lo, -1
; %bb.8488:                             ;   in Loop: Header=BB4_7984 Depth=3
	s_or_b32 exec_lo, exec_lo, s36
	s_delay_alu instid0(SALU_CYCLE_1)
	s_and_b32 s14, s14, exec_lo
                                        ; implicit-def: $vgpr149
	s_or_saveexec_b32 s35, s35
	v_mov_b32_e32 v85, s34
	s_xor_b32 exec_lo, exec_lo, s35
	s_cbranch_execz .LBB4_8056
.LBB4_8489:                             ;   in Loop: Header=BB4_7984 Depth=3
	v_cmp_ne_u16_e64 vcc_lo, 0, v149
	v_mov_b32_e32 v85, 0
	s_and_not1_b32 s14, s14, exec_lo
	s_delay_alu instid0(VALU_DEP_2) | instskip(NEXT) | instid1(SALU_CYCLE_1)
	s_and_b32 vcc_lo, vcc_lo, exec_lo
	s_or_b32 s14, s14, vcc_lo
	s_or_b32 exec_lo, exec_lo, s35
	s_and_saveexec_b32 s34, s14
	s_cbranch_execnz .LBB4_8057
	s_branch .LBB4_8058
.LBB4_8490:                             ;   in Loop: Header=BB4_7984 Depth=3
	s_mov_b32 s14, -1
	s_mov_b32 s36, exec_lo
                                        ; implicit-def: $sgpr34
	v_cmpx_eq_u16_e64 0x80, v149
; %bb.8491:                             ;   in Loop: Header=BB4_7984 Depth=3
	s_mov_b32 s34, 0x7f800001
	s_xor_b32 s14, exec_lo, -1
; %bb.8492:                             ;   in Loop: Header=BB4_7984 Depth=3
	s_or_b32 exec_lo, exec_lo, s36
	s_delay_alu instid0(SALU_CYCLE_1)
	s_and_b32 s14, s14, exec_lo
                                        ; implicit-def: $vgpr149
	s_or_saveexec_b32 s35, s35
	v_mov_b32_e32 v84, s34
	s_xor_b32 exec_lo, exec_lo, s35
	s_cbranch_execz .LBB4_8060
.LBB4_8493:                             ;   in Loop: Header=BB4_7984 Depth=3
	v_cmp_ne_u16_e64 vcc_lo, 0, v149
	v_mov_b32_e32 v84, 0
	s_and_not1_b32 s14, s14, exec_lo
	s_delay_alu instid0(VALU_DEP_2) | instskip(NEXT) | instid1(SALU_CYCLE_1)
	s_and_b32 vcc_lo, vcc_lo, exec_lo
	s_or_b32 s14, s14, vcc_lo
	s_or_b32 exec_lo, exec_lo, s35
	s_and_saveexec_b32 s34, s14
	s_cbranch_execnz .LBB4_8061
	s_branch .LBB4_8062
.LBB4_8494:                             ;   in Loop: Header=BB4_7984 Depth=3
	s_mov_b32 s14, -1
	s_mov_b32 s36, exec_lo
                                        ; implicit-def: $sgpr34
	v_cmpx_eq_u16_e32 0x80, v85
; %bb.8495:                             ;   in Loop: Header=BB4_7984 Depth=3
	s_mov_b32 s34, 0x7f800001
	s_xor_b32 s14, exec_lo, -1
; %bb.8496:                             ;   in Loop: Header=BB4_7984 Depth=3
	s_or_b32 exec_lo, exec_lo, s36
	s_delay_alu instid0(SALU_CYCLE_1)
	s_and_b32 s14, s14, exec_lo
	s_or_saveexec_b32 s35, s35
	v_mov_b32_e32 v149, s34
	s_xor_b32 exec_lo, exec_lo, s35
	s_cbranch_execz .LBB4_8074
.LBB4_8497:                             ;   in Loop: Header=BB4_7984 Depth=3
	v_cmp_ne_u16_e32 vcc_lo, 0, v85
	v_mov_b32_e32 v149, 0
	s_and_not1_b32 s14, s14, exec_lo
	s_and_b32 vcc_lo, vcc_lo, exec_lo
	s_delay_alu instid0(SALU_CYCLE_1)
	s_or_b32 s14, s14, vcc_lo
	s_or_b32 exec_lo, exec_lo, s35
	s_and_saveexec_b32 s34, s14
	s_cbranch_execnz .LBB4_8075
	s_branch .LBB4_8076
.LBB4_8498:                             ;   in Loop: Header=BB4_7984 Depth=3
	s_mov_b32 s14, -1
	s_mov_b32 s36, exec_lo
                                        ; implicit-def: $sgpr34
	v_cmpx_eq_u16_e32 0x80, v84
; %bb.8499:                             ;   in Loop: Header=BB4_7984 Depth=3
	s_mov_b32 s34, 0x7f800001
	s_xor_b32 s14, exec_lo, -1
; %bb.8500:                             ;   in Loop: Header=BB4_7984 Depth=3
	s_or_b32 exec_lo, exec_lo, s36
	s_delay_alu instid0(SALU_CYCLE_1)
	s_and_b32 s14, s14, exec_lo
	s_or_saveexec_b32 s35, s35
	v_mov_b32_e32 v150, s34
	s_xor_b32 exec_lo, exec_lo, s35
	s_cbranch_execz .LBB4_8078
.LBB4_8501:                             ;   in Loop: Header=BB4_7984 Depth=3
	v_cmp_ne_u16_e32 vcc_lo, 0, v84
	v_mov_b32_e32 v150, 0
	s_and_not1_b32 s14, s14, exec_lo
	s_and_b32 vcc_lo, vcc_lo, exec_lo
	s_delay_alu instid0(SALU_CYCLE_1)
	s_or_b32 s14, s14, vcc_lo
	s_or_b32 exec_lo, exec_lo, s35
	s_and_saveexec_b32 s34, s14
	s_cbranch_execnz .LBB4_8079
	s_branch .LBB4_8080
.LBB4_8502:                             ;   in Loop: Header=BB4_7984 Depth=3
	s_mov_b32 s14, -1
	s_mov_b32 s36, exec_lo
                                        ; implicit-def: $sgpr34
	v_cmpx_eq_u16_e32 0x80, v85
; %bb.8503:                             ;   in Loop: Header=BB4_7984 Depth=3
	s_mov_b32 s34, 0x7f800001
	s_xor_b32 s14, exec_lo, -1
; %bb.8504:                             ;   in Loop: Header=BB4_7984 Depth=3
	s_or_b32 exec_lo, exec_lo, s36
	s_delay_alu instid0(SALU_CYCLE_1)
	s_and_b32 s14, s14, exec_lo
	s_or_saveexec_b32 s35, s35
	v_mov_b32_e32 v149, s34
	s_xor_b32 exec_lo, exec_lo, s35
	s_cbranch_execz .LBB4_8085
.LBB4_8505:                             ;   in Loop: Header=BB4_7984 Depth=3
	v_cmp_ne_u16_e32 vcc_lo, 0, v85
	v_mov_b32_e32 v149, 0
	s_and_not1_b32 s14, s14, exec_lo
	s_and_b32 vcc_lo, vcc_lo, exec_lo
	s_delay_alu instid0(SALU_CYCLE_1)
	s_or_b32 s14, s14, vcc_lo
	s_or_b32 exec_lo, exec_lo, s35
	s_and_saveexec_b32 s34, s14
	s_cbranch_execnz .LBB4_8086
	s_branch .LBB4_8087
.LBB4_8506:                             ;   in Loop: Header=BB4_7984 Depth=3
	s_mov_b32 s14, -1
	s_mov_b32 s36, exec_lo
                                        ; implicit-def: $sgpr34
	v_cmpx_eq_u16_e32 0x80, v84
; %bb.8507:                             ;   in Loop: Header=BB4_7984 Depth=3
	s_mov_b32 s34, 0x7f800001
	s_xor_b32 s14, exec_lo, -1
; %bb.8508:                             ;   in Loop: Header=BB4_7984 Depth=3
	s_or_b32 exec_lo, exec_lo, s36
	s_delay_alu instid0(SALU_CYCLE_1)
	s_and_b32 s14, s14, exec_lo
	s_or_saveexec_b32 s35, s35
	v_mov_b32_e32 v12, s34
	s_xor_b32 exec_lo, exec_lo, s35
	s_cbranch_execz .LBB4_8089
.LBB4_8509:                             ;   in Loop: Header=BB4_7984 Depth=3
	v_cmp_ne_u16_e32 vcc_lo, 0, v84
	v_mov_b32_e32 v12, 0
	s_and_not1_b32 s14, s14, exec_lo
	s_and_b32 vcc_lo, vcc_lo, exec_lo
	s_delay_alu instid0(SALU_CYCLE_1)
	s_or_b32 s14, s14, vcc_lo
	s_or_b32 exec_lo, exec_lo, s35
	s_and_saveexec_b32 s34, s14
	s_cbranch_execnz .LBB4_8090
	s_branch .LBB4_8091
.LBB4_8510:                             ;   in Loop: Header=BB4_7984 Depth=3
	s_mov_b32 s14, -1
	s_mov_b32 s36, exec_lo
                                        ; implicit-def: $sgpr34
	v_cmpx_eq_u16_e32 0x80, v84
; %bb.8511:                             ;   in Loop: Header=BB4_7984 Depth=3
	s_mov_b32 s34, 0x7f800001
	s_xor_b32 s14, exec_lo, -1
; %bb.8512:                             ;   in Loop: Header=BB4_7984 Depth=3
	s_or_b32 exec_lo, exec_lo, s36
	s_delay_alu instid0(SALU_CYCLE_1)
	s_and_b32 s14, s14, exec_lo
                                        ; implicit-def: $vgpr84
	s_or_saveexec_b32 s35, s35
	v_mov_b32_e32 v12, s34
	s_xor_b32 exec_lo, exec_lo, s35
	s_cbranch_execz .LBB4_8103
.LBB4_8513:                             ;   in Loop: Header=BB4_7984 Depth=3
	v_cmp_ne_u16_e32 vcc_lo, 0, v84
	v_mov_b32_e32 v12, 0
	s_and_not1_b32 s14, s14, exec_lo
	s_and_b32 vcc_lo, vcc_lo, exec_lo
	s_delay_alu instid0(SALU_CYCLE_1)
	s_or_b32 s14, s14, vcc_lo
	s_or_b32 exec_lo, exec_lo, s35
	s_and_saveexec_b32 s34, s14
	s_cbranch_execnz .LBB4_8104
	s_branch .LBB4_8105
.LBB4_8514:                             ;   in Loop: Header=BB4_7984 Depth=3
	s_mov_b32 s14, -1
	s_mov_b32 s36, exec_lo
                                        ; implicit-def: $sgpr34
	v_cmpx_eq_u16_e32 0x80, v85
; %bb.8515:                             ;   in Loop: Header=BB4_7984 Depth=3
	s_mov_b32 s34, 0x7f800001
	s_xor_b32 s14, exec_lo, -1
; %bb.8516:                             ;   in Loop: Header=BB4_7984 Depth=3
	s_or_b32 exec_lo, exec_lo, s36
	s_delay_alu instid0(SALU_CYCLE_1)
	s_and_b32 s14, s14, exec_lo
                                        ; implicit-def: $vgpr85
	s_or_saveexec_b32 s35, s35
	v_mov_b32_e32 v84, s34
	s_xor_b32 exec_lo, exec_lo, s35
	s_cbranch_execz .LBB4_8107
.LBB4_8517:                             ;   in Loop: Header=BB4_7984 Depth=3
	v_cmp_ne_u16_e32 vcc_lo, 0, v85
	v_mov_b32_e32 v84, 0
	s_and_not1_b32 s14, s14, exec_lo
	s_and_b32 vcc_lo, vcc_lo, exec_lo
	s_delay_alu instid0(SALU_CYCLE_1)
	s_or_b32 s14, s14, vcc_lo
	s_or_b32 exec_lo, exec_lo, s35
	s_and_saveexec_b32 s34, s14
	s_cbranch_execnz .LBB4_8108
	s_branch .LBB4_8109
.LBB4_8518:                             ;   in Loop: Header=BB4_7984 Depth=3
	s_mov_b32 s14, -1
	s_mov_b32 s36, exec_lo
                                        ; implicit-def: $sgpr34
	v_cmpx_eq_u16_e32 0x80, v84
; %bb.8519:                             ;   in Loop: Header=BB4_7984 Depth=3
	s_mov_b32 s34, 0x7f800001
	s_xor_b32 s14, exec_lo, -1
; %bb.8520:                             ;   in Loop: Header=BB4_7984 Depth=3
	s_or_b32 exec_lo, exec_lo, s36
	s_delay_alu instid0(SALU_CYCLE_1)
	s_and_b32 s14, s14, exec_lo
                                        ; implicit-def: $vgpr84
	s_or_saveexec_b32 s35, s35
	v_mov_b32_e32 v12, s34
	s_xor_b32 exec_lo, exec_lo, s35
	s_cbranch_execz .LBB4_8114
.LBB4_8521:                             ;   in Loop: Header=BB4_7984 Depth=3
	v_cmp_ne_u16_e32 vcc_lo, 0, v84
	v_mov_b32_e32 v12, 0
	s_and_not1_b32 s14, s14, exec_lo
	s_and_b32 vcc_lo, vcc_lo, exec_lo
	s_delay_alu instid0(SALU_CYCLE_1)
	s_or_b32 s14, s14, vcc_lo
	s_or_b32 exec_lo, exec_lo, s35
	s_and_saveexec_b32 s34, s14
	s_cbranch_execnz .LBB4_8115
	s_branch .LBB4_8116
.LBB4_8522:                             ;   in Loop: Header=BB4_7984 Depth=3
	s_mov_b32 s14, -1
	s_mov_b32 s36, exec_lo
                                        ; implicit-def: $sgpr34
	v_cmpx_eq_u16_e32 0x80, v85
; %bb.8523:                             ;   in Loop: Header=BB4_7984 Depth=3
	s_mov_b32 s34, 0x7f800001
	s_xor_b32 s14, exec_lo, -1
; %bb.8524:                             ;   in Loop: Header=BB4_7984 Depth=3
	s_or_b32 exec_lo, exec_lo, s36
	s_delay_alu instid0(SALU_CYCLE_1)
	s_and_b32 s14, s14, exec_lo
                                        ; implicit-def: $vgpr85
	s_or_saveexec_b32 s35, s35
	v_mov_b32_e32 v84, s34
	s_xor_b32 exec_lo, exec_lo, s35
	s_cbranch_execz .LBB4_8118
.LBB4_8525:                             ;   in Loop: Header=BB4_7984 Depth=3
	v_cmp_ne_u16_e32 vcc_lo, 0, v85
	v_mov_b32_e32 v84, 0
	s_and_not1_b32 s14, s14, exec_lo
	s_and_b32 vcc_lo, vcc_lo, exec_lo
	s_delay_alu instid0(SALU_CYCLE_1)
	s_or_b32 s14, s14, vcc_lo
	s_or_b32 exec_lo, exec_lo, s35
	s_and_saveexec_b32 s34, s14
	s_cbranch_execnz .LBB4_8119
	s_branch .LBB4_8120
.LBB4_8526:                             ;   in Loop: Header=BB4_7984 Depth=3
	s_mov_b32 s14, -1
	s_mov_b32 s36, exec_lo
                                        ; implicit-def: $sgpr34
	v_cmpx_eq_u16_e32 0x80, v85
; %bb.8527:                             ;   in Loop: Header=BB4_7984 Depth=3
	s_mov_b32 s34, 0x7f800001
	s_xor_b32 s14, exec_lo, -1
; %bb.8528:                             ;   in Loop: Header=BB4_7984 Depth=3
	s_or_b32 exec_lo, exec_lo, s36
	s_delay_alu instid0(SALU_CYCLE_1)
	s_and_b32 s14, s14, exec_lo
	s_or_saveexec_b32 s35, s35
	v_mov_b32_e32 v149, s34
	s_xor_b32 exec_lo, exec_lo, s35
	s_cbranch_execz .LBB4_8132
.LBB4_8529:                             ;   in Loop: Header=BB4_7984 Depth=3
	v_cmp_ne_u16_e32 vcc_lo, 0, v85
	v_mov_b32_e32 v149, 0
	s_and_not1_b32 s14, s14, exec_lo
	s_and_b32 vcc_lo, vcc_lo, exec_lo
	s_delay_alu instid0(SALU_CYCLE_1)
	s_or_b32 s14, s14, vcc_lo
	s_or_b32 exec_lo, exec_lo, s35
	s_and_saveexec_b32 s34, s14
	s_cbranch_execnz .LBB4_8133
	s_branch .LBB4_8134
.LBB4_8530:                             ;   in Loop: Header=BB4_7984 Depth=3
	s_mov_b32 s14, -1
	s_mov_b32 s36, exec_lo
                                        ; implicit-def: $sgpr34
	v_cmpx_eq_u16_e32 0x80, v84
; %bb.8531:                             ;   in Loop: Header=BB4_7984 Depth=3
	s_mov_b32 s34, 0x7f800001
	s_xor_b32 s14, exec_lo, -1
; %bb.8532:                             ;   in Loop: Header=BB4_7984 Depth=3
	s_or_b32 exec_lo, exec_lo, s36
	s_delay_alu instid0(SALU_CYCLE_1)
	s_and_b32 s14, s14, exec_lo
	s_or_saveexec_b32 s35, s35
	v_mov_b32_e32 v150, s34
	s_xor_b32 exec_lo, exec_lo, s35
	s_cbranch_execz .LBB4_8136
.LBB4_8533:                             ;   in Loop: Header=BB4_7984 Depth=3
	v_cmp_ne_u16_e32 vcc_lo, 0, v84
	v_mov_b32_e32 v150, 0
	s_and_not1_b32 s14, s14, exec_lo
	s_and_b32 vcc_lo, vcc_lo, exec_lo
	s_delay_alu instid0(SALU_CYCLE_1)
	s_or_b32 s14, s14, vcc_lo
	s_or_b32 exec_lo, exec_lo, s35
	s_and_saveexec_b32 s34, s14
	s_cbranch_execnz .LBB4_8137
	s_branch .LBB4_8138
.LBB4_8534:                             ;   in Loop: Header=BB4_7984 Depth=3
	s_mov_b32 s14, -1
	s_mov_b32 s36, exec_lo
                                        ; implicit-def: $sgpr34
	v_cmpx_eq_u16_e32 0x80, v85
; %bb.8535:                             ;   in Loop: Header=BB4_7984 Depth=3
	s_mov_b32 s34, 0x7f800001
	s_xor_b32 s14, exec_lo, -1
; %bb.8536:                             ;   in Loop: Header=BB4_7984 Depth=3
	s_or_b32 exec_lo, exec_lo, s36
	s_delay_alu instid0(SALU_CYCLE_1)
	s_and_b32 s14, s14, exec_lo
	s_or_saveexec_b32 s35, s35
	v_mov_b32_e32 v149, s34
	s_xor_b32 exec_lo, exec_lo, s35
	s_cbranch_execz .LBB4_8143
.LBB4_8537:                             ;   in Loop: Header=BB4_7984 Depth=3
	v_cmp_ne_u16_e32 vcc_lo, 0, v85
	v_mov_b32_e32 v149, 0
	s_and_not1_b32 s14, s14, exec_lo
	s_and_b32 vcc_lo, vcc_lo, exec_lo
	s_delay_alu instid0(SALU_CYCLE_1)
	s_or_b32 s14, s14, vcc_lo
	s_or_b32 exec_lo, exec_lo, s35
	s_and_saveexec_b32 s34, s14
	s_cbranch_execnz .LBB4_8144
	s_branch .LBB4_8145
.LBB4_8538:                             ;   in Loop: Header=BB4_7984 Depth=3
	s_mov_b32 s14, -1
	s_mov_b32 s36, exec_lo
                                        ; implicit-def: $sgpr34
	v_cmpx_eq_u16_e32 0x80, v84
; %bb.8539:                             ;   in Loop: Header=BB4_7984 Depth=3
	s_mov_b32 s34, 0x7f800001
	s_xor_b32 s14, exec_lo, -1
; %bb.8540:                             ;   in Loop: Header=BB4_7984 Depth=3
	s_or_b32 exec_lo, exec_lo, s36
	s_delay_alu instid0(SALU_CYCLE_1)
	s_and_b32 s14, s14, exec_lo
	s_or_saveexec_b32 s35, s35
	v_mov_b32_e32 v85, s34
	s_xor_b32 exec_lo, exec_lo, s35
	s_cbranch_execz .LBB4_8147
.LBB4_8541:                             ;   in Loop: Header=BB4_7984 Depth=3
	v_cmp_ne_u16_e32 vcc_lo, 0, v84
	v_mov_b32_e32 v85, 0
	s_and_not1_b32 s14, s14, exec_lo
	s_and_b32 vcc_lo, vcc_lo, exec_lo
	s_delay_alu instid0(SALU_CYCLE_1)
	s_or_b32 s14, s14, vcc_lo
	s_or_b32 exec_lo, exec_lo, s35
	s_and_saveexec_b32 s34, s14
	s_cbranch_execnz .LBB4_8148
	s_branch .LBB4_8149
.LBB4_8542:                             ;   in Loop: Header=BB4_7984 Depth=3
	s_mov_b32 s14, -1
	s_mov_b32 s36, exec_lo
                                        ; implicit-def: $sgpr34
	v_cmpx_eq_u16_e64 0x80, v151
; %bb.8543:                             ;   in Loop: Header=BB4_7984 Depth=3
	s_mov_b32 s34, 0x7f800001
	s_xor_b32 s14, exec_lo, -1
; %bb.8544:                             ;   in Loop: Header=BB4_7984 Depth=3
	s_or_b32 exec_lo, exec_lo, s36
	s_delay_alu instid0(SALU_CYCLE_1)
	s_and_b32 s14, s14, exec_lo
                                        ; implicit-def: $vgpr151
	s_or_saveexec_b32 s35, s35
	v_mov_b32_e32 v150, s34
	s_xor_b32 exec_lo, exec_lo, s35
	s_cbranch_execz .LBB4_8161
.LBB4_8545:                             ;   in Loop: Header=BB4_7984 Depth=3
	v_cmp_ne_u16_e64 vcc_lo, 0, v151
	v_mov_b32_e32 v150, 0
	s_and_not1_b32 s14, s14, exec_lo
	s_delay_alu instid0(VALU_DEP_2) | instskip(NEXT) | instid1(SALU_CYCLE_1)
	s_and_b32 vcc_lo, vcc_lo, exec_lo
	s_or_b32 s14, s14, vcc_lo
	s_or_b32 exec_lo, exec_lo, s35
	s_and_saveexec_b32 s34, s14
	s_cbranch_execnz .LBB4_8162
	s_branch .LBB4_8163
.LBB4_8546:                             ;   in Loop: Header=BB4_7984 Depth=3
	s_mov_b32 s14, -1
	s_mov_b32 s36, exec_lo
                                        ; implicit-def: $sgpr34
	v_cmpx_eq_u16_e64 0x80, v160
; %bb.8547:                             ;   in Loop: Header=BB4_7984 Depth=3
	s_mov_b32 s34, 0x7f800001
	s_xor_b32 s14, exec_lo, -1
; %bb.8548:                             ;   in Loop: Header=BB4_7984 Depth=3
	s_or_b32 exec_lo, exec_lo, s36
	s_delay_alu instid0(SALU_CYCLE_1)
	s_and_b32 s14, s14, exec_lo
                                        ; implicit-def: $vgpr160
	s_or_saveexec_b32 s35, s35
	v_mov_b32_e32 v151, s34
	s_xor_b32 exec_lo, exec_lo, s35
	s_cbranch_execz .LBB4_8165
.LBB4_8549:                             ;   in Loop: Header=BB4_7984 Depth=3
	v_cmp_ne_u16_e64 vcc_lo, 0, v160
	v_mov_b32_e32 v151, 0
	s_and_not1_b32 s14, s14, exec_lo
	s_delay_alu instid0(VALU_DEP_2) | instskip(NEXT) | instid1(SALU_CYCLE_1)
	s_and_b32 vcc_lo, vcc_lo, exec_lo
	s_or_b32 s14, s14, vcc_lo
	s_or_b32 exec_lo, exec_lo, s35
	s_and_saveexec_b32 s34, s14
	s_cbranch_execnz .LBB4_8166
	s_branch .LBB4_8167
.LBB4_8550:                             ;   in Loop: Header=BB4_7984 Depth=3
	s_mov_b32 s14, -1
	s_mov_b32 s36, exec_lo
                                        ; implicit-def: $sgpr34
	v_cmpx_eq_u16_e64 0x80, v151
; %bb.8551:                             ;   in Loop: Header=BB4_7984 Depth=3
	s_mov_b32 s34, 0x7f800001
	s_xor_b32 s14, exec_lo, -1
; %bb.8552:                             ;   in Loop: Header=BB4_7984 Depth=3
	s_or_b32 exec_lo, exec_lo, s36
	s_delay_alu instid0(SALU_CYCLE_1)
	s_and_b32 s14, s14, exec_lo
                                        ; implicit-def: $vgpr151
	s_or_saveexec_b32 s35, s35
	v_mov_b32_e32 v150, s34
	s_xor_b32 exec_lo, exec_lo, s35
	s_cbranch_execz .LBB4_8172
.LBB4_8553:                             ;   in Loop: Header=BB4_7984 Depth=3
	v_cmp_ne_u16_e64 vcc_lo, 0, v151
	v_mov_b32_e32 v150, 0
	s_and_not1_b32 s14, s14, exec_lo
	s_delay_alu instid0(VALU_DEP_2) | instskip(NEXT) | instid1(SALU_CYCLE_1)
	s_and_b32 vcc_lo, vcc_lo, exec_lo
	s_or_b32 s14, s14, vcc_lo
	s_or_b32 exec_lo, exec_lo, s35
	s_and_saveexec_b32 s34, s14
	s_cbranch_execnz .LBB4_8173
	s_branch .LBB4_8174
.LBB4_8554:                             ;   in Loop: Header=BB4_7984 Depth=3
	s_mov_b32 s14, -1
	s_mov_b32 s36, exec_lo
                                        ; implicit-def: $sgpr34
	v_cmpx_eq_u16_e64 0x80, v151
; %bb.8555:                             ;   in Loop: Header=BB4_7984 Depth=3
	s_mov_b32 s34, 0x7f800001
	s_xor_b32 s14, exec_lo, -1
; %bb.8556:                             ;   in Loop: Header=BB4_7984 Depth=3
	s_or_b32 exec_lo, exec_lo, s36
	s_delay_alu instid0(SALU_CYCLE_1)
	s_and_b32 s14, s14, exec_lo
                                        ; implicit-def: $vgpr151
	s_or_saveexec_b32 s35, s35
	v_mov_b32_e32 v149, s34
	s_xor_b32 exec_lo, exec_lo, s35
	s_cbranch_execz .LBB4_8176
.LBB4_8557:                             ;   in Loop: Header=BB4_7984 Depth=3
	v_cmp_ne_u16_e64 vcc_lo, 0, v151
	v_mov_b32_e32 v149, 0
	s_and_not1_b32 s14, s14, exec_lo
	s_delay_alu instid0(VALU_DEP_2) | instskip(NEXT) | instid1(SALU_CYCLE_1)
	s_and_b32 vcc_lo, vcc_lo, exec_lo
	s_or_b32 s14, s14, vcc_lo
	s_or_b32 exec_lo, exec_lo, s35
	s_and_saveexec_b32 s34, s14
	s_cbranch_execnz .LBB4_8177
	s_branch .LBB4_8178
.LBB4_8558:                             ;   in Loop: Header=BB4_7984 Depth=3
	s_mov_b32 s14, -1
	s_mov_b32 s36, exec_lo
                                        ; implicit-def: $sgpr34
	v_cmpx_eq_u16_e64 0x80, v150
; %bb.8559:                             ;   in Loop: Header=BB4_7984 Depth=3
	s_mov_b32 s34, 0x7f800001
	s_xor_b32 s14, exec_lo, -1
; %bb.8560:                             ;   in Loop: Header=BB4_7984 Depth=3
	s_or_b32 exec_lo, exec_lo, s36
	s_delay_alu instid0(SALU_CYCLE_1)
	s_and_b32 s14, s14, exec_lo
	s_or_saveexec_b32 s35, s35
	v_mov_b32_e32 v151, s34
	s_xor_b32 exec_lo, exec_lo, s35
	s_cbranch_execz .LBB4_8190
.LBB4_8561:                             ;   in Loop: Header=BB4_7984 Depth=3
	v_cmp_ne_u16_e64 vcc_lo, 0, v150
	v_mov_b32_e32 v151, 0
	s_and_not1_b32 s14, s14, exec_lo
	s_delay_alu instid0(VALU_DEP_2) | instskip(NEXT) | instid1(SALU_CYCLE_1)
	s_and_b32 vcc_lo, vcc_lo, exec_lo
	s_or_b32 s14, s14, vcc_lo
	s_or_b32 exec_lo, exec_lo, s35
	s_and_saveexec_b32 s34, s14
	s_cbranch_execnz .LBB4_8191
	s_branch .LBB4_8192
.LBB4_8562:                             ;   in Loop: Header=BB4_7984 Depth=3
	s_mov_b32 s14, -1
	s_mov_b32 s36, exec_lo
                                        ; implicit-def: $sgpr34
	v_cmpx_eq_u16_e64 0x80, v149
; %bb.8563:                             ;   in Loop: Header=BB4_7984 Depth=3
	s_mov_b32 s34, 0x7f800001
	s_xor_b32 s14, exec_lo, -1
; %bb.8564:                             ;   in Loop: Header=BB4_7984 Depth=3
	s_or_b32 exec_lo, exec_lo, s36
	s_delay_alu instid0(SALU_CYCLE_1)
	s_and_b32 s14, s14, exec_lo
	s_or_saveexec_b32 s35, s35
	v_mov_b32_e32 v160, s34
	s_xor_b32 exec_lo, exec_lo, s35
	s_cbranch_execz .LBB4_8194
.LBB4_8565:                             ;   in Loop: Header=BB4_7984 Depth=3
	v_cmp_ne_u16_e64 vcc_lo, 0, v149
	v_mov_b32_e32 v160, 0
	s_and_not1_b32 s14, s14, exec_lo
	s_delay_alu instid0(VALU_DEP_2) | instskip(NEXT) | instid1(SALU_CYCLE_1)
	s_and_b32 vcc_lo, vcc_lo, exec_lo
	s_or_b32 s14, s14, vcc_lo
	s_or_b32 exec_lo, exec_lo, s35
	s_and_saveexec_b32 s34, s14
	s_cbranch_execnz .LBB4_8195
	s_branch .LBB4_8196
.LBB4_8566:                             ;   in Loop: Header=BB4_7984 Depth=3
	s_mov_b32 s14, -1
	s_mov_b32 s36, exec_lo
                                        ; implicit-def: $sgpr34
	v_cmpx_eq_u16_e64 0x80, v150
; %bb.8567:                             ;   in Loop: Header=BB4_7984 Depth=3
	s_mov_b32 s34, 0x7f800001
	s_xor_b32 s14, exec_lo, -1
; %bb.8568:                             ;   in Loop: Header=BB4_7984 Depth=3
	s_or_b32 exec_lo, exec_lo, s36
	s_delay_alu instid0(SALU_CYCLE_1)
	s_and_b32 s14, s14, exec_lo
	s_or_saveexec_b32 s35, s35
	v_mov_b32_e32 v151, s34
	s_xor_b32 exec_lo, exec_lo, s35
	s_cbranch_execz .LBB4_8201
.LBB4_8569:                             ;   in Loop: Header=BB4_7984 Depth=3
	v_cmp_ne_u16_e64 vcc_lo, 0, v150
	v_mov_b32_e32 v151, 0
	s_and_not1_b32 s14, s14, exec_lo
	s_delay_alu instid0(VALU_DEP_2) | instskip(NEXT) | instid1(SALU_CYCLE_1)
	s_and_b32 vcc_lo, vcc_lo, exec_lo
	s_or_b32 s14, s14, vcc_lo
	s_or_b32 exec_lo, exec_lo, s35
	s_and_saveexec_b32 s34, s14
	s_cbranch_execnz .LBB4_8202
	s_branch .LBB4_8203
.LBB4_8570:                             ;   in Loop: Header=BB4_7984 Depth=3
	s_mov_b32 s14, -1
	s_mov_b32 s36, exec_lo
                                        ; implicit-def: $sgpr34
	v_cmpx_eq_u16_e64 0x80, v149
; %bb.8571:                             ;   in Loop: Header=BB4_7984 Depth=3
	s_mov_b32 s34, 0x7f800001
	s_xor_b32 s14, exec_lo, -1
; %bb.8572:                             ;   in Loop: Header=BB4_7984 Depth=3
	s_or_b32 exec_lo, exec_lo, s36
	s_delay_alu instid0(SALU_CYCLE_1)
	s_and_b32 s14, s14, exec_lo
	s_or_saveexec_b32 s35, s35
	v_mov_b32_e32 v13, s34
	s_xor_b32 exec_lo, exec_lo, s35
	s_cbranch_execz .LBB4_8205
.LBB4_8573:                             ;   in Loop: Header=BB4_7984 Depth=3
	v_cmp_ne_u16_e64 vcc_lo, 0, v149
	v_mov_b32_e32 v13, 0
	s_and_not1_b32 s14, s14, exec_lo
	s_delay_alu instid0(VALU_DEP_2) | instskip(NEXT) | instid1(SALU_CYCLE_1)
	s_and_b32 vcc_lo, vcc_lo, exec_lo
	s_or_b32 s14, s14, vcc_lo
	s_or_b32 exec_lo, exec_lo, s35
	s_and_saveexec_b32 s34, s14
	s_cbranch_execnz .LBB4_8206
	s_branch .LBB4_8207
.LBB4_8574:                             ;   in Loop: Header=BB4_7984 Depth=3
	s_mov_b32 s14, -1
	s_mov_b32 s36, exec_lo
                                        ; implicit-def: $sgpr34
	v_cmpx_eq_u16_e64 0x80, v149
; %bb.8575:                             ;   in Loop: Header=BB4_7984 Depth=3
	s_mov_b32 s34, 0x7f800001
	s_xor_b32 s14, exec_lo, -1
; %bb.8576:                             ;   in Loop: Header=BB4_7984 Depth=3
	s_or_b32 exec_lo, exec_lo, s36
	s_delay_alu instid0(SALU_CYCLE_1)
	s_and_b32 s14, s14, exec_lo
                                        ; implicit-def: $vgpr149
	s_or_saveexec_b32 s35, s35
	v_mov_b32_e32 v13, s34
	s_xor_b32 exec_lo, exec_lo, s35
	s_cbranch_execz .LBB4_8219
.LBB4_8577:                             ;   in Loop: Header=BB4_7984 Depth=3
	v_cmp_ne_u16_e64 vcc_lo, 0, v149
	v_mov_b32_e32 v13, 0
	s_and_not1_b32 s14, s14, exec_lo
	s_delay_alu instid0(VALU_DEP_2) | instskip(NEXT) | instid1(SALU_CYCLE_1)
	s_and_b32 vcc_lo, vcc_lo, exec_lo
	s_or_b32 s14, s14, vcc_lo
	s_or_b32 exec_lo, exec_lo, s35
	s_and_saveexec_b32 s34, s14
	s_cbranch_execnz .LBB4_8220
	s_branch .LBB4_8221
.LBB4_8578:                             ;   in Loop: Header=BB4_7984 Depth=3
	s_mov_b32 s14, -1
	s_mov_b32 s36, exec_lo
                                        ; implicit-def: $sgpr34
	v_cmpx_eq_u16_e64 0x80, v150
; %bb.8579:                             ;   in Loop: Header=BB4_7984 Depth=3
	s_mov_b32 s34, 0x7f800001
	s_xor_b32 s14, exec_lo, -1
; %bb.8580:                             ;   in Loop: Header=BB4_7984 Depth=3
	s_or_b32 exec_lo, exec_lo, s36
	s_delay_alu instid0(SALU_CYCLE_1)
	s_and_b32 s14, s14, exec_lo
                                        ; implicit-def: $vgpr150
	s_or_saveexec_b32 s35, s35
	v_mov_b32_e32 v149, s34
	s_xor_b32 exec_lo, exec_lo, s35
	s_cbranch_execz .LBB4_8223
.LBB4_8581:                             ;   in Loop: Header=BB4_7984 Depth=3
	v_cmp_ne_u16_e64 vcc_lo, 0, v150
	v_mov_b32_e32 v149, 0
	s_and_not1_b32 s14, s14, exec_lo
	s_delay_alu instid0(VALU_DEP_2) | instskip(NEXT) | instid1(SALU_CYCLE_1)
	s_and_b32 vcc_lo, vcc_lo, exec_lo
	s_or_b32 s14, s14, vcc_lo
	s_or_b32 exec_lo, exec_lo, s35
	s_and_saveexec_b32 s34, s14
	s_cbranch_execnz .LBB4_8224
	s_branch .LBB4_8225
.LBB4_8582:                             ;   in Loop: Header=BB4_7984 Depth=3
	s_mov_b32 s14, -1
	s_mov_b32 s36, exec_lo
                                        ; implicit-def: $sgpr34
	v_cmpx_eq_u16_e64 0x80, v149
; %bb.8583:                             ;   in Loop: Header=BB4_7984 Depth=3
	s_mov_b32 s34, 0x7f800001
	s_xor_b32 s14, exec_lo, -1
; %bb.8584:                             ;   in Loop: Header=BB4_7984 Depth=3
	s_or_b32 exec_lo, exec_lo, s36
	s_delay_alu instid0(SALU_CYCLE_1)
	s_and_b32 s14, s14, exec_lo
                                        ; implicit-def: $vgpr149
	s_or_saveexec_b32 s35, s35
	v_mov_b32_e32 v13, s34
	s_xor_b32 exec_lo, exec_lo, s35
	s_cbranch_execz .LBB4_8230
.LBB4_8585:                             ;   in Loop: Header=BB4_7984 Depth=3
	v_cmp_ne_u16_e64 vcc_lo, 0, v149
	v_mov_b32_e32 v13, 0
	s_and_not1_b32 s14, s14, exec_lo
	s_delay_alu instid0(VALU_DEP_2) | instskip(NEXT) | instid1(SALU_CYCLE_1)
	s_and_b32 vcc_lo, vcc_lo, exec_lo
	s_or_b32 s14, s14, vcc_lo
	s_or_b32 exec_lo, exec_lo, s35
	s_and_saveexec_b32 s34, s14
	s_cbranch_execnz .LBB4_8231
	s_branch .LBB4_8232
.LBB4_8586:                             ;   in Loop: Header=BB4_7984 Depth=3
	s_mov_b32 s14, -1
	s_mov_b32 s36, exec_lo
                                        ; implicit-def: $sgpr34
	v_cmpx_eq_u16_e64 0x80, v150
; %bb.8587:                             ;   in Loop: Header=BB4_7984 Depth=3
	s_mov_b32 s34, 0x7f800001
	s_xor_b32 s14, exec_lo, -1
; %bb.8588:                             ;   in Loop: Header=BB4_7984 Depth=3
	s_or_b32 exec_lo, exec_lo, s36
	s_delay_alu instid0(SALU_CYCLE_1)
	s_and_b32 s14, s14, exec_lo
                                        ; implicit-def: $vgpr150
	s_or_saveexec_b32 s35, s35
	v_mov_b32_e32 v149, s34
	s_xor_b32 exec_lo, exec_lo, s35
	s_cbranch_execz .LBB4_8234
.LBB4_8589:                             ;   in Loop: Header=BB4_7984 Depth=3
	v_cmp_ne_u16_e64 vcc_lo, 0, v150
	v_mov_b32_e32 v149, 0
	s_and_not1_b32 s14, s14, exec_lo
	s_delay_alu instid0(VALU_DEP_2) | instskip(NEXT) | instid1(SALU_CYCLE_1)
	s_and_b32 vcc_lo, vcc_lo, exec_lo
	s_or_b32 s14, s14, vcc_lo
	s_or_b32 exec_lo, exec_lo, s35
	s_and_saveexec_b32 s34, s14
	s_cbranch_execnz .LBB4_8235
	s_branch .LBB4_8236
.LBB4_8590:                             ;   in Loop: Header=BB4_7984 Depth=3
	s_mov_b32 s14, -1
	s_mov_b32 s36, exec_lo
                                        ; implicit-def: $sgpr34
	v_cmpx_eq_u16_e64 0x80, v150
; %bb.8591:                             ;   in Loop: Header=BB4_7984 Depth=3
	s_mov_b32 s34, 0x7f800001
	s_xor_b32 s14, exec_lo, -1
; %bb.8592:                             ;   in Loop: Header=BB4_7984 Depth=3
	s_or_b32 exec_lo, exec_lo, s36
	s_delay_alu instid0(SALU_CYCLE_1)
	s_and_b32 s14, s14, exec_lo
	s_or_saveexec_b32 s35, s35
	v_mov_b32_e32 v151, s34
	s_xor_b32 exec_lo, exec_lo, s35
	s_cbranch_execz .LBB4_8248
.LBB4_8593:                             ;   in Loop: Header=BB4_7984 Depth=3
	v_cmp_ne_u16_e64 vcc_lo, 0, v150
	v_mov_b32_e32 v151, 0
	s_and_not1_b32 s14, s14, exec_lo
	s_delay_alu instid0(VALU_DEP_2) | instskip(NEXT) | instid1(SALU_CYCLE_1)
	s_and_b32 vcc_lo, vcc_lo, exec_lo
	s_or_b32 s14, s14, vcc_lo
	s_or_b32 exec_lo, exec_lo, s35
	s_and_saveexec_b32 s34, s14
	s_cbranch_execnz .LBB4_8249
	s_branch .LBB4_8250
.LBB4_8594:                             ;   in Loop: Header=BB4_7984 Depth=3
	s_mov_b32 s14, -1
	s_mov_b32 s36, exec_lo
                                        ; implicit-def: $sgpr34
	v_cmpx_eq_u16_e64 0x80, v149
; %bb.8595:                             ;   in Loop: Header=BB4_7984 Depth=3
	s_mov_b32 s34, 0x7f800001
	s_xor_b32 s14, exec_lo, -1
; %bb.8596:                             ;   in Loop: Header=BB4_7984 Depth=3
	s_or_b32 exec_lo, exec_lo, s36
	s_delay_alu instid0(SALU_CYCLE_1)
	s_and_b32 s14, s14, exec_lo
	s_or_saveexec_b32 s35, s35
	v_mov_b32_e32 v160, s34
	s_xor_b32 exec_lo, exec_lo, s35
	s_cbranch_execz .LBB4_8252
.LBB4_8597:                             ;   in Loop: Header=BB4_7984 Depth=3
	v_cmp_ne_u16_e64 vcc_lo, 0, v149
	v_mov_b32_e32 v160, 0
	s_and_not1_b32 s14, s14, exec_lo
	s_delay_alu instid0(VALU_DEP_2) | instskip(NEXT) | instid1(SALU_CYCLE_1)
	s_and_b32 vcc_lo, vcc_lo, exec_lo
	s_or_b32 s14, s14, vcc_lo
	s_or_b32 exec_lo, exec_lo, s35
	s_and_saveexec_b32 s34, s14
	s_cbranch_execnz .LBB4_8253
	s_branch .LBB4_8254
.LBB4_8598:                             ;   in Loop: Header=BB4_7984 Depth=3
	s_mov_b32 s14, -1
	s_mov_b32 s36, exec_lo
                                        ; implicit-def: $sgpr34
	v_cmpx_eq_u16_e64 0x80, v150
; %bb.8599:                             ;   in Loop: Header=BB4_7984 Depth=3
	s_mov_b32 s34, 0x7f800001
	s_xor_b32 s14, exec_lo, -1
; %bb.8600:                             ;   in Loop: Header=BB4_7984 Depth=3
	s_or_b32 exec_lo, exec_lo, s36
	s_delay_alu instid0(SALU_CYCLE_1)
	s_and_b32 s14, s14, exec_lo
	s_or_saveexec_b32 s35, s35
	v_mov_b32_e32 v151, s34
	s_xor_b32 exec_lo, exec_lo, s35
	s_cbranch_execz .LBB4_8259
.LBB4_8601:                             ;   in Loop: Header=BB4_7984 Depth=3
	v_cmp_ne_u16_e64 vcc_lo, 0, v150
	v_mov_b32_e32 v151, 0
	s_and_not1_b32 s14, s14, exec_lo
	s_delay_alu instid0(VALU_DEP_2) | instskip(NEXT) | instid1(SALU_CYCLE_1)
	s_and_b32 vcc_lo, vcc_lo, exec_lo
	s_or_b32 s14, s14, vcc_lo
	s_or_b32 exec_lo, exec_lo, s35
	s_and_saveexec_b32 s34, s14
	s_cbranch_execnz .LBB4_8260
	s_branch .LBB4_8261
.LBB4_8602:                             ;   in Loop: Header=BB4_7984 Depth=3
	s_mov_b32 s14, -1
	s_mov_b32 s36, exec_lo
                                        ; implicit-def: $sgpr34
	v_cmpx_eq_u16_e64 0x80, v149
; %bb.8603:                             ;   in Loop: Header=BB4_7984 Depth=3
	s_mov_b32 s34, 0x7f800001
	s_xor_b32 s14, exec_lo, -1
; %bb.8604:                             ;   in Loop: Header=BB4_7984 Depth=3
	s_or_b32 exec_lo, exec_lo, s36
	s_delay_alu instid0(SALU_CYCLE_1)
	s_and_b32 s14, s14, exec_lo
	s_or_saveexec_b32 s35, s35
	v_mov_b32_e32 v150, s34
	s_xor_b32 exec_lo, exec_lo, s35
	s_cbranch_execz .LBB4_8263
.LBB4_8605:                             ;   in Loop: Header=BB4_7984 Depth=3
	v_cmp_ne_u16_e64 vcc_lo, 0, v149
	v_mov_b32_e32 v150, 0
	s_and_not1_b32 s14, s14, exec_lo
	s_delay_alu instid0(VALU_DEP_2) | instskip(NEXT) | instid1(SALU_CYCLE_1)
	s_and_b32 vcc_lo, vcc_lo, exec_lo
	s_or_b32 s14, s14, vcc_lo
	s_or_b32 exec_lo, exec_lo, s35
	s_and_saveexec_b32 s34, s14
	s_cbranch_execnz .LBB4_8264
	s_branch .LBB4_8265
.LBB4_8606:                             ;   in Loop: Header=BB4_7984 Depth=3
	s_mov_b32 s14, -1
	s_mov_b32 s36, exec_lo
                                        ; implicit-def: $sgpr34
	v_cmpx_eq_u16_e64 0x80, v161
; %bb.8607:                             ;   in Loop: Header=BB4_7984 Depth=3
	s_mov_b32 s34, 0x7f800001
	s_xor_b32 s14, exec_lo, -1
; %bb.8608:                             ;   in Loop: Header=BB4_7984 Depth=3
	s_or_b32 exec_lo, exec_lo, s36
	s_delay_alu instid0(SALU_CYCLE_1)
	s_and_b32 s14, s14, exec_lo
                                        ; implicit-def: $vgpr161
	s_or_saveexec_b32 s35, s35
	v_mov_b32_e32 v160, s34
	s_xor_b32 exec_lo, exec_lo, s35
	s_cbranch_execz .LBB4_8277
.LBB4_8609:                             ;   in Loop: Header=BB4_7984 Depth=3
	v_cmp_ne_u16_e64 vcc_lo, 0, v161
	v_mov_b32_e32 v160, 0
	s_and_not1_b32 s14, s14, exec_lo
	s_delay_alu instid0(VALU_DEP_2) | instskip(NEXT) | instid1(SALU_CYCLE_1)
	s_and_b32 vcc_lo, vcc_lo, exec_lo
	s_or_b32 s14, s14, vcc_lo
	s_or_b32 exec_lo, exec_lo, s35
	s_and_saveexec_b32 s34, s14
	s_cbranch_execnz .LBB4_8278
	s_branch .LBB4_8279
.LBB4_8610:                             ;   in Loop: Header=BB4_7984 Depth=3
	s_mov_b32 s14, -1
	s_mov_b32 s36, exec_lo
                                        ; implicit-def: $sgpr34
	v_cmpx_eq_u16_e64 0x80, v162
; %bb.8611:                             ;   in Loop: Header=BB4_7984 Depth=3
	s_mov_b32 s34, 0x7f800001
	s_xor_b32 s14, exec_lo, -1
; %bb.8612:                             ;   in Loop: Header=BB4_7984 Depth=3
	s_or_b32 exec_lo, exec_lo, s36
	s_delay_alu instid0(SALU_CYCLE_1)
	s_and_b32 s14, s14, exec_lo
                                        ; implicit-def: $vgpr162
	s_or_saveexec_b32 s35, s35
	v_mov_b32_e32 v161, s34
	s_xor_b32 exec_lo, exec_lo, s35
	s_cbranch_execz .LBB4_8281
.LBB4_8613:                             ;   in Loop: Header=BB4_7984 Depth=3
	v_cmp_ne_u16_e64 vcc_lo, 0, v162
	v_mov_b32_e32 v161, 0
	s_and_not1_b32 s14, s14, exec_lo
	s_delay_alu instid0(VALU_DEP_2) | instskip(NEXT) | instid1(SALU_CYCLE_1)
	s_and_b32 vcc_lo, vcc_lo, exec_lo
	s_or_b32 s14, s14, vcc_lo
	s_or_b32 exec_lo, exec_lo, s35
	s_and_saveexec_b32 s34, s14
	s_cbranch_execnz .LBB4_8282
	s_branch .LBB4_8283
.LBB4_8614:                             ;   in Loop: Header=BB4_7984 Depth=3
	s_mov_b32 s14, -1
	s_mov_b32 s36, exec_lo
                                        ; implicit-def: $sgpr34
	v_cmpx_eq_u16_e64 0x80, v161
; %bb.8615:                             ;   in Loop: Header=BB4_7984 Depth=3
	s_mov_b32 s34, 0x7f800001
	s_xor_b32 s14, exec_lo, -1
; %bb.8616:                             ;   in Loop: Header=BB4_7984 Depth=3
	s_or_b32 exec_lo, exec_lo, s36
	s_delay_alu instid0(SALU_CYCLE_1)
	s_and_b32 s14, s14, exec_lo
                                        ; implicit-def: $vgpr161
	s_or_saveexec_b32 s35, s35
	v_mov_b32_e32 v160, s34
	s_xor_b32 exec_lo, exec_lo, s35
	s_cbranch_execz .LBB4_8288
.LBB4_8617:                             ;   in Loop: Header=BB4_7984 Depth=3
	v_cmp_ne_u16_e64 vcc_lo, 0, v161
	v_mov_b32_e32 v160, 0
	s_and_not1_b32 s14, s14, exec_lo
	s_delay_alu instid0(VALU_DEP_2) | instskip(NEXT) | instid1(SALU_CYCLE_1)
	s_and_b32 vcc_lo, vcc_lo, exec_lo
	s_or_b32 s14, s14, vcc_lo
	s_or_b32 exec_lo, exec_lo, s35
	s_and_saveexec_b32 s34, s14
	s_cbranch_execnz .LBB4_8289
	s_branch .LBB4_8290
.LBB4_8618:                             ;   in Loop: Header=BB4_7984 Depth=3
	s_mov_b32 s14, -1
	s_mov_b32 s36, exec_lo
                                        ; implicit-def: $sgpr34
	v_cmpx_eq_u16_e64 0x80, v161
; %bb.8619:                             ;   in Loop: Header=BB4_7984 Depth=3
	s_mov_b32 s34, 0x7f800001
	s_xor_b32 s14, exec_lo, -1
; %bb.8620:                             ;   in Loop: Header=BB4_7984 Depth=3
	s_or_b32 exec_lo, exec_lo, s36
	s_delay_alu instid0(SALU_CYCLE_1)
	s_and_b32 s14, s14, exec_lo
                                        ; implicit-def: $vgpr161
	s_or_saveexec_b32 s35, s35
	v_mov_b32_e32 v151, s34
	s_xor_b32 exec_lo, exec_lo, s35
	s_cbranch_execz .LBB4_8292
.LBB4_8621:                             ;   in Loop: Header=BB4_7984 Depth=3
	v_cmp_ne_u16_e64 vcc_lo, 0, v161
	v_mov_b32_e32 v151, 0
	s_and_not1_b32 s14, s14, exec_lo
	s_delay_alu instid0(VALU_DEP_2) | instskip(NEXT) | instid1(SALU_CYCLE_1)
	s_and_b32 vcc_lo, vcc_lo, exec_lo
	s_or_b32 s14, s14, vcc_lo
	s_or_b32 exec_lo, exec_lo, s35
	s_and_saveexec_b32 s34, s14
	s_cbranch_execnz .LBB4_8293
	s_branch .LBB4_8294
.LBB4_8622:                             ;   in Loop: Header=BB4_7984 Depth=3
	s_mov_b32 s14, -1
	s_mov_b32 s36, exec_lo
                                        ; implicit-def: $sgpr34
	v_cmpx_eq_u16_e64 0x80, v160
; %bb.8623:                             ;   in Loop: Header=BB4_7984 Depth=3
	s_mov_b32 s34, 0x7f800001
	s_xor_b32 s14, exec_lo, -1
; %bb.8624:                             ;   in Loop: Header=BB4_7984 Depth=3
	s_or_b32 exec_lo, exec_lo, s36
	s_delay_alu instid0(SALU_CYCLE_1)
	s_and_b32 s14, s14, exec_lo
	s_or_saveexec_b32 s35, s35
	v_mov_b32_e32 v161, s34
	s_xor_b32 exec_lo, exec_lo, s35
	s_cbranch_execz .LBB4_8306
.LBB4_8625:                             ;   in Loop: Header=BB4_7984 Depth=3
	v_cmp_ne_u16_e64 vcc_lo, 0, v160
	v_mov_b32_e32 v161, 0
	s_and_not1_b32 s14, s14, exec_lo
	s_delay_alu instid0(VALU_DEP_2) | instskip(NEXT) | instid1(SALU_CYCLE_1)
	s_and_b32 vcc_lo, vcc_lo, exec_lo
	s_or_b32 s14, s14, vcc_lo
	s_or_b32 exec_lo, exec_lo, s35
	s_and_saveexec_b32 s34, s14
	s_cbranch_execnz .LBB4_8307
	s_branch .LBB4_8308
.LBB4_8626:                             ;   in Loop: Header=BB4_7984 Depth=3
	s_mov_b32 s14, -1
	s_mov_b32 s36, exec_lo
                                        ; implicit-def: $sgpr34
	v_cmpx_eq_u16_e64 0x80, v151
; %bb.8627:                             ;   in Loop: Header=BB4_7984 Depth=3
	s_mov_b32 s34, 0x7f800001
	s_xor_b32 s14, exec_lo, -1
; %bb.8628:                             ;   in Loop: Header=BB4_7984 Depth=3
	s_or_b32 exec_lo, exec_lo, s36
	s_delay_alu instid0(SALU_CYCLE_1)
	s_and_b32 s14, s14, exec_lo
	s_or_saveexec_b32 s35, s35
	v_mov_b32_e32 v162, s34
	s_xor_b32 exec_lo, exec_lo, s35
	s_cbranch_execz .LBB4_8310
.LBB4_8629:                             ;   in Loop: Header=BB4_7984 Depth=3
	v_cmp_ne_u16_e64 vcc_lo, 0, v151
	v_mov_b32_e32 v162, 0
	s_and_not1_b32 s14, s14, exec_lo
	s_delay_alu instid0(VALU_DEP_2) | instskip(NEXT) | instid1(SALU_CYCLE_1)
	s_and_b32 vcc_lo, vcc_lo, exec_lo
	s_or_b32 s14, s14, vcc_lo
	s_or_b32 exec_lo, exec_lo, s35
	s_and_saveexec_b32 s34, s14
	s_cbranch_execnz .LBB4_8311
	s_branch .LBB4_8312
.LBB4_8630:                             ;   in Loop: Header=BB4_7984 Depth=3
	s_mov_b32 s14, -1
	s_mov_b32 s36, exec_lo
                                        ; implicit-def: $sgpr34
	v_cmpx_eq_u16_e64 0x80, v160
; %bb.8631:                             ;   in Loop: Header=BB4_7984 Depth=3
	s_mov_b32 s34, 0x7f800001
	s_xor_b32 s14, exec_lo, -1
; %bb.8632:                             ;   in Loop: Header=BB4_7984 Depth=3
	s_or_b32 exec_lo, exec_lo, s36
	s_delay_alu instid0(SALU_CYCLE_1)
	s_and_b32 s14, s14, exec_lo
	s_or_saveexec_b32 s35, s35
	v_mov_b32_e32 v161, s34
	s_xor_b32 exec_lo, exec_lo, s35
	s_cbranch_execz .LBB4_8317
.LBB4_8633:                             ;   in Loop: Header=BB4_7984 Depth=3
	v_cmp_ne_u16_e64 vcc_lo, 0, v160
	v_mov_b32_e32 v161, 0
	s_and_not1_b32 s14, s14, exec_lo
	s_delay_alu instid0(VALU_DEP_2) | instskip(NEXT) | instid1(SALU_CYCLE_1)
	s_and_b32 vcc_lo, vcc_lo, exec_lo
	s_or_b32 s14, s14, vcc_lo
	s_or_b32 exec_lo, exec_lo, s35
	s_and_saveexec_b32 s34, s14
	s_cbranch_execnz .LBB4_8318
	s_branch .LBB4_8319
.LBB4_8634:                             ;   in Loop: Header=BB4_7984 Depth=3
	s_mov_b32 s14, -1
	s_mov_b32 s36, exec_lo
                                        ; implicit-def: $sgpr34
	v_cmpx_eq_u16_e64 0x80, v151
; %bb.8635:                             ;   in Loop: Header=BB4_7984 Depth=3
	s_mov_b32 s34, 0x7f800001
	s_xor_b32 s14, exec_lo, -1
; %bb.8636:                             ;   in Loop: Header=BB4_7984 Depth=3
	s_or_b32 exec_lo, exec_lo, s36
	s_delay_alu instid0(SALU_CYCLE_1)
	s_and_b32 s14, s14, exec_lo
	s_or_saveexec_b32 s35, s35
	v_mov_b32_e32 v14, s34
	s_xor_b32 exec_lo, exec_lo, s35
	s_cbranch_execz .LBB4_8321
.LBB4_8637:                             ;   in Loop: Header=BB4_7984 Depth=3
	v_cmp_ne_u16_e64 vcc_lo, 0, v151
	v_mov_b32_e32 v14, 0
	s_and_not1_b32 s14, s14, exec_lo
	s_delay_alu instid0(VALU_DEP_2) | instskip(NEXT) | instid1(SALU_CYCLE_1)
	s_and_b32 vcc_lo, vcc_lo, exec_lo
	s_or_b32 s14, s14, vcc_lo
	s_or_b32 exec_lo, exec_lo, s35
	s_and_saveexec_b32 s34, s14
	s_cbranch_execnz .LBB4_8322
	s_branch .LBB4_8323
.LBB4_8638:                             ;   in Loop: Header=BB4_7984 Depth=3
	s_mov_b32 s14, -1
	s_mov_b32 s36, exec_lo
                                        ; implicit-def: $sgpr34
	v_cmpx_eq_u16_e64 0x80, v151
; %bb.8639:                             ;   in Loop: Header=BB4_7984 Depth=3
	s_mov_b32 s34, 0x7f800001
	s_xor_b32 s14, exec_lo, -1
; %bb.8640:                             ;   in Loop: Header=BB4_7984 Depth=3
	s_or_b32 exec_lo, exec_lo, s36
	s_delay_alu instid0(SALU_CYCLE_1)
	s_and_b32 s14, s14, exec_lo
                                        ; implicit-def: $vgpr151
	s_or_saveexec_b32 s35, s35
	v_mov_b32_e32 v14, s34
	s_xor_b32 exec_lo, exec_lo, s35
	s_cbranch_execz .LBB4_8335
.LBB4_8641:                             ;   in Loop: Header=BB4_7984 Depth=3
	v_cmp_ne_u16_e64 vcc_lo, 0, v151
	v_mov_b32_e32 v14, 0
	s_and_not1_b32 s14, s14, exec_lo
	s_delay_alu instid0(VALU_DEP_2) | instskip(NEXT) | instid1(SALU_CYCLE_1)
	s_and_b32 vcc_lo, vcc_lo, exec_lo
	s_or_b32 s14, s14, vcc_lo
	s_or_b32 exec_lo, exec_lo, s35
	s_and_saveexec_b32 s34, s14
	s_cbranch_execnz .LBB4_8336
	s_branch .LBB4_8337
.LBB4_8642:                             ;   in Loop: Header=BB4_7984 Depth=3
	s_mov_b32 s14, -1
	s_mov_b32 s36, exec_lo
                                        ; implicit-def: $sgpr34
	v_cmpx_eq_u16_e64 0x80, v160
; %bb.8643:                             ;   in Loop: Header=BB4_7984 Depth=3
	s_mov_b32 s34, 0x7f800001
	s_xor_b32 s14, exec_lo, -1
; %bb.8644:                             ;   in Loop: Header=BB4_7984 Depth=3
	s_or_b32 exec_lo, exec_lo, s36
	s_delay_alu instid0(SALU_CYCLE_1)
	s_and_b32 s14, s14, exec_lo
                                        ; implicit-def: $vgpr160
	s_or_saveexec_b32 s35, s35
	v_mov_b32_e32 v151, s34
	s_xor_b32 exec_lo, exec_lo, s35
	s_cbranch_execz .LBB4_8339
.LBB4_8645:                             ;   in Loop: Header=BB4_7984 Depth=3
	v_cmp_ne_u16_e64 vcc_lo, 0, v160
	v_mov_b32_e32 v151, 0
	s_and_not1_b32 s14, s14, exec_lo
	s_delay_alu instid0(VALU_DEP_2) | instskip(NEXT) | instid1(SALU_CYCLE_1)
	s_and_b32 vcc_lo, vcc_lo, exec_lo
	s_or_b32 s14, s14, vcc_lo
	s_or_b32 exec_lo, exec_lo, s35
	s_and_saveexec_b32 s34, s14
	s_cbranch_execnz .LBB4_8340
	s_branch .LBB4_8341
.LBB4_8646:                             ;   in Loop: Header=BB4_7984 Depth=3
	s_mov_b32 s14, -1
	s_mov_b32 s36, exec_lo
                                        ; implicit-def: $sgpr34
	v_cmpx_eq_u16_e64 0x80, v151
; %bb.8647:                             ;   in Loop: Header=BB4_7984 Depth=3
	s_mov_b32 s34, 0x7f800001
	s_xor_b32 s14, exec_lo, -1
; %bb.8648:                             ;   in Loop: Header=BB4_7984 Depth=3
	s_or_b32 exec_lo, exec_lo, s36
	s_delay_alu instid0(SALU_CYCLE_1)
	s_and_b32 s14, s14, exec_lo
                                        ; implicit-def: $vgpr151
	s_or_saveexec_b32 s35, s35
	v_mov_b32_e32 v14, s34
	s_xor_b32 exec_lo, exec_lo, s35
	s_cbranch_execz .LBB4_8346
.LBB4_8649:                             ;   in Loop: Header=BB4_7984 Depth=3
	v_cmp_ne_u16_e64 vcc_lo, 0, v151
	v_mov_b32_e32 v14, 0
	s_and_not1_b32 s14, s14, exec_lo
	s_delay_alu instid0(VALU_DEP_2) | instskip(NEXT) | instid1(SALU_CYCLE_1)
	s_and_b32 vcc_lo, vcc_lo, exec_lo
	s_or_b32 s14, s14, vcc_lo
	s_or_b32 exec_lo, exec_lo, s35
	s_and_saveexec_b32 s34, s14
	s_cbranch_execnz .LBB4_8347
	s_branch .LBB4_8348
.LBB4_8650:                             ;   in Loop: Header=BB4_7984 Depth=3
	s_mov_b32 s14, -1
	s_mov_b32 s36, exec_lo
                                        ; implicit-def: $sgpr34
	v_cmpx_eq_u16_e64 0x80, v160
; %bb.8651:                             ;   in Loop: Header=BB4_7984 Depth=3
	s_mov_b32 s34, 0x7f800001
	s_xor_b32 s14, exec_lo, -1
; %bb.8652:                             ;   in Loop: Header=BB4_7984 Depth=3
	s_or_b32 exec_lo, exec_lo, s36
	s_delay_alu instid0(SALU_CYCLE_1)
	s_and_b32 s14, s14, exec_lo
                                        ; implicit-def: $vgpr160
	s_or_saveexec_b32 s35, s35
	v_mov_b32_e32 v151, s34
	s_xor_b32 exec_lo, exec_lo, s35
	s_cbranch_execz .LBB4_8350
.LBB4_8653:                             ;   in Loop: Header=BB4_7984 Depth=3
	v_cmp_ne_u16_e64 vcc_lo, 0, v160
	v_mov_b32_e32 v151, 0
	s_and_not1_b32 s14, s14, exec_lo
	s_delay_alu instid0(VALU_DEP_2) | instskip(NEXT) | instid1(SALU_CYCLE_1)
	s_and_b32 vcc_lo, vcc_lo, exec_lo
	s_or_b32 s14, s14, vcc_lo
	s_or_b32 exec_lo, exec_lo, s35
	s_and_saveexec_b32 s34, s14
	s_cbranch_execnz .LBB4_8351
	s_branch .LBB4_8352
.LBB4_8654:                             ;   in Loop: Header=BB4_7984 Depth=3
	s_mov_b32 s14, -1
	s_mov_b32 s36, exec_lo
                                        ; implicit-def: $sgpr34
	v_cmpx_eq_u16_e64 0x80, v160
; %bb.8655:                             ;   in Loop: Header=BB4_7984 Depth=3
	s_mov_b32 s34, 0x7f800001
	s_xor_b32 s14, exec_lo, -1
; %bb.8656:                             ;   in Loop: Header=BB4_7984 Depth=3
	s_or_b32 exec_lo, exec_lo, s36
	s_delay_alu instid0(SALU_CYCLE_1)
	s_and_b32 s14, s14, exec_lo
	s_or_saveexec_b32 s35, s35
	v_mov_b32_e32 v161, s34
	s_xor_b32 exec_lo, exec_lo, s35
	s_cbranch_execz .LBB4_8364
.LBB4_8657:                             ;   in Loop: Header=BB4_7984 Depth=3
	v_cmp_ne_u16_e64 vcc_lo, 0, v160
	v_mov_b32_e32 v161, 0
	s_and_not1_b32 s14, s14, exec_lo
	s_delay_alu instid0(VALU_DEP_2) | instskip(NEXT) | instid1(SALU_CYCLE_1)
	s_and_b32 vcc_lo, vcc_lo, exec_lo
	s_or_b32 s14, s14, vcc_lo
	s_or_b32 exec_lo, exec_lo, s35
	s_and_saveexec_b32 s34, s14
	s_cbranch_execnz .LBB4_8365
	s_branch .LBB4_8366
.LBB4_8658:                             ;   in Loop: Header=BB4_7984 Depth=3
	s_mov_b32 s14, -1
	s_mov_b32 s36, exec_lo
                                        ; implicit-def: $sgpr34
	v_cmpx_eq_u16_e64 0x80, v151
; %bb.8659:                             ;   in Loop: Header=BB4_7984 Depth=3
	s_mov_b32 s34, 0x7f800001
	s_xor_b32 s14, exec_lo, -1
; %bb.8660:                             ;   in Loop: Header=BB4_7984 Depth=3
	s_or_b32 exec_lo, exec_lo, s36
	s_delay_alu instid0(SALU_CYCLE_1)
	s_and_b32 s14, s14, exec_lo
	s_or_saveexec_b32 s35, s35
	v_mov_b32_e32 v162, s34
	s_xor_b32 exec_lo, exec_lo, s35
	s_cbranch_execz .LBB4_8368
.LBB4_8661:                             ;   in Loop: Header=BB4_7984 Depth=3
	v_cmp_ne_u16_e64 vcc_lo, 0, v151
	v_mov_b32_e32 v162, 0
	s_and_not1_b32 s14, s14, exec_lo
	s_delay_alu instid0(VALU_DEP_2) | instskip(NEXT) | instid1(SALU_CYCLE_1)
	s_and_b32 vcc_lo, vcc_lo, exec_lo
	s_or_b32 s14, s14, vcc_lo
	s_or_b32 exec_lo, exec_lo, s35
	s_and_saveexec_b32 s34, s14
	s_cbranch_execnz .LBB4_8369
	s_branch .LBB4_8370
.LBB4_8662:                             ;   in Loop: Header=BB4_7984 Depth=3
	s_mov_b32 s14, -1
	s_mov_b32 s36, exec_lo
                                        ; implicit-def: $sgpr34
	v_cmpx_eq_u16_e64 0x80, v160
; %bb.8663:                             ;   in Loop: Header=BB4_7984 Depth=3
	s_mov_b32 s34, 0x7f800001
	s_xor_b32 s14, exec_lo, -1
; %bb.8664:                             ;   in Loop: Header=BB4_7984 Depth=3
	s_or_b32 exec_lo, exec_lo, s36
	s_delay_alu instid0(SALU_CYCLE_1)
	s_and_b32 s14, s14, exec_lo
	s_or_saveexec_b32 s35, s35
	v_mov_b32_e32 v161, s34
	s_xor_b32 exec_lo, exec_lo, s35
	s_cbranch_execz .LBB4_8375
.LBB4_8665:                             ;   in Loop: Header=BB4_7984 Depth=3
	v_cmp_ne_u16_e64 vcc_lo, 0, v160
	v_mov_b32_e32 v161, 0
	s_and_not1_b32 s14, s14, exec_lo
	s_delay_alu instid0(VALU_DEP_2) | instskip(NEXT) | instid1(SALU_CYCLE_1)
	s_and_b32 vcc_lo, vcc_lo, exec_lo
	s_or_b32 s14, s14, vcc_lo
	s_or_b32 exec_lo, exec_lo, s35
	s_and_saveexec_b32 s34, s14
	s_cbranch_execnz .LBB4_8376
	s_branch .LBB4_8377
.LBB4_8666:                             ;   in Loop: Header=BB4_7984 Depth=3
	s_mov_b32 s14, -1
	s_mov_b32 s36, exec_lo
                                        ; implicit-def: $sgpr34
	v_cmpx_eq_u16_e64 0x80, v151
; %bb.8667:                             ;   in Loop: Header=BB4_7984 Depth=3
	s_mov_b32 s34, 0x7f800001
	s_xor_b32 s14, exec_lo, -1
; %bb.8668:                             ;   in Loop: Header=BB4_7984 Depth=3
	s_or_b32 exec_lo, exec_lo, s36
	s_delay_alu instid0(SALU_CYCLE_1)
	s_and_b32 s14, s14, exec_lo
	s_or_saveexec_b32 s35, s35
	v_mov_b32_e32 v160, s34
	s_xor_b32 exec_lo, exec_lo, s35
	s_cbranch_execz .LBB4_8379
.LBB4_8669:                             ;   in Loop: Header=BB4_7984 Depth=3
	v_cmp_ne_u16_e64 vcc_lo, 0, v151
	v_mov_b32_e32 v160, 0
	s_and_not1_b32 s14, s14, exec_lo
	s_delay_alu instid0(VALU_DEP_2) | instskip(NEXT) | instid1(SALU_CYCLE_1)
	s_and_b32 vcc_lo, vcc_lo, exec_lo
	s_or_b32 s14, s14, vcc_lo
	s_or_b32 exec_lo, exec_lo, s35
	s_and_saveexec_b32 s34, s14
	s_cbranch_execnz .LBB4_8380
	s_branch .LBB4_8381
.LBB4_8670:                             ;   in Loop: Header=BB4_7984 Depth=3
	s_mov_b32 s14, -1
	s_mov_b32 s36, exec_lo
                                        ; implicit-def: $sgpr34
	v_cmpx_eq_u16_e64 0x80, v163
; %bb.8671:                             ;   in Loop: Header=BB4_7984 Depth=3
	s_mov_b32 s34, 0x7f800001
	s_xor_b32 s14, exec_lo, -1
; %bb.8672:                             ;   in Loop: Header=BB4_7984 Depth=3
	s_or_b32 exec_lo, exec_lo, s36
	s_delay_alu instid0(SALU_CYCLE_1)
	s_and_b32 s14, s14, exec_lo
                                        ; implicit-def: $vgpr163
	s_or_saveexec_b32 s35, s35
	v_mov_b32_e32 v162, s34
	s_xor_b32 exec_lo, exec_lo, s35
	s_cbranch_execz .LBB4_8393
.LBB4_8673:                             ;   in Loop: Header=BB4_7984 Depth=3
	v_cmp_ne_u16_e64 vcc_lo, 0, v163
	v_mov_b32_e32 v162, 0
	s_and_not1_b32 s14, s14, exec_lo
	s_delay_alu instid0(VALU_DEP_2) | instskip(NEXT) | instid1(SALU_CYCLE_1)
	s_and_b32 vcc_lo, vcc_lo, exec_lo
	s_or_b32 s14, s14, vcc_lo
	s_or_b32 exec_lo, exec_lo, s35
	s_and_saveexec_b32 s34, s14
	s_cbranch_execnz .LBB4_8394
	s_branch .LBB4_8395
.LBB4_8674:                             ;   in Loop: Header=BB4_7984 Depth=3
	s_mov_b32 s14, -1
	s_mov_b32 s36, exec_lo
                                        ; implicit-def: $sgpr34
	v_cmpx_eq_u16_e64 0x80, v164
; %bb.8675:                             ;   in Loop: Header=BB4_7984 Depth=3
	s_mov_b32 s34, 0x7f800001
	s_xor_b32 s14, exec_lo, -1
; %bb.8676:                             ;   in Loop: Header=BB4_7984 Depth=3
	s_or_b32 exec_lo, exec_lo, s36
	s_delay_alu instid0(SALU_CYCLE_1)
	s_and_b32 s14, s14, exec_lo
                                        ; implicit-def: $vgpr164
	s_or_saveexec_b32 s35, s35
	v_mov_b32_e32 v163, s34
	s_xor_b32 exec_lo, exec_lo, s35
	s_cbranch_execz .LBB4_8397
.LBB4_8677:                             ;   in Loop: Header=BB4_7984 Depth=3
	v_cmp_ne_u16_e64 vcc_lo, 0, v164
	v_mov_b32_e32 v163, 0
	s_and_not1_b32 s14, s14, exec_lo
	s_delay_alu instid0(VALU_DEP_2) | instskip(NEXT) | instid1(SALU_CYCLE_1)
	s_and_b32 vcc_lo, vcc_lo, exec_lo
	s_or_b32 s14, s14, vcc_lo
	s_or_b32 exec_lo, exec_lo, s35
	s_and_saveexec_b32 s34, s14
	s_cbranch_execnz .LBB4_8398
	s_branch .LBB4_8399
.LBB4_8678:                             ;   in Loop: Header=BB4_7984 Depth=3
	s_mov_b32 s14, -1
	s_mov_b32 s36, exec_lo
                                        ; implicit-def: $sgpr34
	v_cmpx_eq_u16_e64 0x80, v163
; %bb.8679:                             ;   in Loop: Header=BB4_7984 Depth=3
	s_mov_b32 s34, 0x7f800001
	s_xor_b32 s14, exec_lo, -1
; %bb.8680:                             ;   in Loop: Header=BB4_7984 Depth=3
	s_or_b32 exec_lo, exec_lo, s36
	s_delay_alu instid0(SALU_CYCLE_1)
	s_and_b32 s14, s14, exec_lo
                                        ; implicit-def: $vgpr163
	s_or_saveexec_b32 s35, s35
	v_mov_b32_e32 v162, s34
	s_xor_b32 exec_lo, exec_lo, s35
	s_cbranch_execz .LBB4_8404
.LBB4_8681:                             ;   in Loop: Header=BB4_7984 Depth=3
	v_cmp_ne_u16_e64 vcc_lo, 0, v163
	v_mov_b32_e32 v162, 0
	s_and_not1_b32 s14, s14, exec_lo
	s_delay_alu instid0(VALU_DEP_2) | instskip(NEXT) | instid1(SALU_CYCLE_1)
	s_and_b32 vcc_lo, vcc_lo, exec_lo
	s_or_b32 s14, s14, vcc_lo
	s_or_b32 exec_lo, exec_lo, s35
	s_and_saveexec_b32 s34, s14
	s_cbranch_execnz .LBB4_8405
	s_branch .LBB4_8406
.LBB4_8682:                             ;   in Loop: Header=BB4_7984 Depth=3
	s_mov_b32 s14, -1
	s_mov_b32 s36, exec_lo
                                        ; implicit-def: $sgpr34
	v_cmpx_eq_u16_e64 0x80, v163
; %bb.8683:                             ;   in Loop: Header=BB4_7984 Depth=3
	s_mov_b32 s34, 0x7f800001
	s_xor_b32 s14, exec_lo, -1
; %bb.8684:                             ;   in Loop: Header=BB4_7984 Depth=3
	s_or_b32 exec_lo, exec_lo, s36
	s_delay_alu instid0(SALU_CYCLE_1)
	s_and_b32 s14, s14, exec_lo
                                        ; implicit-def: $vgpr163
	s_or_saveexec_b32 s35, s35
	v_mov_b32_e32 v161, s34
	s_xor_b32 exec_lo, exec_lo, s35
	s_cbranch_execz .LBB4_8408
.LBB4_8685:                             ;   in Loop: Header=BB4_7984 Depth=3
	v_cmp_ne_u16_e64 vcc_lo, 0, v163
	v_mov_b32_e32 v161, 0
	s_and_not1_b32 s14, s14, exec_lo
	s_delay_alu instid0(VALU_DEP_2) | instskip(NEXT) | instid1(SALU_CYCLE_1)
	s_and_b32 vcc_lo, vcc_lo, exec_lo
	s_or_b32 s14, s14, vcc_lo
	s_or_b32 exec_lo, exec_lo, s35
	s_and_saveexec_b32 s34, s14
	s_cbranch_execnz .LBB4_8409
	s_branch .LBB4_8410
.LBB4_8686:                             ;   in Loop: Header=BB4_7984 Depth=3
	s_mov_b32 s14, -1
	s_mov_b32 s36, exec_lo
                                        ; implicit-def: $sgpr34
	v_cmpx_eq_u16_e64 0x80, v162
; %bb.8687:                             ;   in Loop: Header=BB4_7984 Depth=3
	s_mov_b32 s34, 0x7f800001
	s_xor_b32 s14, exec_lo, -1
; %bb.8688:                             ;   in Loop: Header=BB4_7984 Depth=3
	s_or_b32 exec_lo, exec_lo, s36
	s_delay_alu instid0(SALU_CYCLE_1)
	s_and_b32 s14, s14, exec_lo
	s_or_saveexec_b32 s35, s35
	v_mov_b32_e32 v163, s34
	s_xor_b32 exec_lo, exec_lo, s35
	s_cbranch_execz .LBB4_8422
.LBB4_8689:                             ;   in Loop: Header=BB4_7984 Depth=3
	v_cmp_ne_u16_e64 vcc_lo, 0, v162
	v_mov_b32_e32 v163, 0
	s_and_not1_b32 s14, s14, exec_lo
	s_delay_alu instid0(VALU_DEP_2) | instskip(NEXT) | instid1(SALU_CYCLE_1)
	s_and_b32 vcc_lo, vcc_lo, exec_lo
	s_or_b32 s14, s14, vcc_lo
	s_or_b32 exec_lo, exec_lo, s35
	s_and_saveexec_b32 s34, s14
	s_cbranch_execnz .LBB4_8423
	s_branch .LBB4_8424
.LBB4_8690:                             ;   in Loop: Header=BB4_7984 Depth=3
	s_mov_b32 s14, -1
	s_mov_b32 s36, exec_lo
                                        ; implicit-def: $sgpr34
	v_cmpx_eq_u16_e64 0x80, v161
; %bb.8691:                             ;   in Loop: Header=BB4_7984 Depth=3
	s_mov_b32 s34, 0x7f800001
	s_xor_b32 s14, exec_lo, -1
; %bb.8692:                             ;   in Loop: Header=BB4_7984 Depth=3
	s_or_b32 exec_lo, exec_lo, s36
	s_delay_alu instid0(SALU_CYCLE_1)
	s_and_b32 s14, s14, exec_lo
	s_or_saveexec_b32 s35, s35
	v_mov_b32_e32 v164, s34
	s_xor_b32 exec_lo, exec_lo, s35
	s_cbranch_execz .LBB4_8426
.LBB4_8693:                             ;   in Loop: Header=BB4_7984 Depth=3
	v_cmp_ne_u16_e64 vcc_lo, 0, v161
	v_mov_b32_e32 v164, 0
	s_and_not1_b32 s14, s14, exec_lo
	s_delay_alu instid0(VALU_DEP_2) | instskip(NEXT) | instid1(SALU_CYCLE_1)
	s_and_b32 vcc_lo, vcc_lo, exec_lo
	s_or_b32 s14, s14, vcc_lo
	s_or_b32 exec_lo, exec_lo, s35
	s_and_saveexec_b32 s34, s14
	s_cbranch_execnz .LBB4_8427
	s_branch .LBB4_8428
.LBB4_8694:                             ;   in Loop: Header=BB4_7984 Depth=3
	s_mov_b32 s14, -1
	s_mov_b32 s36, exec_lo
                                        ; implicit-def: $sgpr34
	v_cmpx_eq_u16_e64 0x80, v162
; %bb.8695:                             ;   in Loop: Header=BB4_7984 Depth=3
	s_mov_b32 s34, 0x7f800001
	s_xor_b32 s14, exec_lo, -1
; %bb.8696:                             ;   in Loop: Header=BB4_7984 Depth=3
	s_or_b32 exec_lo, exec_lo, s36
	s_delay_alu instid0(SALU_CYCLE_1)
	s_and_b32 s14, s14, exec_lo
	s_or_saveexec_b32 s35, s35
	v_mov_b32_e32 v163, s34
	s_xor_b32 exec_lo, exec_lo, s35
	s_cbranch_execz .LBB4_8433
.LBB4_8697:                             ;   in Loop: Header=BB4_7984 Depth=3
	v_cmp_ne_u16_e64 vcc_lo, 0, v162
	v_mov_b32_e32 v163, 0
	s_and_not1_b32 s14, s14, exec_lo
	s_delay_alu instid0(VALU_DEP_2) | instskip(NEXT) | instid1(SALU_CYCLE_1)
	s_and_b32 vcc_lo, vcc_lo, exec_lo
	s_or_b32 s14, s14, vcc_lo
	s_or_b32 exec_lo, exec_lo, s35
	s_and_saveexec_b32 s34, s14
	s_cbranch_execnz .LBB4_8434
	s_branch .LBB4_8435
.LBB4_8698:                             ;   in Loop: Header=BB4_7984 Depth=3
	s_mov_b32 s14, -1
	s_mov_b32 s36, exec_lo
                                        ; implicit-def: $sgpr34
	v_cmpx_eq_u16_e64 0x80, v161
; %bb.8699:                             ;   in Loop: Header=BB4_7984 Depth=3
	s_mov_b32 s34, 0x7f800001
	s_xor_b32 s14, exec_lo, -1
; %bb.8700:                             ;   in Loop: Header=BB4_7984 Depth=3
	s_or_b32 exec_lo, exec_lo, s36
	s_delay_alu instid0(SALU_CYCLE_1)
	s_and_b32 s14, s14, exec_lo
	s_or_saveexec_b32 s35, s35
	v_mov_b32_e32 v15, s34
	s_xor_b32 exec_lo, exec_lo, s35
	s_cbranch_execz .LBB4_8437
.LBB4_8701:                             ;   in Loop: Header=BB4_7984 Depth=3
	v_cmp_ne_u16_e64 vcc_lo, 0, v161
	v_mov_b32_e32 v15, 0
	s_and_not1_b32 s14, s14, exec_lo
	s_delay_alu instid0(VALU_DEP_2) | instskip(NEXT) | instid1(SALU_CYCLE_1)
	s_and_b32 vcc_lo, vcc_lo, exec_lo
	s_or_b32 s14, s14, vcc_lo
	s_or_b32 exec_lo, exec_lo, s35
	s_and_saveexec_b32 s34, s14
	s_cbranch_execnz .LBB4_8438
	s_branch .LBB4_8439
.LBB4_8702:                             ;   in Loop: Header=BB4_3484 Depth=2
	s_or_b32 exec_lo, exec_lo, s17
.LBB4_8703:                             ;   in Loop: Header=BB4_3484 Depth=2
	s_delay_alu instid0(SALU_CYCLE_1) | instskip(SKIP_3) | instid1(VALU_DEP_1)
	s_or_b32 exec_lo, exec_lo, s16
	v_dual_mov_b32 v14, 0 :: v_dual_and_b32 v9, 15, v148
	s_mov_b32 s14, 0
	s_mov_b32 s16, exec_lo
                                        ; implicit-def: $vgpr16
                                        ; implicit-def: $vgpr8
	v_cndmask_b32_e64 v15, v69, v9, s13
	s_delay_alu instid0(VALU_DEP_1)
	v_cmpx_ne_u32_e32 0, v15
	s_cbranch_execz .LBB4_8705
; %bb.8704:                             ;   in Loop: Header=BB4_3484 Depth=2
	v_cmp_lt_i32_e32 vcc_lo, 0, v70
	v_sub_nc_u32_e32 v9, v69, v9
	s_mov_b32 s14, exec_lo
	v_cndmask_b32_e32 v8, 0, v97, vcc_lo
	s_delay_alu instid0(VALU_DEP_2) | instskip(NEXT) | instid1(VALU_DEP_2)
	v_cndmask_b32_e64 v9, 0, v9, s13
	v_sub_nc_u32_e32 v8, v8, v70
	s_delay_alu instid0(VALU_DEP_2) | instskip(NEXT) | instid1(VALU_DEP_2)
	v_add3_u32 v14, v2, v22, v9
	v_lshl_add_u32 v16, v8, 5, v23
	s_delay_alu instid0(VALU_DEP_1) | instskip(NEXT) | instid1(VALU_DEP_1)
	v_ashrrev_i32_e32 v8, 31, v16
	v_lshrrev_b32_e32 v8, 27, v8
	s_delay_alu instid0(VALU_DEP_1) | instskip(NEXT) | instid1(VALU_DEP_1)
	v_add_nc_u32_e32 v8, v16, v8
	v_ashrrev_i32_e32 v8, 5, v8
.LBB4_8705:                             ;   in Loop: Header=BB4_3484 Depth=2
	s_or_b32 exec_lo, exec_lo, s16
	s_delay_alu instid0(SALU_CYCLE_1)
	s_and_b32 s13, s14, exec_lo
.LBB4_8706:                             ;   in Loop: Header=BB4_3484 Depth=2
	s_or_b32 exec_lo, exec_lo, s15
.LBB4_8707:                             ;   in Loop: Header=BB4_3484 Depth=2
	s_and_saveexec_b32 s14, s13
	s_cbranch_execz .LBB4_9484
; %bb.8708:                             ;   in Loop: Header=BB4_3484 Depth=2
	v_ashrrev_i32_e32 v2, 31, v15
	s_mov_b32 s15, exec_lo
	s_delay_alu instid0(VALU_DEP_1) | instskip(NEXT) | instid1(VALU_DEP_1)
	v_lshrrev_b32_e32 v2, 23, v2
	v_add_nc_u32_e32 v2, v15, v2
	s_delay_alu instid0(VALU_DEP_1) | instskip(NEXT) | instid1(VALU_DEP_1)
	v_ashrrev_i32_e32 v17, 9, v2
	v_sub_nc_u32_e32 v2, v17, v8
	s_delay_alu instid0(VALU_DEP_1)
	v_cmpx_lt_i32_e32 0, v2
	s_cbranch_execz .LBB4_9433
; %bb.8709:                             ;   in Loop: Header=BB4_3484 Depth=2
	s_cbranch_execnz .LBB4_10540
; %bb.8710:                             ;   in Loop: Header=BB4_3484 Depth=2
	v_ashrrev_i32_e32 v9, 31, v16
	ds_load_b64 v[18:19], v0
	v_lshlrev_b32_e32 v8, 9, v8
	s_bitcmp1_b32 s30, 0
	s_mov_b32 s17, 0
	v_lshrrev_b32_e32 v9, 27, v9
	s_cselect_b32 s16, -1, 0
	s_delay_alu instid0(VALU_DEP_1) | instskip(NEXT) | instid1(VALU_DEP_1)
	v_add_nc_u32_e32 v9, v16, v9
	v_and_b32_e32 v13, 0xffffffe0, v9
	ds_load_b128 v[9:12], v0
	v_sub_nc_u32_e32 v13, v16, v13
	s_waitcnt lgkmcnt(1)
	v_add_co_u32 v18, vcc_lo, 0x1e0, v18
	v_add_co_ci_u32_e32 v19, vcc_lo, 0, v19, vcc_lo
	s_delay_alu instid0(VALU_DEP_3) | instskip(NEXT) | instid1(VALU_DEP_1)
	v_add3_u32 v13, v14, v13, v8
	v_ashrrev_i32_e32 v20, 31, v13
	s_waitcnt lgkmcnt(0)
	v_add_co_u32 v8, vcc_lo, v9, v13
	s_delay_alu instid0(VALU_DEP_2)
	v_add_co_ci_u32_e32 v9, vcc_lo, v10, v20, vcc_lo
	v_add_co_u32 v10, vcc_lo, v11, v13
	v_add_co_ci_u32_e32 v11, vcc_lo, v12, v20, vcc_lo
	v_add_co_u32 v12, vcc_lo, v18, v13
	v_add_co_ci_u32_e32 v13, vcc_lo, v19, v20, vcc_lo
	s_branch .LBB4_8714
.LBB4_8711:                             ;   in Loop: Header=BB4_8714 Depth=3
	s_or_b32 exec_lo, exec_lo, s13
	s_delay_alu instid0(VALU_DEP_1) | instskip(NEXT) | instid1(VALU_DEP_2)
	v_lshrrev_b32_e32 v19, 20, v19
	v_cmp_gt_i32_e32 vcc_lo, 16, v18
	v_lshrrev_b32_e32 v22, 24, v22
	v_min_i32_e32 v70, 15, v18
	s_delay_alu instid0(VALU_DEP_2) | instskip(NEXT) | instid1(VALU_DEP_2)
	v_dual_cndmask_b32 v19, 7, v19 :: v_dual_and_b32 v22, 0x80, v22
	v_lshlrev_b32_e32 v70, 3, v70
	s_delay_alu instid0(VALU_DEP_2) | instskip(SKIP_1) | instid1(VALU_DEP_2)
	v_and_b32_e32 v82, 7, v19
	v_or_b32_e32 v18, v18, v19
	v_or3_b32 v19, v70, v22, v82
	s_delay_alu instid0(VALU_DEP_2) | instskip(NEXT) | instid1(VALU_DEP_2)
	v_cmp_ne_u32_e32 vcc_lo, 0, v18
	v_cndmask_b32_e32 v18, 0, v19, vcc_lo
.LBB4_8712:                             ;   in Loop: Header=BB4_8714 Depth=3
	s_or_b32 exec_lo, exec_lo, s34
.LBB4_8713:                             ;   in Loop: Header=BB4_8714 Depth=3
	s_delay_alu instid0(SALU_CYCLE_1)
	s_or_b32 exec_lo, exec_lo, s31
	v_add_co_u32 v176, vcc_lo, 0xfffffe20, v12
	v_add_co_ci_u32_e32 v177, vcc_lo, -1, v13, vcc_lo
	v_add_co_u32 v178, vcc_lo, 0xfffffe40, v12
	v_add_co_ci_u32_e32 v179, vcc_lo, -1, v13, vcc_lo
	;; [unrolled: 2-line block ×5, first 2 shown]
	v_add_co_u32 v19, vcc_lo, 0xfffffec0, v12
	flat_store_b8 v[176:177], v20 glc slc dlc
	flat_store_b8 v[178:179], v23 glc slc dlc
	;; [unrolled: 1-line block ×5, first 2 shown]
	v_add_co_ci_u32_e32 v20, vcc_lo, -1, v13, vcc_lo
	v_add_co_u32 v22, vcc_lo, 0xfffffee0, v12
	v_add_co_ci_u32_e32 v23, vcc_lo, -1, v13, vcc_lo
	v_add_co_u32 v82, vcc_lo, 0xffffff00, v12
	;; [unrolled: 2-line block ×4, first 2 shown]
	v_add_co_ci_u32_e32 v179, vcc_lo, -1, v13, vcc_lo
	flat_store_b8 v[19:20], v160 glc slc dlc
	flat_store_b8 v[22:23], v163 glc slc dlc
	;; [unrolled: 1-line block ×5, first 2 shown]
	v_add_co_u32 v19, vcc_lo, 0xffffff60, v12
	v_add_co_ci_u32_e32 v20, vcc_lo, -1, v13, vcc_lo
	v_add_co_u32 v22, vcc_lo, 0xffffff80, v12
	v_add_co_ci_u32_e32 v23, vcc_lo, -1, v13, vcc_lo
	;; [unrolled: 2-line block ×5, first 2 shown]
	v_add_co_u32 v8, vcc_lo, v8, v117
	v_sub_nc_u32_e32 v2, v2, v97
	v_add_co_ci_u32_e32 v9, vcc_lo, v9, v118, vcc_lo
	v_add_co_u32 v10, vcc_lo, v10, v117
	v_add_co_ci_u32_e32 v11, vcc_lo, v11, v118, vcc_lo
	flat_store_b8 v[19:20], v150 glc slc dlc
	flat_store_b8 v[22:23], v84 glc slc dlc
	;; [unrolled: 1-line block ×6, first 2 shown]
	v_cmp_gt_i32_e32 vcc_lo, 1, v2
	v_add_co_u32 v12, s13, v12, v117
	s_delay_alu instid0(VALU_DEP_1) | instskip(SKIP_1) | instid1(SALU_CYCLE_1)
	v_add_co_ci_u32_e64 v13, s13, v13, v118, s13
	s_or_b32 s17, vcc_lo, s17
	s_and_not1_b32 exec_lo, exec_lo, s17
	s_cbranch_execz .LBB4_9432
.LBB4_8714:                             ;   Parent Loop BB4_51 Depth=1
                                        ;     Parent Loop BB4_3484 Depth=2
                                        ; =>    This Inner Loop Header: Depth=3
	s_clause 0xf
	flat_load_u8 v182, v[8:9] slc dlc
	flat_load_u8 v181, v[8:9] offset:32 slc dlc
	flat_load_u8 v180, v[8:9] offset:64 slc dlc
	;; [unrolled: 1-line block ×15, first 2 shown]
	s_clause 0xf
	flat_load_u8 v20, v[10:11] slc dlc
	flat_load_u8 v23, v[10:11] offset:32 slc dlc
	flat_load_u8 v80, v[10:11] offset:64 slc dlc
	;; [unrolled: 1-line block ×15, first 2 shown]
	s_and_b32 vcc_lo, exec_lo, s16
	s_cbranch_vccz .LBB4_8724
; %bb.8715:                             ;   in Loop: Header=BB4_8714 Depth=3
	s_waitcnt vmcnt(31) lgkmcnt(31)
	v_and_b32_e32 v40, 0xff, v182
	s_mov_b32 s13, 0
	s_mov_b32 s34, exec_lo
                                        ; implicit-def: $sgpr31
	s_delay_alu instid0(VALU_DEP_1)
	v_cmpx_lt_i16_e32 0x7f, v40
	s_xor_b32 s34, exec_lo, s34
	s_cbranch_execnz .LBB4_9176
; %bb.8716:                             ;   in Loop: Header=BB4_8714 Depth=3
	s_or_saveexec_b32 s34, s34
	v_mov_b32_e32 v183, s31
	s_xor_b32 exec_lo, exec_lo, s34
	s_cbranch_execnz .LBB4_9179
.LBB4_8717:                             ;   in Loop: Header=BB4_8714 Depth=3
	s_or_b32 exec_lo, exec_lo, s34
	s_and_saveexec_b32 s31, s13
	s_cbranch_execz .LBB4_8719
.LBB4_8718:                             ;   in Loop: Header=BB4_8714 Depth=3
	v_lshrrev_b16 v42, 3, v182
	v_lshlrev_b32_e32 v43, 24, v182
	s_delay_alu instid0(VALU_DEP_2) | instskip(NEXT) | instid1(VALU_DEP_1)
	v_and_b32_e32 v42, 15, v42
	v_cmp_eq_u32_e32 vcc_lo, 0, v42
	v_and_b32_e32 v183, 7, v182
	s_delay_alu instid0(VALU_DEP_1) | instskip(NEXT) | instid1(VALU_DEP_1)
	v_clz_i32_u32_e32 v40, v183
	v_min_u32_e32 v40, 32, v40
	s_delay_alu instid0(VALU_DEP_1) | instskip(SKIP_1) | instid1(VALU_DEP_1)
	v_subrev_nc_u32_e32 v41, 28, v40
	v_sub_nc_u32_e32 v40, 29, v40
	v_dual_cndmask_b32 v40, v42, v40 :: v_dual_lshlrev_b32 v41, v41, v182
	s_delay_alu instid0(VALU_DEP_1) | instskip(NEXT) | instid1(VALU_DEP_2)
	v_and_b32_e32 v41, 7, v41
	v_lshl_add_u32 v40, v40, 23, 0x3b800000
	s_delay_alu instid0(VALU_DEP_2) | instskip(SKIP_1) | instid1(VALU_DEP_2)
	v_cndmask_b32_e32 v183, v183, v41, vcc_lo
	v_and_b32_e32 v41, 0x80000000, v43
	v_lshlrev_b32_e32 v183, 20, v183
	s_delay_alu instid0(VALU_DEP_1)
	v_or3_b32 v183, v41, v40, v183
.LBB4_8719:                             ;   in Loop: Header=BB4_8714 Depth=3
	s_or_b32 exec_lo, exec_lo, s31
	s_waitcnt vmcnt(15) lgkmcnt(15)
	v_and_b32_e32 v41, 0xff, v20
	s_mov_b32 s13, 0
	s_mov_b32 s34, exec_lo
                                        ; implicit-def: $sgpr31
	s_delay_alu instid0(VALU_DEP_1)
	v_cmpx_lt_i16_e32 0x7f, v41
	s_xor_b32 s34, exec_lo, s34
	s_cbranch_execnz .LBB4_9180
; %bb.8720:                             ;   in Loop: Header=BB4_8714 Depth=3
	s_or_saveexec_b32 s34, s34
	v_mov_b32_e32 v40, s31
	s_xor_b32 exec_lo, exec_lo, s34
	s_cbranch_execnz .LBB4_9183
.LBB4_8721:                             ;   in Loop: Header=BB4_8714 Depth=3
	s_or_b32 exec_lo, exec_lo, s34
	s_and_saveexec_b32 s31, s13
	s_cbranch_execz .LBB4_8723
.LBB4_8722:                             ;   in Loop: Header=BB4_8714 Depth=3
	v_lshrrev_b16 v43, 3, v20
	v_lshlrev_b32_e32 v44, 24, v20
	s_delay_alu instid0(VALU_DEP_2) | instskip(NEXT) | instid1(VALU_DEP_1)
	v_and_b32_e32 v43, 15, v43
	v_cmp_eq_u32_e32 vcc_lo, 0, v43
	v_and_b32_e32 v40, 7, v20
	s_delay_alu instid0(VALU_DEP_1) | instskip(NEXT) | instid1(VALU_DEP_1)
	v_clz_i32_u32_e32 v41, v40
	v_min_u32_e32 v41, 32, v41
	s_delay_alu instid0(VALU_DEP_1) | instskip(SKIP_1) | instid1(VALU_DEP_1)
	v_subrev_nc_u32_e32 v42, 28, v41
	v_sub_nc_u32_e32 v41, 29, v41
	v_dual_cndmask_b32 v41, v43, v41 :: v_dual_lshlrev_b32 v42, v42, v20
	s_delay_alu instid0(VALU_DEP_1) | instskip(NEXT) | instid1(VALU_DEP_2)
	v_and_b32_e32 v42, 7, v42
	v_lshl_add_u32 v41, v41, 23, 0x3b800000
	s_delay_alu instid0(VALU_DEP_2) | instskip(SKIP_1) | instid1(VALU_DEP_2)
	v_cndmask_b32_e32 v40, v40, v42, vcc_lo
	v_and_b32_e32 v42, 0x80000000, v44
	v_lshlrev_b32_e32 v40, 20, v40
	s_delay_alu instid0(VALU_DEP_1)
	v_or3_b32 v40, v42, v41, v40
.LBB4_8723:                             ;   in Loop: Header=BB4_8714 Depth=3
	s_or_b32 exec_lo, exec_lo, s31
	s_delay_alu instid0(VALU_DEP_1) | instskip(SKIP_1) | instid1(VALU_DEP_1)
	v_dual_max_f32 v40, v40, v40 :: v_dual_max_f32 v183, v183, v183
	s_mov_b32 s13, 0
	v_max_f32_e32 v183, v183, v40
	s_branch .LBB4_8725
.LBB4_8724:                             ;   in Loop: Header=BB4_8714 Depth=3
	s_mov_b32 s13, -1
                                        ; implicit-def: $vgpr183
.LBB4_8725:                             ;   in Loop: Header=BB4_8714 Depth=3
	s_delay_alu instid0(SALU_CYCLE_1)
	s_and_b32 vcc_lo, exec_lo, s13
	s_cbranch_vccz .LBB4_8735
; %bb.8726:                             ;   in Loop: Header=BB4_8714 Depth=3
	s_waitcnt vmcnt(31) lgkmcnt(31)
	v_and_b32_e32 v40, 0xff, v182
	s_mov_b32 s13, 0
	s_mov_b32 s34, exec_lo
                                        ; implicit-def: $sgpr31
	s_delay_alu instid0(VALU_DEP_1)
	v_cmpx_lt_i16_e32 0x7f, v40
	s_xor_b32 s34, exec_lo, s34
	s_cbranch_execnz .LBB4_9184
; %bb.8727:                             ;   in Loop: Header=BB4_8714 Depth=3
	s_or_saveexec_b32 s34, s34
	v_mov_b32_e32 v183, s31
	s_xor_b32 exec_lo, exec_lo, s34
	s_cbranch_execnz .LBB4_9187
.LBB4_8728:                             ;   in Loop: Header=BB4_8714 Depth=3
	s_or_b32 exec_lo, exec_lo, s34
	s_and_saveexec_b32 s31, s13
	s_cbranch_execz .LBB4_8730
.LBB4_8729:                             ;   in Loop: Header=BB4_8714 Depth=3
	v_lshrrev_b16 v42, 3, v182
	s_delay_alu instid0(VALU_DEP_1) | instskip(NEXT) | instid1(VALU_DEP_1)
	v_and_b32_e32 v42, 15, v42
	v_cmp_eq_u32_e32 vcc_lo, 0, v42
	v_and_b32_e32 v183, 7, v182
	s_delay_alu instid0(VALU_DEP_1) | instskip(NEXT) | instid1(VALU_DEP_1)
	v_clz_i32_u32_e32 v40, v183
	v_min_u32_e32 v40, 32, v40
	s_delay_alu instid0(VALU_DEP_1) | instskip(SKIP_1) | instid1(VALU_DEP_1)
	v_subrev_nc_u32_e32 v41, 28, v40
	v_sub_nc_u32_e32 v40, 29, v40
	v_dual_cndmask_b32 v40, v42, v40 :: v_dual_lshlrev_b32 v41, v41, v182
	v_lshlrev_b32_e32 v182, 24, v182
	s_delay_alu instid0(VALU_DEP_2) | instskip(NEXT) | instid1(VALU_DEP_3)
	v_and_b32_e32 v41, 7, v41
	v_lshl_add_u32 v40, v40, 23, 0x3b800000
	s_delay_alu instid0(VALU_DEP_2) | instskip(NEXT) | instid1(VALU_DEP_1)
	v_dual_cndmask_b32 v183, v183, v41 :: v_dual_and_b32 v182, 0x80000000, v182
	v_lshlrev_b32_e32 v183, 20, v183
	s_delay_alu instid0(VALU_DEP_1)
	v_or3_b32 v183, v182, v40, v183
.LBB4_8730:                             ;   in Loop: Header=BB4_8714 Depth=3
	s_or_b32 exec_lo, exec_lo, s31
	s_waitcnt vmcnt(15) lgkmcnt(15)
	v_and_b32_e32 v40, 0xff, v20
	s_mov_b32 s13, 0
	s_mov_b32 s34, exec_lo
                                        ; implicit-def: $sgpr31
	s_delay_alu instid0(VALU_DEP_1)
	v_cmpx_lt_i16_e32 0x7f, v40
	s_xor_b32 s34, exec_lo, s34
	s_cbranch_execnz .LBB4_9188
; %bb.8731:                             ;   in Loop: Header=BB4_8714 Depth=3
	s_or_saveexec_b32 s34, s34
	v_mov_b32_e32 v182, s31
	s_xor_b32 exec_lo, exec_lo, s34
	s_cbranch_execnz .LBB4_9191
.LBB4_8732:                             ;   in Loop: Header=BB4_8714 Depth=3
	s_or_b32 exec_lo, exec_lo, s34
	s_and_saveexec_b32 s31, s13
	s_cbranch_execz .LBB4_8734
.LBB4_8733:                             ;   in Loop: Header=BB4_8714 Depth=3
	v_and_b32_e32 v182, 7, v20
	v_lshrrev_b16 v42, 3, v20
	s_delay_alu instid0(VALU_DEP_2) | instskip(NEXT) | instid1(VALU_DEP_2)
	v_clz_i32_u32_e32 v40, v182
	v_and_b32_e32 v42, 15, v42
	s_delay_alu instid0(VALU_DEP_2) | instskip(NEXT) | instid1(VALU_DEP_2)
	v_min_u32_e32 v40, 32, v40
	v_cmp_eq_u32_e32 vcc_lo, 0, v42
	s_delay_alu instid0(VALU_DEP_2) | instskip(SKIP_1) | instid1(VALU_DEP_2)
	v_subrev_nc_u32_e32 v41, 28, v40
	v_sub_nc_u32_e32 v40, 29, v40
	v_lshlrev_b32_e32 v41, v41, v20
	v_lshlrev_b32_e32 v20, 24, v20
	s_delay_alu instid0(VALU_DEP_2) | instskip(NEXT) | instid1(VALU_DEP_2)
	v_dual_cndmask_b32 v40, v42, v40 :: v_dual_and_b32 v41, 7, v41
	v_and_b32_e32 v20, 0x80000000, v20
	s_delay_alu instid0(VALU_DEP_2) | instskip(NEXT) | instid1(VALU_DEP_3)
	v_lshl_add_u32 v40, v40, 23, 0x3b800000
	v_cndmask_b32_e32 v182, v182, v41, vcc_lo
	s_delay_alu instid0(VALU_DEP_1) | instskip(NEXT) | instid1(VALU_DEP_1)
	v_lshlrev_b32_e32 v182, 20, v182
	v_or3_b32 v182, v20, v40, v182
.LBB4_8734:                             ;   in Loop: Header=BB4_8714 Depth=3
	s_or_b32 exec_lo, exec_lo, s31
	s_delay_alu instid0(VALU_DEP_1) | instskip(SKIP_1) | instid1(VALU_DEP_1)
	v_max_f32_e32 v20, v182, v182
	v_max_f32_e32 v182, v183, v183
	v_min_f32_e32 v183, v182, v20
.LBB4_8735:                             ;   in Loop: Header=BB4_8714 Depth=3
	s_waitcnt vmcnt(15) lgkmcnt(15)
	s_delay_alu instid0(VALU_DEP_1) | instskip(NEXT) | instid1(VALU_DEP_1)
	v_and_b32_e32 v20, 0x7f800000, v183
	v_cmp_ne_u32_e32 vcc_lo, 0x7f800000, v20
	v_mov_b32_e32 v20, 0x80
	s_and_saveexec_b32 s31, vcc_lo
	s_cbranch_execz .LBB4_8743
; %bb.8736:                             ;   in Loop: Header=BB4_8714 Depth=3
	v_mov_b32_e32 v20, 0
	s_mov_b32 s34, exec_lo
	v_cmpx_ne_u32_e32 0, v183
	s_cbranch_execz .LBB4_8742
; %bb.8737:                             ;   in Loop: Header=BB4_8714 Depth=3
	v_bfe_u32 v20, v183, 23, 8
	v_and_b32_e32 v182, 0x7fffff, v183
	s_delay_alu instid0(VALU_DEP_2) | instskip(SKIP_1) | instid1(VALU_DEP_3)
	v_sub_nc_u32_e32 v40, 0x78, v20
	v_cmp_gt_u32_e32 vcc_lo, 0x79, v20
	v_or_b32_e32 v41, 0x800000, v182
	s_delay_alu instid0(VALU_DEP_3) | instskip(SKIP_2) | instid1(VALU_DEP_3)
	v_cndmask_b32_e32 v40, 0, v40, vcc_lo
	v_cmp_eq_u32_e32 vcc_lo, 0, v20
	v_add_nc_u32_e32 v20, 0xffffff89, v20
	v_cndmask_b32_e64 v40, v40, 0x77, vcc_lo
	v_cndmask_b32_e32 v182, v41, v182, vcc_lo
	s_delay_alu instid0(VALU_DEP_3) | instskip(NEXT) | instid1(VALU_DEP_3)
	v_cndmask_b32_e64 v20, v20, 0xffffff8a, vcc_lo
	v_lshl_add_u32 v41, 0x100000, v40, -1
	s_delay_alu instid0(VALU_DEP_3) | instskip(SKIP_1) | instid1(VALU_DEP_4)
	v_lshrrev_b32_e32 v42, v40, v182
	v_lshlrev_b32_e64 v44, v40, 0x80000
	v_add_nc_u32_e32 v40, v40, v20
	s_delay_alu instid0(VALU_DEP_4) | instskip(NEXT) | instid1(VALU_DEP_4)
	v_and_b32_e32 v182, v41, v182
	v_bfe_u32 v43, v42, 20, 1
	s_delay_alu instid0(VALU_DEP_2) | instskip(NEXT) | instid1(VALU_DEP_2)
	v_cmp_eq_u32_e64 s13, v182, v44
	v_add_nc_u32_e32 v41, -1, v43
	s_delay_alu instid0(VALU_DEP_1) | instskip(SKIP_2) | instid1(VALU_DEP_2)
	v_cndmask_b32_e64 v182, 0, v41, s13
	v_lshrrev_b32_e32 v41, 23, v42
	s_mov_b32 s13, exec_lo
	v_add_nc_u32_e32 v182, v182, v42
	s_delay_alu instid0(VALU_DEP_2) | instskip(NEXT) | instid1(VALU_DEP_2)
	v_xor_b32_e32 v41, 1, v41
	v_and_b32_e32 v20, 0xfffff, v182
	s_delay_alu instid0(VALU_DEP_1) | instskip(NEXT) | instid1(VALU_DEP_3)
	v_add_nc_u32_e32 v182, v20, v42
                                        ; implicit-def: $vgpr20
	v_cmpx_ne_u32_e64 v40, v41
	s_xor_b32 s13, exec_lo, s13
; %bb.8738:                             ;   in Loop: Header=BB4_8714 Depth=3
	s_delay_alu instid0(VALU_DEP_2) | instskip(SKIP_2) | instid1(VALU_DEP_2)
	v_cmp_lt_u32_e32 vcc_lo, 0xffffff, v182
	v_sub_nc_u32_e32 v20, v40, v41
	v_cndmask_b32_e64 v40, 0, 1, vcc_lo
	v_add_co_ci_u32_e32 v20, vcc_lo, 0, v20, vcc_lo
	s_delay_alu instid0(VALU_DEP_2)
	v_lshrrev_b32_e32 v182, v40, v182
; %bb.8739:                             ;   in Loop: Header=BB4_8714 Depth=3
	s_and_not1_saveexec_b32 s13, s13
; %bb.8740:                             ;   in Loop: Header=BB4_8714 Depth=3
	s_delay_alu instid0(VALU_DEP_1)
	v_bfe_u32 v20, v182, 23, 1
; %bb.8741:                             ;   in Loop: Header=BB4_8714 Depth=3
	s_or_b32 exec_lo, exec_lo, s13
	v_lshrrev_b32_e32 v182, 20, v182
	s_delay_alu instid0(VALU_DEP_2) | instskip(SKIP_2) | instid1(VALU_DEP_2)
	v_cmp_gt_i32_e32 vcc_lo, 16, v20
	v_lshrrev_b32_e32 v183, 24, v183
	v_min_i32_e32 v40, 15, v20
	v_dual_cndmask_b32 v182, 7, v182 :: v_dual_and_b32 v183, 0x80, v183
	s_delay_alu instid0(VALU_DEP_2) | instskip(NEXT) | instid1(VALU_DEP_2)
	v_lshlrev_b32_e32 v40, 3, v40
	v_and_b32_e32 v41, 7, v182
	v_or_b32_e32 v20, v20, v182
	s_delay_alu instid0(VALU_DEP_2) | instskip(NEXT) | instid1(VALU_DEP_2)
	v_or3_b32 v182, v40, v183, v41
	v_cmp_ne_u32_e32 vcc_lo, 0, v20
	s_delay_alu instid0(VALU_DEP_2)
	v_cndmask_b32_e32 v20, 0, v182, vcc_lo
.LBB4_8742:                             ;   in Loop: Header=BB4_8714 Depth=3
	s_or_b32 exec_lo, exec_lo, s34
.LBB4_8743:                             ;   in Loop: Header=BB4_8714 Depth=3
	s_delay_alu instid0(SALU_CYCLE_1) | instskip(NEXT) | instid1(SALU_CYCLE_1)
	s_or_b32 exec_lo, exec_lo, s31
	s_and_not1_b32 vcc_lo, exec_lo, s16
	s_cbranch_vccnz .LBB4_8753
; %bb.8744:                             ;   in Loop: Header=BB4_8714 Depth=3
	v_and_b32_e32 v183, 0xff, v181
	s_mov_b32 s13, 0
	s_mov_b32 s34, exec_lo
                                        ; implicit-def: $sgpr31
	s_delay_alu instid0(VALU_DEP_1)
	v_cmpx_lt_i16_e64 0x7f, v183
	s_xor_b32 s34, exec_lo, s34
	s_cbranch_execnz .LBB4_9192
; %bb.8745:                             ;   in Loop: Header=BB4_8714 Depth=3
	s_or_saveexec_b32 s34, s34
	v_mov_b32_e32 v182, s31
	s_xor_b32 exec_lo, exec_lo, s34
	s_cbranch_execnz .LBB4_9195
.LBB4_8746:                             ;   in Loop: Header=BB4_8714 Depth=3
	s_or_b32 exec_lo, exec_lo, s34
	s_and_saveexec_b32 s31, s13
	s_cbranch_execz .LBB4_8748
.LBB4_8747:                             ;   in Loop: Header=BB4_8714 Depth=3
	v_lshrrev_b16 v41, 3, v181
	v_lshlrev_b32_e32 v42, 24, v181
	s_delay_alu instid0(VALU_DEP_2) | instskip(NEXT) | instid1(VALU_DEP_1)
	v_and_b32_e32 v41, 15, v41
	v_cmp_eq_u32_e32 vcc_lo, 0, v41
	v_and_b32_e32 v182, 7, v181
	s_delay_alu instid0(VALU_DEP_1) | instskip(NEXT) | instid1(VALU_DEP_1)
	v_clz_i32_u32_e32 v183, v182
	v_min_u32_e32 v183, 32, v183
	s_delay_alu instid0(VALU_DEP_1) | instskip(SKIP_1) | instid1(VALU_DEP_1)
	v_subrev_nc_u32_e32 v40, 28, v183
	v_sub_nc_u32_e32 v183, 29, v183
	v_dual_cndmask_b32 v183, v41, v183 :: v_dual_lshlrev_b32 v40, v40, v181
	s_delay_alu instid0(VALU_DEP_1) | instskip(NEXT) | instid1(VALU_DEP_2)
	v_and_b32_e32 v40, 7, v40
	v_lshl_add_u32 v183, v183, 23, 0x3b800000
	s_delay_alu instid0(VALU_DEP_2) | instskip(SKIP_1) | instid1(VALU_DEP_2)
	v_cndmask_b32_e32 v182, v182, v40, vcc_lo
	v_and_b32_e32 v40, 0x80000000, v42
	v_lshlrev_b32_e32 v182, 20, v182
	s_delay_alu instid0(VALU_DEP_1)
	v_or3_b32 v182, v40, v183, v182
.LBB4_8748:                             ;   in Loop: Header=BB4_8714 Depth=3
	s_or_b32 exec_lo, exec_lo, s31
	s_waitcnt vmcnt(14) lgkmcnt(14)
	v_and_b32_e32 v40, 0xff, v23
	s_mov_b32 s13, 0
	s_mov_b32 s34, exec_lo
                                        ; implicit-def: $sgpr31
	s_delay_alu instid0(VALU_DEP_1)
	v_cmpx_lt_i16_e32 0x7f, v40
	s_xor_b32 s34, exec_lo, s34
	s_cbranch_execnz .LBB4_9196
; %bb.8749:                             ;   in Loop: Header=BB4_8714 Depth=3
	s_or_saveexec_b32 s34, s34
	v_mov_b32_e32 v183, s31
	s_xor_b32 exec_lo, exec_lo, s34
	s_cbranch_execnz .LBB4_9199
.LBB4_8750:                             ;   in Loop: Header=BB4_8714 Depth=3
	s_or_b32 exec_lo, exec_lo, s34
	s_and_saveexec_b32 s31, s13
	s_cbranch_execz .LBB4_8752
.LBB4_8751:                             ;   in Loop: Header=BB4_8714 Depth=3
	v_lshrrev_b16 v42, 3, v23
	v_lshlrev_b32_e32 v43, 24, v23
	s_delay_alu instid0(VALU_DEP_2) | instskip(NEXT) | instid1(VALU_DEP_1)
	v_and_b32_e32 v42, 15, v42
	v_cmp_eq_u32_e32 vcc_lo, 0, v42
	v_and_b32_e32 v183, 7, v23
	s_delay_alu instid0(VALU_DEP_1) | instskip(NEXT) | instid1(VALU_DEP_1)
	v_clz_i32_u32_e32 v40, v183
	v_min_u32_e32 v40, 32, v40
	s_delay_alu instid0(VALU_DEP_1) | instskip(SKIP_1) | instid1(VALU_DEP_1)
	v_subrev_nc_u32_e32 v41, 28, v40
	v_sub_nc_u32_e32 v40, 29, v40
	v_dual_cndmask_b32 v40, v42, v40 :: v_dual_lshlrev_b32 v41, v41, v23
	s_delay_alu instid0(VALU_DEP_1) | instskip(NEXT) | instid1(VALU_DEP_2)
	v_and_b32_e32 v41, 7, v41
	v_lshl_add_u32 v40, v40, 23, 0x3b800000
	s_delay_alu instid0(VALU_DEP_2) | instskip(SKIP_1) | instid1(VALU_DEP_2)
	v_cndmask_b32_e32 v183, v183, v41, vcc_lo
	v_and_b32_e32 v41, 0x80000000, v43
	v_lshlrev_b32_e32 v183, 20, v183
	s_delay_alu instid0(VALU_DEP_1)
	v_or3_b32 v183, v41, v40, v183
.LBB4_8752:                             ;   in Loop: Header=BB4_8714 Depth=3
	s_or_b32 exec_lo, exec_lo, s31
	s_delay_alu instid0(VALU_DEP_1) | instskip(SKIP_1) | instid1(VALU_DEP_1)
	v_dual_max_f32 v183, v183, v183 :: v_dual_max_f32 v182, v182, v182
	s_mov_b32 s13, 0
	v_max_f32_e32 v182, v182, v183
	s_branch .LBB4_8754
.LBB4_8753:                             ;   in Loop: Header=BB4_8714 Depth=3
	s_mov_b32 s13, -1
                                        ; implicit-def: $vgpr182
.LBB4_8754:                             ;   in Loop: Header=BB4_8714 Depth=3
	s_delay_alu instid0(SALU_CYCLE_1)
	s_and_b32 vcc_lo, exec_lo, s13
	s_cbranch_vccz .LBB4_8764
; %bb.8755:                             ;   in Loop: Header=BB4_8714 Depth=3
	v_and_b32_e32 v183, 0xff, v181
	s_mov_b32 s13, 0
	s_mov_b32 s34, exec_lo
                                        ; implicit-def: $sgpr31
	s_delay_alu instid0(VALU_DEP_1)
	v_cmpx_lt_i16_e64 0x7f, v183
	s_xor_b32 s34, exec_lo, s34
	s_cbranch_execnz .LBB4_9200
; %bb.8756:                             ;   in Loop: Header=BB4_8714 Depth=3
	s_or_saveexec_b32 s34, s34
	v_mov_b32_e32 v182, s31
	s_xor_b32 exec_lo, exec_lo, s34
	s_cbranch_execnz .LBB4_9203
.LBB4_8757:                             ;   in Loop: Header=BB4_8714 Depth=3
	s_or_b32 exec_lo, exec_lo, s34
	s_and_saveexec_b32 s31, s13
	s_cbranch_execz .LBB4_8759
.LBB4_8758:                             ;   in Loop: Header=BB4_8714 Depth=3
	v_lshrrev_b16 v41, 3, v181
	s_delay_alu instid0(VALU_DEP_1) | instskip(NEXT) | instid1(VALU_DEP_1)
	v_and_b32_e32 v41, 15, v41
	v_cmp_eq_u32_e32 vcc_lo, 0, v41
	v_and_b32_e32 v182, 7, v181
	s_delay_alu instid0(VALU_DEP_1) | instskip(NEXT) | instid1(VALU_DEP_1)
	v_clz_i32_u32_e32 v183, v182
	v_min_u32_e32 v183, 32, v183
	s_delay_alu instid0(VALU_DEP_1) | instskip(SKIP_1) | instid1(VALU_DEP_1)
	v_subrev_nc_u32_e32 v40, 28, v183
	v_sub_nc_u32_e32 v183, 29, v183
	v_dual_cndmask_b32 v183, v41, v183 :: v_dual_lshlrev_b32 v40, v40, v181
	v_lshlrev_b32_e32 v181, 24, v181
	s_delay_alu instid0(VALU_DEP_2) | instskip(NEXT) | instid1(VALU_DEP_3)
	v_and_b32_e32 v40, 7, v40
	v_lshl_add_u32 v183, v183, 23, 0x3b800000
	s_delay_alu instid0(VALU_DEP_2) | instskip(NEXT) | instid1(VALU_DEP_1)
	v_dual_cndmask_b32 v182, v182, v40 :: v_dual_and_b32 v181, 0x80000000, v181
	v_lshlrev_b32_e32 v182, 20, v182
	s_delay_alu instid0(VALU_DEP_1)
	v_or3_b32 v182, v181, v183, v182
.LBB4_8759:                             ;   in Loop: Header=BB4_8714 Depth=3
	s_or_b32 exec_lo, exec_lo, s31
	s_waitcnt vmcnt(14) lgkmcnt(14)
	v_and_b32_e32 v183, 0xff, v23
	s_mov_b32 s13, 0
	s_mov_b32 s34, exec_lo
                                        ; implicit-def: $sgpr31
	s_delay_alu instid0(VALU_DEP_1)
	v_cmpx_lt_i16_e64 0x7f, v183
	s_xor_b32 s34, exec_lo, s34
	s_cbranch_execnz .LBB4_9204
; %bb.8760:                             ;   in Loop: Header=BB4_8714 Depth=3
	s_or_saveexec_b32 s34, s34
	v_mov_b32_e32 v181, s31
	s_xor_b32 exec_lo, exec_lo, s34
	s_cbranch_execnz .LBB4_9207
.LBB4_8761:                             ;   in Loop: Header=BB4_8714 Depth=3
	s_or_b32 exec_lo, exec_lo, s34
	s_and_saveexec_b32 s31, s13
	s_cbranch_execz .LBB4_8763
.LBB4_8762:                             ;   in Loop: Header=BB4_8714 Depth=3
	v_and_b32_e32 v181, 7, v23
	v_lshrrev_b16 v41, 3, v23
	s_delay_alu instid0(VALU_DEP_2) | instskip(NEXT) | instid1(VALU_DEP_2)
	v_clz_i32_u32_e32 v183, v181
	v_and_b32_e32 v41, 15, v41
	s_delay_alu instid0(VALU_DEP_2) | instskip(NEXT) | instid1(VALU_DEP_2)
	v_min_u32_e32 v183, 32, v183
	v_cmp_eq_u32_e32 vcc_lo, 0, v41
	s_delay_alu instid0(VALU_DEP_2) | instskip(SKIP_1) | instid1(VALU_DEP_2)
	v_subrev_nc_u32_e32 v40, 28, v183
	v_sub_nc_u32_e32 v183, 29, v183
	v_lshlrev_b32_e32 v40, v40, v23
	v_lshlrev_b32_e32 v23, 24, v23
	s_delay_alu instid0(VALU_DEP_2) | instskip(NEXT) | instid1(VALU_DEP_2)
	v_dual_cndmask_b32 v183, v41, v183 :: v_dual_and_b32 v40, 7, v40
	v_and_b32_e32 v23, 0x80000000, v23
	s_delay_alu instid0(VALU_DEP_2) | instskip(NEXT) | instid1(VALU_DEP_3)
	v_lshl_add_u32 v183, v183, 23, 0x3b800000
	v_cndmask_b32_e32 v181, v181, v40, vcc_lo
	s_delay_alu instid0(VALU_DEP_1) | instskip(NEXT) | instid1(VALU_DEP_1)
	v_lshlrev_b32_e32 v181, 20, v181
	v_or3_b32 v181, v23, v183, v181
.LBB4_8763:                             ;   in Loop: Header=BB4_8714 Depth=3
	s_or_b32 exec_lo, exec_lo, s31
	s_delay_alu instid0(VALU_DEP_1) | instskip(SKIP_1) | instid1(VALU_DEP_1)
	v_max_f32_e32 v23, v181, v181
	v_max_f32_e32 v181, v182, v182
	v_min_f32_e32 v182, v181, v23
.LBB4_8764:                             ;   in Loop: Header=BB4_8714 Depth=3
	s_waitcnt vmcnt(14) lgkmcnt(14)
	s_delay_alu instid0(VALU_DEP_1) | instskip(NEXT) | instid1(VALU_DEP_1)
	v_and_b32_e32 v23, 0x7f800000, v182
	v_cmp_ne_u32_e32 vcc_lo, 0x7f800000, v23
	v_mov_b32_e32 v23, 0x80
	s_and_saveexec_b32 s31, vcc_lo
	s_cbranch_execz .LBB4_8772
; %bb.8765:                             ;   in Loop: Header=BB4_8714 Depth=3
	v_mov_b32_e32 v23, 0
	s_mov_b32 s34, exec_lo
	v_cmpx_ne_u32_e32 0, v182
	s_cbranch_execz .LBB4_8771
; %bb.8766:                             ;   in Loop: Header=BB4_8714 Depth=3
	v_bfe_u32 v23, v182, 23, 8
	v_and_b32_e32 v181, 0x7fffff, v182
	s_delay_alu instid0(VALU_DEP_2) | instskip(SKIP_1) | instid1(VALU_DEP_3)
	v_sub_nc_u32_e32 v183, 0x78, v23
	v_cmp_gt_u32_e32 vcc_lo, 0x79, v23
	v_or_b32_e32 v40, 0x800000, v181
	s_delay_alu instid0(VALU_DEP_3) | instskip(SKIP_2) | instid1(VALU_DEP_3)
	v_cndmask_b32_e32 v183, 0, v183, vcc_lo
	v_cmp_eq_u32_e32 vcc_lo, 0, v23
	v_add_nc_u32_e32 v23, 0xffffff89, v23
	v_cndmask_b32_e64 v183, v183, 0x77, vcc_lo
	v_cndmask_b32_e32 v181, v40, v181, vcc_lo
	s_delay_alu instid0(VALU_DEP_3) | instskip(NEXT) | instid1(VALU_DEP_3)
	v_cndmask_b32_e64 v23, v23, 0xffffff8a, vcc_lo
	v_lshl_add_u32 v40, 0x100000, v183, -1
	s_delay_alu instid0(VALU_DEP_3) | instskip(SKIP_1) | instid1(VALU_DEP_4)
	v_lshrrev_b32_e32 v41, v183, v181
	v_lshlrev_b32_e64 v43, v183, 0x80000
	v_add_nc_u32_e32 v183, v183, v23
	s_delay_alu instid0(VALU_DEP_4) | instskip(NEXT) | instid1(VALU_DEP_4)
	v_and_b32_e32 v181, v40, v181
	v_bfe_u32 v42, v41, 20, 1
	s_delay_alu instid0(VALU_DEP_2) | instskip(NEXT) | instid1(VALU_DEP_2)
	v_cmp_eq_u32_e64 s13, v181, v43
	v_add_nc_u32_e32 v40, -1, v42
	s_delay_alu instid0(VALU_DEP_1) | instskip(SKIP_2) | instid1(VALU_DEP_2)
	v_cndmask_b32_e64 v181, 0, v40, s13
	v_lshrrev_b32_e32 v40, 23, v41
	s_mov_b32 s13, exec_lo
	v_add_nc_u32_e32 v181, v181, v41
	s_delay_alu instid0(VALU_DEP_2) | instskip(NEXT) | instid1(VALU_DEP_2)
	v_xor_b32_e32 v40, 1, v40
	v_and_b32_e32 v23, 0xfffff, v181
	s_delay_alu instid0(VALU_DEP_1) | instskip(NEXT) | instid1(VALU_DEP_3)
	v_add_nc_u32_e32 v181, v23, v41
                                        ; implicit-def: $vgpr23
	v_cmpx_ne_u32_e64 v183, v40
	s_xor_b32 s13, exec_lo, s13
; %bb.8767:                             ;   in Loop: Header=BB4_8714 Depth=3
	s_delay_alu instid0(VALU_DEP_2) | instskip(SKIP_2) | instid1(VALU_DEP_2)
	v_cmp_lt_u32_e32 vcc_lo, 0xffffff, v181
	v_sub_nc_u32_e32 v23, v183, v40
	v_cndmask_b32_e64 v183, 0, 1, vcc_lo
	v_add_co_ci_u32_e32 v23, vcc_lo, 0, v23, vcc_lo
	s_delay_alu instid0(VALU_DEP_2)
	v_lshrrev_b32_e32 v181, v183, v181
; %bb.8768:                             ;   in Loop: Header=BB4_8714 Depth=3
	s_and_not1_saveexec_b32 s13, s13
; %bb.8769:                             ;   in Loop: Header=BB4_8714 Depth=3
	s_delay_alu instid0(VALU_DEP_1)
	v_bfe_u32 v23, v181, 23, 1
; %bb.8770:                             ;   in Loop: Header=BB4_8714 Depth=3
	s_or_b32 exec_lo, exec_lo, s13
	v_lshrrev_b32_e32 v181, 20, v181
	s_delay_alu instid0(VALU_DEP_2) | instskip(SKIP_2) | instid1(VALU_DEP_2)
	v_cmp_gt_i32_e32 vcc_lo, 16, v23
	v_lshrrev_b32_e32 v182, 24, v182
	v_min_i32_e32 v183, 15, v23
	v_dual_cndmask_b32 v181, 7, v181 :: v_dual_and_b32 v182, 0x80, v182
	s_delay_alu instid0(VALU_DEP_2) | instskip(NEXT) | instid1(VALU_DEP_2)
	v_lshlrev_b32_e32 v183, 3, v183
	v_and_b32_e32 v40, 7, v181
	v_or_b32_e32 v23, v23, v181
	s_delay_alu instid0(VALU_DEP_2) | instskip(NEXT) | instid1(VALU_DEP_2)
	v_or3_b32 v181, v183, v182, v40
	v_cmp_ne_u32_e32 vcc_lo, 0, v23
	s_delay_alu instid0(VALU_DEP_2)
	v_cndmask_b32_e32 v23, 0, v181, vcc_lo
.LBB4_8771:                             ;   in Loop: Header=BB4_8714 Depth=3
	s_or_b32 exec_lo, exec_lo, s34
.LBB4_8772:                             ;   in Loop: Header=BB4_8714 Depth=3
	s_delay_alu instid0(SALU_CYCLE_1) | instskip(NEXT) | instid1(SALU_CYCLE_1)
	s_or_b32 exec_lo, exec_lo, s31
	s_and_not1_b32 vcc_lo, exec_lo, s16
	s_cbranch_vccnz .LBB4_8782
; %bb.8773:                             ;   in Loop: Header=BB4_8714 Depth=3
	v_and_b32_e32 v182, 0xff, v180
	s_mov_b32 s13, 0
	s_mov_b32 s34, exec_lo
                                        ; implicit-def: $sgpr31
	s_delay_alu instid0(VALU_DEP_1)
	v_cmpx_lt_i16_e64 0x7f, v182
	s_xor_b32 s34, exec_lo, s34
	s_cbranch_execnz .LBB4_9208
; %bb.8774:                             ;   in Loop: Header=BB4_8714 Depth=3
	s_or_saveexec_b32 s34, s34
	v_mov_b32_e32 v181, s31
	s_xor_b32 exec_lo, exec_lo, s34
	s_cbranch_execnz .LBB4_9211
.LBB4_8775:                             ;   in Loop: Header=BB4_8714 Depth=3
	s_or_b32 exec_lo, exec_lo, s34
	s_and_saveexec_b32 s31, s13
	s_cbranch_execz .LBB4_8777
.LBB4_8776:                             ;   in Loop: Header=BB4_8714 Depth=3
	v_lshrrev_b16 v40, 3, v180
	v_lshlrev_b32_e32 v41, 24, v180
	s_delay_alu instid0(VALU_DEP_2) | instskip(NEXT) | instid1(VALU_DEP_1)
	v_and_b32_e32 v40, 15, v40
	v_cmp_eq_u32_e32 vcc_lo, 0, v40
	v_and_b32_e32 v181, 7, v180
	s_delay_alu instid0(VALU_DEP_1) | instskip(NEXT) | instid1(VALU_DEP_1)
	v_clz_i32_u32_e32 v182, v181
	v_min_u32_e32 v182, 32, v182
	s_delay_alu instid0(VALU_DEP_1) | instskip(SKIP_1) | instid1(VALU_DEP_1)
	v_subrev_nc_u32_e32 v183, 28, v182
	v_sub_nc_u32_e32 v182, 29, v182
	v_dual_cndmask_b32 v182, v40, v182 :: v_dual_lshlrev_b32 v183, v183, v180
	s_delay_alu instid0(VALU_DEP_1) | instskip(NEXT) | instid1(VALU_DEP_2)
	v_and_b32_e32 v183, 7, v183
	v_lshl_add_u32 v182, v182, 23, 0x3b800000
	s_delay_alu instid0(VALU_DEP_2) | instskip(SKIP_1) | instid1(VALU_DEP_2)
	v_cndmask_b32_e32 v181, v181, v183, vcc_lo
	v_and_b32_e32 v183, 0x80000000, v41
	v_lshlrev_b32_e32 v181, 20, v181
	s_delay_alu instid0(VALU_DEP_1)
	v_or3_b32 v181, v183, v182, v181
.LBB4_8777:                             ;   in Loop: Header=BB4_8714 Depth=3
	s_or_b32 exec_lo, exec_lo, s31
	s_waitcnt vmcnt(13) lgkmcnt(13)
	v_and_b32_e32 v183, 0xff, v80
	s_mov_b32 s13, 0
	s_mov_b32 s34, exec_lo
                                        ; implicit-def: $sgpr31
	s_delay_alu instid0(VALU_DEP_1)
	v_cmpx_lt_i16_e64 0x7f, v183
	s_xor_b32 s34, exec_lo, s34
	s_cbranch_execnz .LBB4_9212
; %bb.8778:                             ;   in Loop: Header=BB4_8714 Depth=3
	s_or_saveexec_b32 s34, s34
	v_mov_b32_e32 v182, s31
	s_xor_b32 exec_lo, exec_lo, s34
	s_cbranch_execnz .LBB4_9215
.LBB4_8779:                             ;   in Loop: Header=BB4_8714 Depth=3
	s_or_b32 exec_lo, exec_lo, s34
	s_and_saveexec_b32 s31, s13
	s_cbranch_execz .LBB4_8781
.LBB4_8780:                             ;   in Loop: Header=BB4_8714 Depth=3
	v_lshrrev_b16 v41, 3, v80
	v_lshlrev_b32_e32 v42, 24, v80
	s_delay_alu instid0(VALU_DEP_2) | instskip(NEXT) | instid1(VALU_DEP_1)
	v_and_b32_e32 v41, 15, v41
	v_cmp_eq_u32_e32 vcc_lo, 0, v41
	v_and_b32_e32 v182, 7, v80
	s_delay_alu instid0(VALU_DEP_1) | instskip(NEXT) | instid1(VALU_DEP_1)
	v_clz_i32_u32_e32 v183, v182
	v_min_u32_e32 v183, 32, v183
	s_delay_alu instid0(VALU_DEP_1) | instskip(SKIP_1) | instid1(VALU_DEP_1)
	v_subrev_nc_u32_e32 v40, 28, v183
	v_sub_nc_u32_e32 v183, 29, v183
	v_dual_cndmask_b32 v183, v41, v183 :: v_dual_lshlrev_b32 v40, v40, v80
	s_delay_alu instid0(VALU_DEP_1) | instskip(NEXT) | instid1(VALU_DEP_2)
	v_and_b32_e32 v40, 7, v40
	v_lshl_add_u32 v183, v183, 23, 0x3b800000
	s_delay_alu instid0(VALU_DEP_2) | instskip(SKIP_1) | instid1(VALU_DEP_2)
	v_cndmask_b32_e32 v182, v182, v40, vcc_lo
	v_and_b32_e32 v40, 0x80000000, v42
	v_lshlrev_b32_e32 v182, 20, v182
	s_delay_alu instid0(VALU_DEP_1)
	v_or3_b32 v182, v40, v183, v182
.LBB4_8781:                             ;   in Loop: Header=BB4_8714 Depth=3
	s_or_b32 exec_lo, exec_lo, s31
	s_delay_alu instid0(VALU_DEP_1) | instskip(SKIP_1) | instid1(VALU_DEP_1)
	v_dual_max_f32 v182, v182, v182 :: v_dual_max_f32 v181, v181, v181
	s_mov_b32 s13, 0
	v_max_f32_e32 v181, v181, v182
	s_branch .LBB4_8783
.LBB4_8782:                             ;   in Loop: Header=BB4_8714 Depth=3
	s_mov_b32 s13, -1
                                        ; implicit-def: $vgpr181
.LBB4_8783:                             ;   in Loop: Header=BB4_8714 Depth=3
	s_delay_alu instid0(SALU_CYCLE_1)
	s_and_b32 vcc_lo, exec_lo, s13
	s_cbranch_vccz .LBB4_8793
; %bb.8784:                             ;   in Loop: Header=BB4_8714 Depth=3
	v_and_b32_e32 v182, 0xff, v180
	s_mov_b32 s13, 0
	s_mov_b32 s34, exec_lo
                                        ; implicit-def: $sgpr31
	s_delay_alu instid0(VALU_DEP_1)
	v_cmpx_lt_i16_e64 0x7f, v182
	s_xor_b32 s34, exec_lo, s34
	s_cbranch_execnz .LBB4_9216
; %bb.8785:                             ;   in Loop: Header=BB4_8714 Depth=3
	s_or_saveexec_b32 s34, s34
	v_mov_b32_e32 v181, s31
	s_xor_b32 exec_lo, exec_lo, s34
	s_cbranch_execnz .LBB4_9219
.LBB4_8786:                             ;   in Loop: Header=BB4_8714 Depth=3
	s_or_b32 exec_lo, exec_lo, s34
	s_and_saveexec_b32 s31, s13
	s_cbranch_execz .LBB4_8788
.LBB4_8787:                             ;   in Loop: Header=BB4_8714 Depth=3
	v_lshrrev_b16 v40, 3, v180
	s_delay_alu instid0(VALU_DEP_1) | instskip(NEXT) | instid1(VALU_DEP_1)
	v_and_b32_e32 v40, 15, v40
	v_cmp_eq_u32_e32 vcc_lo, 0, v40
	v_and_b32_e32 v181, 7, v180
	s_delay_alu instid0(VALU_DEP_1) | instskip(NEXT) | instid1(VALU_DEP_1)
	v_clz_i32_u32_e32 v182, v181
	v_min_u32_e32 v182, 32, v182
	s_delay_alu instid0(VALU_DEP_1) | instskip(SKIP_1) | instid1(VALU_DEP_1)
	v_subrev_nc_u32_e32 v183, 28, v182
	v_sub_nc_u32_e32 v182, 29, v182
	v_dual_cndmask_b32 v182, v40, v182 :: v_dual_lshlrev_b32 v183, v183, v180
	v_lshlrev_b32_e32 v180, 24, v180
	s_delay_alu instid0(VALU_DEP_2) | instskip(NEXT) | instid1(VALU_DEP_3)
	v_and_b32_e32 v183, 7, v183
	v_lshl_add_u32 v182, v182, 23, 0x3b800000
	s_delay_alu instid0(VALU_DEP_2) | instskip(NEXT) | instid1(VALU_DEP_1)
	v_dual_cndmask_b32 v181, v181, v183 :: v_dual_and_b32 v180, 0x80000000, v180
	v_lshlrev_b32_e32 v181, 20, v181
	s_delay_alu instid0(VALU_DEP_1)
	v_or3_b32 v181, v180, v182, v181
.LBB4_8788:                             ;   in Loop: Header=BB4_8714 Depth=3
	s_or_b32 exec_lo, exec_lo, s31
	s_waitcnt vmcnt(13) lgkmcnt(13)
	v_and_b32_e32 v182, 0xff, v80
	s_mov_b32 s13, 0
	s_mov_b32 s34, exec_lo
                                        ; implicit-def: $sgpr31
	s_delay_alu instid0(VALU_DEP_1)
	v_cmpx_lt_i16_e64 0x7f, v182
	s_xor_b32 s34, exec_lo, s34
	s_cbranch_execnz .LBB4_9220
; %bb.8789:                             ;   in Loop: Header=BB4_8714 Depth=3
	s_or_saveexec_b32 s34, s34
	v_mov_b32_e32 v180, s31
	s_xor_b32 exec_lo, exec_lo, s34
	s_cbranch_execnz .LBB4_9223
.LBB4_8790:                             ;   in Loop: Header=BB4_8714 Depth=3
	s_or_b32 exec_lo, exec_lo, s34
	s_and_saveexec_b32 s31, s13
	s_cbranch_execz .LBB4_8792
.LBB4_8791:                             ;   in Loop: Header=BB4_8714 Depth=3
	v_and_b32_e32 v180, 7, v80
	v_lshrrev_b16 v40, 3, v80
	s_delay_alu instid0(VALU_DEP_2) | instskip(NEXT) | instid1(VALU_DEP_2)
	v_clz_i32_u32_e32 v182, v180
	v_and_b32_e32 v40, 15, v40
	s_delay_alu instid0(VALU_DEP_2) | instskip(NEXT) | instid1(VALU_DEP_2)
	v_min_u32_e32 v182, 32, v182
	v_cmp_eq_u32_e32 vcc_lo, 0, v40
	s_delay_alu instid0(VALU_DEP_2) | instskip(SKIP_1) | instid1(VALU_DEP_1)
	v_subrev_nc_u32_e32 v183, 28, v182
	v_sub_nc_u32_e32 v182, 29, v182
	v_dual_cndmask_b32 v182, v40, v182 :: v_dual_lshlrev_b32 v183, v183, v80
	v_lshlrev_b32_e32 v80, 24, v80
	s_delay_alu instid0(VALU_DEP_2) | instskip(NEXT) | instid1(VALU_DEP_3)
	v_and_b32_e32 v183, 7, v183
	v_lshl_add_u32 v182, v182, 23, 0x3b800000
	s_delay_alu instid0(VALU_DEP_3) | instskip(NEXT) | instid1(VALU_DEP_3)
	v_and_b32_e32 v80, 0x80000000, v80
	v_cndmask_b32_e32 v180, v180, v183, vcc_lo
	s_delay_alu instid0(VALU_DEP_1) | instskip(NEXT) | instid1(VALU_DEP_1)
	v_lshlrev_b32_e32 v180, 20, v180
	v_or3_b32 v180, v80, v182, v180
.LBB4_8792:                             ;   in Loop: Header=BB4_8714 Depth=3
	s_or_b32 exec_lo, exec_lo, s31
	s_delay_alu instid0(VALU_DEP_1) | instskip(SKIP_1) | instid1(VALU_DEP_1)
	v_max_f32_e32 v80, v180, v180
	v_max_f32_e32 v180, v181, v181
	v_min_f32_e32 v181, v180, v80
.LBB4_8793:                             ;   in Loop: Header=BB4_8714 Depth=3
	s_waitcnt vmcnt(13) lgkmcnt(13)
	s_delay_alu instid0(VALU_DEP_1) | instskip(NEXT) | instid1(VALU_DEP_1)
	v_and_b32_e32 v80, 0x7f800000, v181
	v_cmp_ne_u32_e32 vcc_lo, 0x7f800000, v80
	v_mov_b32_e32 v80, 0x80
	s_and_saveexec_b32 s31, vcc_lo
	s_cbranch_execz .LBB4_8801
; %bb.8794:                             ;   in Loop: Header=BB4_8714 Depth=3
	v_mov_b32_e32 v80, 0
	s_mov_b32 s34, exec_lo
	v_cmpx_ne_u32_e32 0, v181
	s_cbranch_execz .LBB4_8800
; %bb.8795:                             ;   in Loop: Header=BB4_8714 Depth=3
	v_bfe_u32 v80, v181, 23, 8
	v_and_b32_e32 v180, 0x7fffff, v181
	s_delay_alu instid0(VALU_DEP_2) | instskip(SKIP_1) | instid1(VALU_DEP_3)
	v_sub_nc_u32_e32 v182, 0x78, v80
	v_cmp_gt_u32_e32 vcc_lo, 0x79, v80
	v_or_b32_e32 v183, 0x800000, v180
	s_delay_alu instid0(VALU_DEP_3) | instskip(SKIP_2) | instid1(VALU_DEP_3)
	v_cndmask_b32_e32 v182, 0, v182, vcc_lo
	v_cmp_eq_u32_e32 vcc_lo, 0, v80
	v_add_nc_u32_e32 v80, 0xffffff89, v80
	v_cndmask_b32_e64 v182, v182, 0x77, vcc_lo
	v_cndmask_b32_e32 v180, v183, v180, vcc_lo
	s_delay_alu instid0(VALU_DEP_3) | instskip(NEXT) | instid1(VALU_DEP_3)
	v_cndmask_b32_e64 v80, v80, 0xffffff8a, vcc_lo
	v_lshl_add_u32 v183, 0x100000, v182, -1
	s_delay_alu instid0(VALU_DEP_3) | instskip(SKIP_1) | instid1(VALU_DEP_4)
	v_lshrrev_b32_e32 v40, v182, v180
	v_lshlrev_b32_e64 v42, v182, 0x80000
	v_add_nc_u32_e32 v182, v182, v80
	s_delay_alu instid0(VALU_DEP_4) | instskip(NEXT) | instid1(VALU_DEP_4)
	v_and_b32_e32 v180, v183, v180
	v_bfe_u32 v41, v40, 20, 1
	s_delay_alu instid0(VALU_DEP_2) | instskip(NEXT) | instid1(VALU_DEP_2)
	v_cmp_eq_u32_e64 s13, v180, v42
	v_add_nc_u32_e32 v183, -1, v41
	s_delay_alu instid0(VALU_DEP_1) | instskip(SKIP_2) | instid1(VALU_DEP_2)
	v_cndmask_b32_e64 v180, 0, v183, s13
	v_lshrrev_b32_e32 v183, 23, v40
	s_mov_b32 s13, exec_lo
	v_add_nc_u32_e32 v180, v180, v40
	s_delay_alu instid0(VALU_DEP_2) | instskip(NEXT) | instid1(VALU_DEP_2)
	v_xor_b32_e32 v183, 1, v183
	v_and_b32_e32 v80, 0xfffff, v180
	s_delay_alu instid0(VALU_DEP_1) | instskip(NEXT) | instid1(VALU_DEP_3)
	v_add_nc_u32_e32 v180, v80, v40
                                        ; implicit-def: $vgpr80
	v_cmpx_ne_u32_e64 v182, v183
	s_xor_b32 s13, exec_lo, s13
; %bb.8796:                             ;   in Loop: Header=BB4_8714 Depth=3
	s_delay_alu instid0(VALU_DEP_2) | instskip(SKIP_2) | instid1(VALU_DEP_2)
	v_cmp_lt_u32_e32 vcc_lo, 0xffffff, v180
	v_sub_nc_u32_e32 v80, v182, v183
	v_cndmask_b32_e64 v182, 0, 1, vcc_lo
	v_add_co_ci_u32_e32 v80, vcc_lo, 0, v80, vcc_lo
	s_delay_alu instid0(VALU_DEP_2)
	v_lshrrev_b32_e32 v180, v182, v180
; %bb.8797:                             ;   in Loop: Header=BB4_8714 Depth=3
	s_and_not1_saveexec_b32 s13, s13
; %bb.8798:                             ;   in Loop: Header=BB4_8714 Depth=3
	s_delay_alu instid0(VALU_DEP_1)
	v_bfe_u32 v80, v180, 23, 1
; %bb.8799:                             ;   in Loop: Header=BB4_8714 Depth=3
	s_or_b32 exec_lo, exec_lo, s13
	v_lshrrev_b32_e32 v180, 20, v180
	s_delay_alu instid0(VALU_DEP_2) | instskip(SKIP_2) | instid1(VALU_DEP_2)
	v_cmp_gt_i32_e32 vcc_lo, 16, v80
	v_lshrrev_b32_e32 v181, 24, v181
	v_min_i32_e32 v182, 15, v80
	v_dual_cndmask_b32 v180, 7, v180 :: v_dual_and_b32 v181, 0x80, v181
	s_delay_alu instid0(VALU_DEP_2) | instskip(NEXT) | instid1(VALU_DEP_2)
	v_lshlrev_b32_e32 v182, 3, v182
	v_and_b32_e32 v183, 7, v180
	v_or_b32_e32 v80, v80, v180
	s_delay_alu instid0(VALU_DEP_2) | instskip(NEXT) | instid1(VALU_DEP_2)
	v_or3_b32 v180, v182, v181, v183
	v_cmp_ne_u32_e32 vcc_lo, 0, v80
	s_delay_alu instid0(VALU_DEP_2)
	v_cndmask_b32_e32 v80, 0, v180, vcc_lo
.LBB4_8800:                             ;   in Loop: Header=BB4_8714 Depth=3
	s_or_b32 exec_lo, exec_lo, s34
.LBB4_8801:                             ;   in Loop: Header=BB4_8714 Depth=3
	s_delay_alu instid0(SALU_CYCLE_1) | instskip(NEXT) | instid1(SALU_CYCLE_1)
	s_or_b32 exec_lo, exec_lo, s31
	s_and_not1_b32 vcc_lo, exec_lo, s16
	s_cbranch_vccnz .LBB4_8811
; %bb.8802:                             ;   in Loop: Header=BB4_8714 Depth=3
	v_and_b32_e32 v181, 0xff, v179
	s_mov_b32 s13, 0
	s_mov_b32 s34, exec_lo
                                        ; implicit-def: $sgpr31
	s_delay_alu instid0(VALU_DEP_1)
	v_cmpx_lt_i16_e64 0x7f, v181
	s_xor_b32 s34, exec_lo, s34
	s_cbranch_execnz .LBB4_9224
; %bb.8803:                             ;   in Loop: Header=BB4_8714 Depth=3
	s_or_saveexec_b32 s34, s34
	v_mov_b32_e32 v180, s31
	s_xor_b32 exec_lo, exec_lo, s34
	s_cbranch_execnz .LBB4_9227
.LBB4_8804:                             ;   in Loop: Header=BB4_8714 Depth=3
	s_or_b32 exec_lo, exec_lo, s34
	s_and_saveexec_b32 s31, s13
	s_cbranch_execz .LBB4_8806
.LBB4_8805:                             ;   in Loop: Header=BB4_8714 Depth=3
	v_lshrrev_b16 v183, 3, v179
	v_lshlrev_b32_e32 v40, 24, v179
	s_delay_alu instid0(VALU_DEP_2) | instskip(NEXT) | instid1(VALU_DEP_1)
	v_and_b32_e32 v183, 15, v183
	v_cmp_eq_u32_e32 vcc_lo, 0, v183
	v_and_b32_e32 v180, 7, v179
	s_delay_alu instid0(VALU_DEP_1) | instskip(NEXT) | instid1(VALU_DEP_1)
	v_clz_i32_u32_e32 v181, v180
	v_min_u32_e32 v181, 32, v181
	s_delay_alu instid0(VALU_DEP_1) | instskip(SKIP_1) | instid1(VALU_DEP_1)
	v_subrev_nc_u32_e32 v182, 28, v181
	v_sub_nc_u32_e32 v181, 29, v181
	v_dual_cndmask_b32 v181, v183, v181 :: v_dual_lshlrev_b32 v182, v182, v179
	s_delay_alu instid0(VALU_DEP_1) | instskip(NEXT) | instid1(VALU_DEP_2)
	v_and_b32_e32 v182, 7, v182
	v_lshl_add_u32 v181, v181, 23, 0x3b800000
	s_delay_alu instid0(VALU_DEP_2) | instskip(SKIP_1) | instid1(VALU_DEP_2)
	v_cndmask_b32_e32 v180, v180, v182, vcc_lo
	v_and_b32_e32 v182, 0x80000000, v40
	v_lshlrev_b32_e32 v180, 20, v180
	s_delay_alu instid0(VALU_DEP_1)
	v_or3_b32 v180, v182, v181, v180
.LBB4_8806:                             ;   in Loop: Header=BB4_8714 Depth=3
	s_or_b32 exec_lo, exec_lo, s31
	s_waitcnt vmcnt(12) lgkmcnt(12)
	v_and_b32_e32 v182, 0xff, v83
	s_mov_b32 s13, 0
	s_mov_b32 s34, exec_lo
                                        ; implicit-def: $sgpr31
	s_delay_alu instid0(VALU_DEP_1)
	v_cmpx_lt_i16_e64 0x7f, v182
	s_xor_b32 s34, exec_lo, s34
	s_cbranch_execnz .LBB4_9228
; %bb.8807:                             ;   in Loop: Header=BB4_8714 Depth=3
	s_or_saveexec_b32 s34, s34
	v_mov_b32_e32 v181, s31
	s_xor_b32 exec_lo, exec_lo, s34
	s_cbranch_execnz .LBB4_9231
.LBB4_8808:                             ;   in Loop: Header=BB4_8714 Depth=3
	s_or_b32 exec_lo, exec_lo, s34
	s_and_saveexec_b32 s31, s13
	s_cbranch_execz .LBB4_8810
.LBB4_8809:                             ;   in Loop: Header=BB4_8714 Depth=3
	v_lshrrev_b16 v40, 3, v83
	v_lshlrev_b32_e32 v41, 24, v83
	s_delay_alu instid0(VALU_DEP_2) | instskip(NEXT) | instid1(VALU_DEP_1)
	v_and_b32_e32 v40, 15, v40
	v_cmp_eq_u32_e32 vcc_lo, 0, v40
	v_and_b32_e32 v181, 7, v83
	s_delay_alu instid0(VALU_DEP_1) | instskip(NEXT) | instid1(VALU_DEP_1)
	v_clz_i32_u32_e32 v182, v181
	v_min_u32_e32 v182, 32, v182
	s_delay_alu instid0(VALU_DEP_1) | instskip(SKIP_1) | instid1(VALU_DEP_1)
	v_subrev_nc_u32_e32 v183, 28, v182
	v_sub_nc_u32_e32 v182, 29, v182
	v_dual_cndmask_b32 v182, v40, v182 :: v_dual_lshlrev_b32 v183, v183, v83
	s_delay_alu instid0(VALU_DEP_1) | instskip(NEXT) | instid1(VALU_DEP_2)
	v_and_b32_e32 v183, 7, v183
	v_lshl_add_u32 v182, v182, 23, 0x3b800000
	s_delay_alu instid0(VALU_DEP_2) | instskip(SKIP_1) | instid1(VALU_DEP_2)
	v_cndmask_b32_e32 v181, v181, v183, vcc_lo
	v_and_b32_e32 v183, 0x80000000, v41
	v_lshlrev_b32_e32 v181, 20, v181
	s_delay_alu instid0(VALU_DEP_1)
	v_or3_b32 v181, v183, v182, v181
.LBB4_8810:                             ;   in Loop: Header=BB4_8714 Depth=3
	s_or_b32 exec_lo, exec_lo, s31
	s_delay_alu instid0(VALU_DEP_1) | instskip(SKIP_1) | instid1(VALU_DEP_1)
	v_dual_max_f32 v181, v181, v181 :: v_dual_max_f32 v180, v180, v180
	s_mov_b32 s13, 0
	v_max_f32_e32 v180, v180, v181
	s_branch .LBB4_8812
.LBB4_8811:                             ;   in Loop: Header=BB4_8714 Depth=3
	s_mov_b32 s13, -1
                                        ; implicit-def: $vgpr180
.LBB4_8812:                             ;   in Loop: Header=BB4_8714 Depth=3
	s_delay_alu instid0(SALU_CYCLE_1)
	s_and_b32 vcc_lo, exec_lo, s13
	s_cbranch_vccz .LBB4_8822
; %bb.8813:                             ;   in Loop: Header=BB4_8714 Depth=3
	v_and_b32_e32 v181, 0xff, v179
	s_mov_b32 s13, 0
	s_mov_b32 s34, exec_lo
                                        ; implicit-def: $sgpr31
	s_delay_alu instid0(VALU_DEP_1)
	v_cmpx_lt_i16_e64 0x7f, v181
	s_xor_b32 s34, exec_lo, s34
	s_cbranch_execnz .LBB4_9232
; %bb.8814:                             ;   in Loop: Header=BB4_8714 Depth=3
	s_or_saveexec_b32 s34, s34
	v_mov_b32_e32 v180, s31
	s_xor_b32 exec_lo, exec_lo, s34
	s_cbranch_execnz .LBB4_9235
.LBB4_8815:                             ;   in Loop: Header=BB4_8714 Depth=3
	s_or_b32 exec_lo, exec_lo, s34
	s_and_saveexec_b32 s31, s13
	s_cbranch_execz .LBB4_8817
.LBB4_8816:                             ;   in Loop: Header=BB4_8714 Depth=3
	v_lshrrev_b16 v183, 3, v179
	s_delay_alu instid0(VALU_DEP_1) | instskip(NEXT) | instid1(VALU_DEP_1)
	v_and_b32_e32 v183, 15, v183
	v_cmp_eq_u32_e32 vcc_lo, 0, v183
	v_and_b32_e32 v180, 7, v179
	s_delay_alu instid0(VALU_DEP_1) | instskip(NEXT) | instid1(VALU_DEP_1)
	v_clz_i32_u32_e32 v181, v180
	v_min_u32_e32 v181, 32, v181
	s_delay_alu instid0(VALU_DEP_1) | instskip(SKIP_1) | instid1(VALU_DEP_1)
	v_subrev_nc_u32_e32 v182, 28, v181
	v_sub_nc_u32_e32 v181, 29, v181
	v_dual_cndmask_b32 v181, v183, v181 :: v_dual_lshlrev_b32 v182, v182, v179
	v_lshlrev_b32_e32 v179, 24, v179
	s_delay_alu instid0(VALU_DEP_2) | instskip(NEXT) | instid1(VALU_DEP_3)
	v_and_b32_e32 v182, 7, v182
	v_lshl_add_u32 v181, v181, 23, 0x3b800000
	s_delay_alu instid0(VALU_DEP_2) | instskip(NEXT) | instid1(VALU_DEP_1)
	v_dual_cndmask_b32 v180, v180, v182 :: v_dual_and_b32 v179, 0x80000000, v179
	v_lshlrev_b32_e32 v180, 20, v180
	s_delay_alu instid0(VALU_DEP_1)
	v_or3_b32 v180, v179, v181, v180
.LBB4_8817:                             ;   in Loop: Header=BB4_8714 Depth=3
	s_or_b32 exec_lo, exec_lo, s31
	s_waitcnt vmcnt(12) lgkmcnt(12)
	v_and_b32_e32 v181, 0xff, v83
	s_mov_b32 s13, 0
	s_mov_b32 s34, exec_lo
                                        ; implicit-def: $sgpr31
	s_delay_alu instid0(VALU_DEP_1)
	v_cmpx_lt_i16_e64 0x7f, v181
	s_xor_b32 s34, exec_lo, s34
	s_cbranch_execnz .LBB4_9236
; %bb.8818:                             ;   in Loop: Header=BB4_8714 Depth=3
	s_or_saveexec_b32 s34, s34
	v_mov_b32_e32 v179, s31
	s_xor_b32 exec_lo, exec_lo, s34
	s_cbranch_execnz .LBB4_9239
.LBB4_8819:                             ;   in Loop: Header=BB4_8714 Depth=3
	s_or_b32 exec_lo, exec_lo, s34
	s_and_saveexec_b32 s31, s13
	s_cbranch_execz .LBB4_8821
.LBB4_8820:                             ;   in Loop: Header=BB4_8714 Depth=3
	v_and_b32_e32 v179, 7, v83
	v_lshrrev_b16 v183, 3, v83
	s_delay_alu instid0(VALU_DEP_2) | instskip(NEXT) | instid1(VALU_DEP_2)
	v_clz_i32_u32_e32 v181, v179
	v_and_b32_e32 v183, 15, v183
	s_delay_alu instid0(VALU_DEP_2) | instskip(NEXT) | instid1(VALU_DEP_2)
	v_min_u32_e32 v181, 32, v181
	v_cmp_eq_u32_e32 vcc_lo, 0, v183
	s_delay_alu instid0(VALU_DEP_2) | instskip(SKIP_1) | instid1(VALU_DEP_1)
	v_subrev_nc_u32_e32 v182, 28, v181
	v_sub_nc_u32_e32 v181, 29, v181
	v_dual_cndmask_b32 v181, v183, v181 :: v_dual_lshlrev_b32 v182, v182, v83
	v_lshlrev_b32_e32 v83, 24, v83
	s_delay_alu instid0(VALU_DEP_2) | instskip(NEXT) | instid1(VALU_DEP_3)
	v_and_b32_e32 v182, 7, v182
	v_lshl_add_u32 v181, v181, 23, 0x3b800000
	s_delay_alu instid0(VALU_DEP_3) | instskip(NEXT) | instid1(VALU_DEP_3)
	v_and_b32_e32 v83, 0x80000000, v83
	v_cndmask_b32_e32 v179, v179, v182, vcc_lo
	s_delay_alu instid0(VALU_DEP_1) | instskip(NEXT) | instid1(VALU_DEP_1)
	v_lshlrev_b32_e32 v179, 20, v179
	v_or3_b32 v179, v83, v181, v179
.LBB4_8821:                             ;   in Loop: Header=BB4_8714 Depth=3
	s_or_b32 exec_lo, exec_lo, s31
	s_delay_alu instid0(VALU_DEP_1) | instskip(SKIP_1) | instid1(VALU_DEP_1)
	v_max_f32_e32 v83, v179, v179
	v_max_f32_e32 v179, v180, v180
	v_min_f32_e32 v180, v179, v83
.LBB4_8822:                             ;   in Loop: Header=BB4_8714 Depth=3
	s_waitcnt vmcnt(12) lgkmcnt(12)
	s_delay_alu instid0(VALU_DEP_1) | instskip(NEXT) | instid1(VALU_DEP_1)
	v_and_b32_e32 v83, 0x7f800000, v180
	v_cmp_ne_u32_e32 vcc_lo, 0x7f800000, v83
	v_mov_b32_e32 v83, 0x80
	s_and_saveexec_b32 s31, vcc_lo
	s_cbranch_execz .LBB4_8830
; %bb.8823:                             ;   in Loop: Header=BB4_8714 Depth=3
	v_mov_b32_e32 v83, 0
	s_mov_b32 s34, exec_lo
	v_cmpx_ne_u32_e32 0, v180
	s_cbranch_execz .LBB4_8829
; %bb.8824:                             ;   in Loop: Header=BB4_8714 Depth=3
	v_bfe_u32 v83, v180, 23, 8
	v_and_b32_e32 v179, 0x7fffff, v180
	s_delay_alu instid0(VALU_DEP_2) | instskip(SKIP_1) | instid1(VALU_DEP_3)
	v_sub_nc_u32_e32 v181, 0x78, v83
	v_cmp_gt_u32_e32 vcc_lo, 0x79, v83
	v_or_b32_e32 v182, 0x800000, v179
	s_delay_alu instid0(VALU_DEP_3) | instskip(SKIP_2) | instid1(VALU_DEP_3)
	v_cndmask_b32_e32 v181, 0, v181, vcc_lo
	v_cmp_eq_u32_e32 vcc_lo, 0, v83
	v_add_nc_u32_e32 v83, 0xffffff89, v83
	v_cndmask_b32_e64 v181, v181, 0x77, vcc_lo
	v_cndmask_b32_e32 v179, v182, v179, vcc_lo
	s_delay_alu instid0(VALU_DEP_3) | instskip(NEXT) | instid1(VALU_DEP_3)
	v_cndmask_b32_e64 v83, v83, 0xffffff8a, vcc_lo
	v_lshl_add_u32 v182, 0x100000, v181, -1
	s_delay_alu instid0(VALU_DEP_3) | instskip(SKIP_1) | instid1(VALU_DEP_4)
	v_lshrrev_b32_e32 v183, v181, v179
	v_lshlrev_b32_e64 v41, v181, 0x80000
	v_add_nc_u32_e32 v181, v181, v83
	s_delay_alu instid0(VALU_DEP_4) | instskip(NEXT) | instid1(VALU_DEP_4)
	v_and_b32_e32 v179, v182, v179
	v_bfe_u32 v40, v183, 20, 1
	s_delay_alu instid0(VALU_DEP_2) | instskip(NEXT) | instid1(VALU_DEP_2)
	v_cmp_eq_u32_e64 s13, v179, v41
	v_add_nc_u32_e32 v182, -1, v40
	s_delay_alu instid0(VALU_DEP_1) | instskip(SKIP_2) | instid1(VALU_DEP_2)
	v_cndmask_b32_e64 v179, 0, v182, s13
	v_lshrrev_b32_e32 v182, 23, v183
	s_mov_b32 s13, exec_lo
	v_add_nc_u32_e32 v179, v179, v183
	s_delay_alu instid0(VALU_DEP_2) | instskip(NEXT) | instid1(VALU_DEP_2)
	v_xor_b32_e32 v182, 1, v182
	v_and_b32_e32 v83, 0xfffff, v179
	s_delay_alu instid0(VALU_DEP_1) | instskip(NEXT) | instid1(VALU_DEP_3)
	v_add_nc_u32_e32 v179, v83, v183
                                        ; implicit-def: $vgpr83
	v_cmpx_ne_u32_e64 v181, v182
	s_xor_b32 s13, exec_lo, s13
; %bb.8825:                             ;   in Loop: Header=BB4_8714 Depth=3
	s_delay_alu instid0(VALU_DEP_2) | instskip(SKIP_2) | instid1(VALU_DEP_2)
	v_cmp_lt_u32_e32 vcc_lo, 0xffffff, v179
	v_sub_nc_u32_e32 v83, v181, v182
	v_cndmask_b32_e64 v181, 0, 1, vcc_lo
	v_add_co_ci_u32_e32 v83, vcc_lo, 0, v83, vcc_lo
	s_delay_alu instid0(VALU_DEP_2)
	v_lshrrev_b32_e32 v179, v181, v179
; %bb.8826:                             ;   in Loop: Header=BB4_8714 Depth=3
	s_and_not1_saveexec_b32 s13, s13
; %bb.8827:                             ;   in Loop: Header=BB4_8714 Depth=3
	s_delay_alu instid0(VALU_DEP_1)
	v_bfe_u32 v83, v179, 23, 1
; %bb.8828:                             ;   in Loop: Header=BB4_8714 Depth=3
	s_or_b32 exec_lo, exec_lo, s13
	v_lshrrev_b32_e32 v179, 20, v179
	s_delay_alu instid0(VALU_DEP_2) | instskip(SKIP_2) | instid1(VALU_DEP_2)
	v_cmp_gt_i32_e32 vcc_lo, 16, v83
	v_lshrrev_b32_e32 v180, 24, v180
	v_min_i32_e32 v181, 15, v83
	v_dual_cndmask_b32 v179, 7, v179 :: v_dual_and_b32 v180, 0x80, v180
	s_delay_alu instid0(VALU_DEP_2) | instskip(NEXT) | instid1(VALU_DEP_2)
	v_lshlrev_b32_e32 v181, 3, v181
	v_and_b32_e32 v182, 7, v179
	v_or_b32_e32 v83, v83, v179
	s_delay_alu instid0(VALU_DEP_2) | instskip(NEXT) | instid1(VALU_DEP_2)
	v_or3_b32 v179, v181, v180, v182
	v_cmp_ne_u32_e32 vcc_lo, 0, v83
	s_delay_alu instid0(VALU_DEP_2)
	v_cndmask_b32_e32 v83, 0, v179, vcc_lo
.LBB4_8829:                             ;   in Loop: Header=BB4_8714 Depth=3
	s_or_b32 exec_lo, exec_lo, s34
.LBB4_8830:                             ;   in Loop: Header=BB4_8714 Depth=3
	s_delay_alu instid0(SALU_CYCLE_1) | instskip(NEXT) | instid1(SALU_CYCLE_1)
	s_or_b32 exec_lo, exec_lo, s31
	s_and_not1_b32 vcc_lo, exec_lo, s16
	s_cbranch_vccnz .LBB4_8840
; %bb.8831:                             ;   in Loop: Header=BB4_8714 Depth=3
	v_and_b32_e32 v180, 0xff, v178
	s_mov_b32 s13, 0
	s_mov_b32 s34, exec_lo
                                        ; implicit-def: $sgpr31
	s_delay_alu instid0(VALU_DEP_1)
	v_cmpx_lt_i16_e64 0x7f, v180
	s_xor_b32 s34, exec_lo, s34
	s_cbranch_execnz .LBB4_9240
; %bb.8832:                             ;   in Loop: Header=BB4_8714 Depth=3
	s_or_saveexec_b32 s34, s34
	v_mov_b32_e32 v179, s31
	s_xor_b32 exec_lo, exec_lo, s34
	s_cbranch_execnz .LBB4_9243
.LBB4_8833:                             ;   in Loop: Header=BB4_8714 Depth=3
	s_or_b32 exec_lo, exec_lo, s34
	s_and_saveexec_b32 s31, s13
	s_cbranch_execz .LBB4_8835
.LBB4_8834:                             ;   in Loop: Header=BB4_8714 Depth=3
	v_lshrrev_b16 v182, 3, v178
	v_lshlrev_b32_e32 v183, 24, v178
	s_delay_alu instid0(VALU_DEP_2) | instskip(NEXT) | instid1(VALU_DEP_1)
	v_and_b32_e32 v182, 15, v182
	v_cmp_eq_u32_e32 vcc_lo, 0, v182
	v_and_b32_e32 v179, 7, v178
	s_delay_alu instid0(VALU_DEP_1) | instskip(NEXT) | instid1(VALU_DEP_1)
	v_clz_i32_u32_e32 v180, v179
	v_min_u32_e32 v180, 32, v180
	s_delay_alu instid0(VALU_DEP_1) | instskip(SKIP_1) | instid1(VALU_DEP_1)
	v_subrev_nc_u32_e32 v181, 28, v180
	v_sub_nc_u32_e32 v180, 29, v180
	v_dual_cndmask_b32 v180, v182, v180 :: v_dual_lshlrev_b32 v181, v181, v178
	s_delay_alu instid0(VALU_DEP_1) | instskip(NEXT) | instid1(VALU_DEP_2)
	v_and_b32_e32 v181, 7, v181
	v_lshl_add_u32 v180, v180, 23, 0x3b800000
	s_delay_alu instid0(VALU_DEP_2) | instskip(SKIP_1) | instid1(VALU_DEP_2)
	v_cndmask_b32_e32 v179, v179, v181, vcc_lo
	v_and_b32_e32 v181, 0x80000000, v183
	v_lshlrev_b32_e32 v179, 20, v179
	s_delay_alu instid0(VALU_DEP_1)
	v_or3_b32 v179, v181, v180, v179
.LBB4_8835:                             ;   in Loop: Header=BB4_8714 Depth=3
	s_or_b32 exec_lo, exec_lo, s31
	s_waitcnt vmcnt(11) lgkmcnt(11)
	v_and_b32_e32 v181, 0xff, v149
	s_mov_b32 s13, 0
	s_mov_b32 s34, exec_lo
                                        ; implicit-def: $sgpr31
	s_delay_alu instid0(VALU_DEP_1)
	v_cmpx_lt_i16_e64 0x7f, v181
	s_xor_b32 s34, exec_lo, s34
	s_cbranch_execnz .LBB4_9244
; %bb.8836:                             ;   in Loop: Header=BB4_8714 Depth=3
	s_or_saveexec_b32 s34, s34
	v_mov_b32_e32 v180, s31
	s_xor_b32 exec_lo, exec_lo, s34
	s_cbranch_execnz .LBB4_9247
.LBB4_8837:                             ;   in Loop: Header=BB4_8714 Depth=3
	s_or_b32 exec_lo, exec_lo, s34
	s_and_saveexec_b32 s31, s13
	s_cbranch_execz .LBB4_8839
.LBB4_8838:                             ;   in Loop: Header=BB4_8714 Depth=3
	v_and_b32_e32 v180, 7, v149
	v_lshrrev_b16 v183, 3, v149
	v_lshlrev_b32_e32 v40, 24, v149
	s_delay_alu instid0(VALU_DEP_3) | instskip(NEXT) | instid1(VALU_DEP_1)
	v_clz_i32_u32_e32 v181, v180
	v_min_u32_e32 v181, 32, v181
	s_delay_alu instid0(VALU_DEP_1) | instskip(SKIP_1) | instid1(VALU_DEP_2)
	v_subrev_nc_u32_e32 v182, 28, v181
	v_sub_nc_u32_e32 v181, 29, v181
	v_lshlrev_b32_e32 v182, v182, v149
	s_delay_alu instid0(VALU_DEP_1) | instskip(SKIP_1) | instid1(VALU_DEP_1)
	v_and_b32_e32 v182, 7, v182
	v_and_b32_e32 v183, 15, v183
	v_cmp_eq_u32_e32 vcc_lo, 0, v183
	s_delay_alu instid0(VALU_DEP_3) | instskip(SKIP_1) | instid1(VALU_DEP_2)
	v_dual_cndmask_b32 v180, v180, v182 :: v_dual_cndmask_b32 v181, v183, v181
	v_and_b32_e32 v182, 0x80000000, v40
	v_lshlrev_b32_e32 v180, 20, v180
	s_delay_alu instid0(VALU_DEP_3) | instskip(NEXT) | instid1(VALU_DEP_1)
	v_lshl_add_u32 v181, v181, 23, 0x3b800000
	v_or3_b32 v180, v182, v181, v180
.LBB4_8839:                             ;   in Loop: Header=BB4_8714 Depth=3
	s_or_b32 exec_lo, exec_lo, s31
	s_delay_alu instid0(VALU_DEP_1) | instskip(SKIP_1) | instid1(VALU_DEP_1)
	v_dual_max_f32 v180, v180, v180 :: v_dual_max_f32 v179, v179, v179
	s_mov_b32 s13, 0
	v_max_f32_e32 v179, v179, v180
	s_branch .LBB4_8841
.LBB4_8840:                             ;   in Loop: Header=BB4_8714 Depth=3
	s_mov_b32 s13, -1
                                        ; implicit-def: $vgpr179
.LBB4_8841:                             ;   in Loop: Header=BB4_8714 Depth=3
	s_delay_alu instid0(SALU_CYCLE_1)
	s_and_b32 vcc_lo, exec_lo, s13
	s_cbranch_vccz .LBB4_8851
; %bb.8842:                             ;   in Loop: Header=BB4_8714 Depth=3
	v_and_b32_e32 v180, 0xff, v178
	s_mov_b32 s13, 0
	s_mov_b32 s34, exec_lo
                                        ; implicit-def: $sgpr31
	s_delay_alu instid0(VALU_DEP_1)
	v_cmpx_lt_i16_e64 0x7f, v180
	s_xor_b32 s34, exec_lo, s34
	s_cbranch_execnz .LBB4_9248
; %bb.8843:                             ;   in Loop: Header=BB4_8714 Depth=3
	s_or_saveexec_b32 s34, s34
	v_mov_b32_e32 v179, s31
	s_xor_b32 exec_lo, exec_lo, s34
	s_cbranch_execnz .LBB4_9251
.LBB4_8844:                             ;   in Loop: Header=BB4_8714 Depth=3
	s_or_b32 exec_lo, exec_lo, s34
	s_and_saveexec_b32 s31, s13
	s_cbranch_execz .LBB4_8846
.LBB4_8845:                             ;   in Loop: Header=BB4_8714 Depth=3
	v_lshrrev_b16 v182, 3, v178
	s_delay_alu instid0(VALU_DEP_1) | instskip(NEXT) | instid1(VALU_DEP_1)
	v_and_b32_e32 v182, 15, v182
	v_cmp_eq_u32_e32 vcc_lo, 0, v182
	v_and_b32_e32 v179, 7, v178
	s_delay_alu instid0(VALU_DEP_1) | instskip(NEXT) | instid1(VALU_DEP_1)
	v_clz_i32_u32_e32 v180, v179
	v_min_u32_e32 v180, 32, v180
	s_delay_alu instid0(VALU_DEP_1) | instskip(SKIP_1) | instid1(VALU_DEP_1)
	v_subrev_nc_u32_e32 v181, 28, v180
	v_sub_nc_u32_e32 v180, 29, v180
	v_dual_cndmask_b32 v180, v182, v180 :: v_dual_lshlrev_b32 v181, v181, v178
	v_lshlrev_b32_e32 v178, 24, v178
	s_delay_alu instid0(VALU_DEP_2) | instskip(NEXT) | instid1(VALU_DEP_3)
	v_and_b32_e32 v181, 7, v181
	v_lshl_add_u32 v180, v180, 23, 0x3b800000
	s_delay_alu instid0(VALU_DEP_2) | instskip(NEXT) | instid1(VALU_DEP_1)
	v_dual_cndmask_b32 v179, v179, v181 :: v_dual_and_b32 v178, 0x80000000, v178
	v_lshlrev_b32_e32 v179, 20, v179
	s_delay_alu instid0(VALU_DEP_1)
	v_or3_b32 v179, v178, v180, v179
.LBB4_8846:                             ;   in Loop: Header=BB4_8714 Depth=3
	s_or_b32 exec_lo, exec_lo, s31
	s_waitcnt vmcnt(11) lgkmcnt(11)
	v_and_b32_e32 v180, 0xff, v149
	s_mov_b32 s13, 0
	s_mov_b32 s34, exec_lo
                                        ; implicit-def: $sgpr31
	s_delay_alu instid0(VALU_DEP_1)
	v_cmpx_lt_i16_e64 0x7f, v180
	s_xor_b32 s34, exec_lo, s34
	s_cbranch_execnz .LBB4_9252
; %bb.8847:                             ;   in Loop: Header=BB4_8714 Depth=3
	s_or_saveexec_b32 s34, s34
	v_mov_b32_e32 v178, s31
	s_xor_b32 exec_lo, exec_lo, s34
	s_cbranch_execnz .LBB4_9255
.LBB4_8848:                             ;   in Loop: Header=BB4_8714 Depth=3
	s_or_b32 exec_lo, exec_lo, s34
	s_and_saveexec_b32 s31, s13
	s_cbranch_execz .LBB4_8850
.LBB4_8849:                             ;   in Loop: Header=BB4_8714 Depth=3
	v_and_b32_e32 v178, 7, v149
	v_lshrrev_b16 v182, 3, v149
	s_delay_alu instid0(VALU_DEP_2) | instskip(NEXT) | instid1(VALU_DEP_2)
	v_clz_i32_u32_e32 v180, v178
	v_and_b32_e32 v182, 15, v182
	s_delay_alu instid0(VALU_DEP_2) | instskip(NEXT) | instid1(VALU_DEP_2)
	v_min_u32_e32 v180, 32, v180
	v_cmp_eq_u32_e32 vcc_lo, 0, v182
	s_delay_alu instid0(VALU_DEP_2) | instskip(SKIP_1) | instid1(VALU_DEP_1)
	v_subrev_nc_u32_e32 v181, 28, v180
	v_sub_nc_u32_e32 v180, 29, v180
	v_dual_cndmask_b32 v180, v182, v180 :: v_dual_lshlrev_b32 v181, v181, v149
	v_lshlrev_b32_e32 v149, 24, v149
	s_delay_alu instid0(VALU_DEP_2) | instskip(NEXT) | instid1(VALU_DEP_3)
	v_and_b32_e32 v181, 7, v181
	v_lshl_add_u32 v180, v180, 23, 0x3b800000
	s_delay_alu instid0(VALU_DEP_3) | instskip(NEXT) | instid1(VALU_DEP_3)
	v_and_b32_e32 v149, 0x80000000, v149
	v_cndmask_b32_e32 v178, v178, v181, vcc_lo
	s_delay_alu instid0(VALU_DEP_1) | instskip(NEXT) | instid1(VALU_DEP_1)
	v_lshlrev_b32_e32 v178, 20, v178
	v_or3_b32 v178, v149, v180, v178
.LBB4_8850:                             ;   in Loop: Header=BB4_8714 Depth=3
	s_or_b32 exec_lo, exec_lo, s31
	s_delay_alu instid0(VALU_DEP_1) | instskip(NEXT) | instid1(VALU_DEP_1)
	v_dual_max_f32 v149, v178, v178 :: v_dual_max_f32 v178, v179, v179
	v_min_f32_e32 v179, v178, v149
.LBB4_8851:                             ;   in Loop: Header=BB4_8714 Depth=3
	s_waitcnt vmcnt(11) lgkmcnt(11)
	s_delay_alu instid0(VALU_DEP_1) | instskip(NEXT) | instid1(VALU_DEP_1)
	v_and_b32_e32 v149, 0x7f800000, v179
	v_cmp_ne_u32_e32 vcc_lo, 0x7f800000, v149
	v_mov_b32_e32 v149, 0x80
	s_and_saveexec_b32 s31, vcc_lo
	s_cbranch_execz .LBB4_8859
; %bb.8852:                             ;   in Loop: Header=BB4_8714 Depth=3
	v_mov_b32_e32 v149, 0
	s_mov_b32 s34, exec_lo
	v_cmpx_ne_u32_e32 0, v179
	s_cbranch_execz .LBB4_8858
; %bb.8853:                             ;   in Loop: Header=BB4_8714 Depth=3
	v_bfe_u32 v149, v179, 23, 8
	v_and_b32_e32 v178, 0x7fffff, v179
	s_delay_alu instid0(VALU_DEP_2) | instskip(SKIP_1) | instid1(VALU_DEP_3)
	v_sub_nc_u32_e32 v180, 0x78, v149
	v_cmp_gt_u32_e32 vcc_lo, 0x79, v149
	v_or_b32_e32 v181, 0x800000, v178
	s_delay_alu instid0(VALU_DEP_3) | instskip(SKIP_2) | instid1(VALU_DEP_3)
	v_cndmask_b32_e32 v180, 0, v180, vcc_lo
	v_cmp_eq_u32_e32 vcc_lo, 0, v149
	v_add_nc_u32_e32 v149, 0xffffff89, v149
	v_cndmask_b32_e64 v180, v180, 0x77, vcc_lo
	v_cndmask_b32_e32 v178, v181, v178, vcc_lo
	s_delay_alu instid0(VALU_DEP_3) | instskip(NEXT) | instid1(VALU_DEP_3)
	v_cndmask_b32_e64 v149, v149, 0xffffff8a, vcc_lo
	v_lshl_add_u32 v181, 0x100000, v180, -1
	s_delay_alu instid0(VALU_DEP_3) | instskip(SKIP_1) | instid1(VALU_DEP_4)
	v_lshrrev_b32_e32 v182, v180, v178
	v_lshlrev_b32_e64 v40, v180, 0x80000
	v_add_nc_u32_e32 v180, v180, v149
	s_delay_alu instid0(VALU_DEP_4) | instskip(NEXT) | instid1(VALU_DEP_4)
	v_and_b32_e32 v178, v181, v178
	v_bfe_u32 v183, v182, 20, 1
	s_delay_alu instid0(VALU_DEP_2) | instskip(NEXT) | instid1(VALU_DEP_2)
	v_cmp_eq_u32_e64 s13, v178, v40
	v_add_nc_u32_e32 v181, -1, v183
	s_delay_alu instid0(VALU_DEP_1) | instskip(SKIP_2) | instid1(VALU_DEP_2)
	v_cndmask_b32_e64 v178, 0, v181, s13
	v_lshrrev_b32_e32 v181, 23, v182
	s_mov_b32 s13, exec_lo
	v_add_nc_u32_e32 v178, v178, v182
	s_delay_alu instid0(VALU_DEP_2) | instskip(NEXT) | instid1(VALU_DEP_2)
	v_xor_b32_e32 v181, 1, v181
	v_and_b32_e32 v149, 0xfffff, v178
	s_delay_alu instid0(VALU_DEP_1) | instskip(NEXT) | instid1(VALU_DEP_3)
	v_add_nc_u32_e32 v178, v149, v182
                                        ; implicit-def: $vgpr149
	v_cmpx_ne_u32_e64 v180, v181
	s_xor_b32 s13, exec_lo, s13
; %bb.8854:                             ;   in Loop: Header=BB4_8714 Depth=3
	s_delay_alu instid0(VALU_DEP_2) | instskip(SKIP_2) | instid1(VALU_DEP_2)
	v_cmp_lt_u32_e32 vcc_lo, 0xffffff, v178
	v_sub_nc_u32_e32 v149, v180, v181
	v_cndmask_b32_e64 v180, 0, 1, vcc_lo
	v_add_co_ci_u32_e32 v149, vcc_lo, 0, v149, vcc_lo
	s_delay_alu instid0(VALU_DEP_2)
	v_lshrrev_b32_e32 v178, v180, v178
; %bb.8855:                             ;   in Loop: Header=BB4_8714 Depth=3
	s_and_not1_saveexec_b32 s13, s13
; %bb.8856:                             ;   in Loop: Header=BB4_8714 Depth=3
	s_delay_alu instid0(VALU_DEP_1)
	v_bfe_u32 v149, v178, 23, 1
; %bb.8857:                             ;   in Loop: Header=BB4_8714 Depth=3
	s_or_b32 exec_lo, exec_lo, s13
	v_lshrrev_b32_e32 v178, 20, v178
	s_delay_alu instid0(VALU_DEP_2) | instskip(SKIP_2) | instid1(VALU_DEP_2)
	v_cmp_gt_i32_e32 vcc_lo, 16, v149
	v_lshrrev_b32_e32 v179, 24, v179
	v_min_i32_e32 v180, 15, v149
	v_dual_cndmask_b32 v178, 7, v178 :: v_dual_and_b32 v179, 0x80, v179
	s_delay_alu instid0(VALU_DEP_1) | instskip(SKIP_1) | instid1(VALU_DEP_2)
	v_or_b32_e32 v149, v149, v178
	v_and_b32_e32 v181, 7, v178
	v_cmp_ne_u32_e32 vcc_lo, 0, v149
	v_lshlrev_b32_e32 v180, 3, v180
	s_delay_alu instid0(VALU_DEP_1) | instskip(NEXT) | instid1(VALU_DEP_1)
	v_or3_b32 v178, v180, v179, v181
	v_cndmask_b32_e32 v149, 0, v178, vcc_lo
.LBB4_8858:                             ;   in Loop: Header=BB4_8714 Depth=3
	s_or_b32 exec_lo, exec_lo, s34
.LBB4_8859:                             ;   in Loop: Header=BB4_8714 Depth=3
	s_delay_alu instid0(SALU_CYCLE_1) | instskip(NEXT) | instid1(SALU_CYCLE_1)
	s_or_b32 exec_lo, exec_lo, s31
	s_and_not1_b32 vcc_lo, exec_lo, s16
	s_cbranch_vccnz .LBB4_8869
; %bb.8860:                             ;   in Loop: Header=BB4_8714 Depth=3
	v_and_b32_e32 v179, 0xff, v177
	s_mov_b32 s13, 0
	s_mov_b32 s34, exec_lo
                                        ; implicit-def: $sgpr31
	s_delay_alu instid0(VALU_DEP_1)
	v_cmpx_lt_i16_e64 0x7f, v179
	s_xor_b32 s34, exec_lo, s34
	s_cbranch_execnz .LBB4_9256
; %bb.8861:                             ;   in Loop: Header=BB4_8714 Depth=3
	s_or_saveexec_b32 s34, s34
	v_mov_b32_e32 v178, s31
	s_xor_b32 exec_lo, exec_lo, s34
	s_cbranch_execnz .LBB4_9259
.LBB4_8862:                             ;   in Loop: Header=BB4_8714 Depth=3
	s_or_b32 exec_lo, exec_lo, s34
	s_and_saveexec_b32 s31, s13
	s_cbranch_execz .LBB4_8864
.LBB4_8863:                             ;   in Loop: Header=BB4_8714 Depth=3
	v_lshrrev_b16 v181, 3, v177
	v_lshlrev_b32_e32 v182, 24, v177
	s_delay_alu instid0(VALU_DEP_2) | instskip(NEXT) | instid1(VALU_DEP_1)
	v_and_b32_e32 v181, 15, v181
	v_cmp_eq_u32_e32 vcc_lo, 0, v181
	v_and_b32_e32 v178, 7, v177
	s_delay_alu instid0(VALU_DEP_1) | instskip(NEXT) | instid1(VALU_DEP_1)
	v_clz_i32_u32_e32 v179, v178
	v_min_u32_e32 v179, 32, v179
	s_delay_alu instid0(VALU_DEP_1) | instskip(SKIP_1) | instid1(VALU_DEP_1)
	v_subrev_nc_u32_e32 v180, 28, v179
	v_sub_nc_u32_e32 v179, 29, v179
	v_dual_cndmask_b32 v179, v181, v179 :: v_dual_lshlrev_b32 v180, v180, v177
	s_delay_alu instid0(VALU_DEP_1) | instskip(NEXT) | instid1(VALU_DEP_2)
	v_and_b32_e32 v180, 7, v180
	v_lshl_add_u32 v179, v179, 23, 0x3b800000
	s_delay_alu instid0(VALU_DEP_2) | instskip(SKIP_1) | instid1(VALU_DEP_2)
	v_cndmask_b32_e32 v178, v178, v180, vcc_lo
	v_and_b32_e32 v180, 0x80000000, v182
	v_lshlrev_b32_e32 v178, 20, v178
	s_delay_alu instid0(VALU_DEP_1)
	v_or3_b32 v178, v180, v179, v178
.LBB4_8864:                             ;   in Loop: Header=BB4_8714 Depth=3
	s_or_b32 exec_lo, exec_lo, s31
	s_waitcnt vmcnt(10) lgkmcnt(10)
	v_and_b32_e32 v180, 0xff, v160
	s_mov_b32 s13, 0
	s_mov_b32 s34, exec_lo
                                        ; implicit-def: $sgpr31
	s_delay_alu instid0(VALU_DEP_1)
	v_cmpx_lt_i16_e64 0x7f, v180
	s_xor_b32 s34, exec_lo, s34
	s_cbranch_execnz .LBB4_9260
; %bb.8865:                             ;   in Loop: Header=BB4_8714 Depth=3
	s_or_saveexec_b32 s34, s34
	v_mov_b32_e32 v179, s31
	s_xor_b32 exec_lo, exec_lo, s34
	s_cbranch_execnz .LBB4_9263
.LBB4_8866:                             ;   in Loop: Header=BB4_8714 Depth=3
	s_or_b32 exec_lo, exec_lo, s34
	s_and_saveexec_b32 s31, s13
	s_cbranch_execz .LBB4_8868
.LBB4_8867:                             ;   in Loop: Header=BB4_8714 Depth=3
	v_and_b32_e32 v179, 7, v160
	v_lshrrev_b16 v182, 3, v160
	v_lshlrev_b32_e32 v183, 24, v160
	s_delay_alu instid0(VALU_DEP_3) | instskip(NEXT) | instid1(VALU_DEP_1)
	v_clz_i32_u32_e32 v180, v179
	v_min_u32_e32 v180, 32, v180
	s_delay_alu instid0(VALU_DEP_1) | instskip(SKIP_1) | instid1(VALU_DEP_2)
	v_subrev_nc_u32_e32 v181, 28, v180
	v_sub_nc_u32_e32 v180, 29, v180
	v_lshlrev_b32_e32 v181, v181, v160
	s_delay_alu instid0(VALU_DEP_1) | instskip(SKIP_1) | instid1(VALU_DEP_1)
	v_and_b32_e32 v181, 7, v181
	v_and_b32_e32 v182, 15, v182
	v_cmp_eq_u32_e32 vcc_lo, 0, v182
	s_delay_alu instid0(VALU_DEP_3) | instskip(SKIP_1) | instid1(VALU_DEP_2)
	v_dual_cndmask_b32 v179, v179, v181 :: v_dual_cndmask_b32 v180, v182, v180
	v_and_b32_e32 v181, 0x80000000, v183
	v_lshlrev_b32_e32 v179, 20, v179
	s_delay_alu instid0(VALU_DEP_3) | instskip(NEXT) | instid1(VALU_DEP_1)
	v_lshl_add_u32 v180, v180, 23, 0x3b800000
	v_or3_b32 v179, v181, v180, v179
.LBB4_8868:                             ;   in Loop: Header=BB4_8714 Depth=3
	s_or_b32 exec_lo, exec_lo, s31
	s_delay_alu instid0(VALU_DEP_1) | instskip(SKIP_1) | instid1(VALU_DEP_1)
	v_dual_max_f32 v179, v179, v179 :: v_dual_max_f32 v178, v178, v178
	s_mov_b32 s13, 0
	v_max_f32_e32 v178, v178, v179
	s_branch .LBB4_8870
.LBB4_8869:                             ;   in Loop: Header=BB4_8714 Depth=3
	s_mov_b32 s13, -1
                                        ; implicit-def: $vgpr178
.LBB4_8870:                             ;   in Loop: Header=BB4_8714 Depth=3
	s_delay_alu instid0(SALU_CYCLE_1)
	s_and_b32 vcc_lo, exec_lo, s13
	s_cbranch_vccz .LBB4_8880
; %bb.8871:                             ;   in Loop: Header=BB4_8714 Depth=3
	v_and_b32_e32 v179, 0xff, v177
	s_mov_b32 s13, 0
	s_mov_b32 s34, exec_lo
                                        ; implicit-def: $sgpr31
	s_delay_alu instid0(VALU_DEP_1)
	v_cmpx_lt_i16_e64 0x7f, v179
	s_xor_b32 s34, exec_lo, s34
	s_cbranch_execnz .LBB4_9264
; %bb.8872:                             ;   in Loop: Header=BB4_8714 Depth=3
	s_or_saveexec_b32 s34, s34
	v_mov_b32_e32 v178, s31
	s_xor_b32 exec_lo, exec_lo, s34
	s_cbranch_execnz .LBB4_9267
.LBB4_8873:                             ;   in Loop: Header=BB4_8714 Depth=3
	s_or_b32 exec_lo, exec_lo, s34
	s_and_saveexec_b32 s31, s13
	s_cbranch_execz .LBB4_8875
.LBB4_8874:                             ;   in Loop: Header=BB4_8714 Depth=3
	v_lshrrev_b16 v181, 3, v177
	s_delay_alu instid0(VALU_DEP_1) | instskip(NEXT) | instid1(VALU_DEP_1)
	v_and_b32_e32 v181, 15, v181
	v_cmp_eq_u32_e32 vcc_lo, 0, v181
	v_and_b32_e32 v178, 7, v177
	s_delay_alu instid0(VALU_DEP_1) | instskip(NEXT) | instid1(VALU_DEP_1)
	v_clz_i32_u32_e32 v179, v178
	v_min_u32_e32 v179, 32, v179
	s_delay_alu instid0(VALU_DEP_1) | instskip(SKIP_1) | instid1(VALU_DEP_1)
	v_subrev_nc_u32_e32 v180, 28, v179
	v_sub_nc_u32_e32 v179, 29, v179
	v_dual_cndmask_b32 v179, v181, v179 :: v_dual_lshlrev_b32 v180, v180, v177
	v_lshlrev_b32_e32 v177, 24, v177
	s_delay_alu instid0(VALU_DEP_2) | instskip(NEXT) | instid1(VALU_DEP_3)
	v_and_b32_e32 v180, 7, v180
	v_lshl_add_u32 v179, v179, 23, 0x3b800000
	s_delay_alu instid0(VALU_DEP_2) | instskip(NEXT) | instid1(VALU_DEP_1)
	v_dual_cndmask_b32 v178, v178, v180 :: v_dual_and_b32 v177, 0x80000000, v177
	v_lshlrev_b32_e32 v178, 20, v178
	s_delay_alu instid0(VALU_DEP_1)
	v_or3_b32 v178, v177, v179, v178
.LBB4_8875:                             ;   in Loop: Header=BB4_8714 Depth=3
	s_or_b32 exec_lo, exec_lo, s31
	s_waitcnt vmcnt(10) lgkmcnt(10)
	v_and_b32_e32 v179, 0xff, v160
	s_mov_b32 s13, 0
	s_mov_b32 s34, exec_lo
                                        ; implicit-def: $sgpr31
	s_delay_alu instid0(VALU_DEP_1)
	v_cmpx_lt_i16_e64 0x7f, v179
	s_xor_b32 s34, exec_lo, s34
	s_cbranch_execnz .LBB4_9268
; %bb.8876:                             ;   in Loop: Header=BB4_8714 Depth=3
	s_or_saveexec_b32 s34, s34
	v_mov_b32_e32 v177, s31
	s_xor_b32 exec_lo, exec_lo, s34
	s_cbranch_execnz .LBB4_9271
.LBB4_8877:                             ;   in Loop: Header=BB4_8714 Depth=3
	s_or_b32 exec_lo, exec_lo, s34
	s_and_saveexec_b32 s31, s13
	s_cbranch_execz .LBB4_8879
.LBB4_8878:                             ;   in Loop: Header=BB4_8714 Depth=3
	v_and_b32_e32 v177, 7, v160
	v_lshrrev_b16 v181, 3, v160
	s_delay_alu instid0(VALU_DEP_2) | instskip(NEXT) | instid1(VALU_DEP_2)
	v_clz_i32_u32_e32 v179, v177
	v_and_b32_e32 v181, 15, v181
	s_delay_alu instid0(VALU_DEP_2) | instskip(NEXT) | instid1(VALU_DEP_2)
	v_min_u32_e32 v179, 32, v179
	v_cmp_eq_u32_e32 vcc_lo, 0, v181
	s_delay_alu instid0(VALU_DEP_2) | instskip(SKIP_1) | instid1(VALU_DEP_1)
	v_subrev_nc_u32_e32 v180, 28, v179
	v_sub_nc_u32_e32 v179, 29, v179
	v_dual_cndmask_b32 v179, v181, v179 :: v_dual_lshlrev_b32 v180, v180, v160
	v_lshlrev_b32_e32 v160, 24, v160
	s_delay_alu instid0(VALU_DEP_2) | instskip(NEXT) | instid1(VALU_DEP_3)
	v_and_b32_e32 v180, 7, v180
	v_lshl_add_u32 v179, v179, 23, 0x3b800000
	s_delay_alu instid0(VALU_DEP_3) | instskip(NEXT) | instid1(VALU_DEP_3)
	v_and_b32_e32 v160, 0x80000000, v160
	v_cndmask_b32_e32 v177, v177, v180, vcc_lo
	s_delay_alu instid0(VALU_DEP_1) | instskip(NEXT) | instid1(VALU_DEP_1)
	v_lshlrev_b32_e32 v177, 20, v177
	v_or3_b32 v177, v160, v179, v177
.LBB4_8879:                             ;   in Loop: Header=BB4_8714 Depth=3
	s_or_b32 exec_lo, exec_lo, s31
	s_delay_alu instid0(VALU_DEP_1) | instskip(NEXT) | instid1(VALU_DEP_1)
	v_dual_max_f32 v160, v177, v177 :: v_dual_max_f32 v177, v178, v178
	v_min_f32_e32 v178, v177, v160
.LBB4_8880:                             ;   in Loop: Header=BB4_8714 Depth=3
	s_waitcnt vmcnt(10) lgkmcnt(10)
	s_delay_alu instid0(VALU_DEP_1) | instskip(NEXT) | instid1(VALU_DEP_1)
	v_and_b32_e32 v160, 0x7f800000, v178
	v_cmp_ne_u32_e32 vcc_lo, 0x7f800000, v160
	v_mov_b32_e32 v160, 0x80
	s_and_saveexec_b32 s31, vcc_lo
	s_cbranch_execz .LBB4_8888
; %bb.8881:                             ;   in Loop: Header=BB4_8714 Depth=3
	v_mov_b32_e32 v160, 0
	s_mov_b32 s34, exec_lo
	v_cmpx_ne_u32_e32 0, v178
	s_cbranch_execz .LBB4_8887
; %bb.8882:                             ;   in Loop: Header=BB4_8714 Depth=3
	v_bfe_u32 v160, v178, 23, 8
	v_and_b32_e32 v177, 0x7fffff, v178
	s_delay_alu instid0(VALU_DEP_2) | instskip(SKIP_1) | instid1(VALU_DEP_3)
	v_sub_nc_u32_e32 v179, 0x78, v160
	v_cmp_gt_u32_e32 vcc_lo, 0x79, v160
	v_or_b32_e32 v180, 0x800000, v177
	s_delay_alu instid0(VALU_DEP_3) | instskip(SKIP_2) | instid1(VALU_DEP_3)
	v_cndmask_b32_e32 v179, 0, v179, vcc_lo
	v_cmp_eq_u32_e32 vcc_lo, 0, v160
	v_add_nc_u32_e32 v160, 0xffffff89, v160
	v_cndmask_b32_e64 v179, v179, 0x77, vcc_lo
	v_cndmask_b32_e32 v177, v180, v177, vcc_lo
	s_delay_alu instid0(VALU_DEP_3) | instskip(NEXT) | instid1(VALU_DEP_3)
	v_cndmask_b32_e64 v160, v160, 0xffffff8a, vcc_lo
	v_lshl_add_u32 v180, 0x100000, v179, -1
	s_delay_alu instid0(VALU_DEP_3) | instskip(SKIP_1) | instid1(VALU_DEP_4)
	v_lshrrev_b32_e32 v181, v179, v177
	v_lshlrev_b32_e64 v183, v179, 0x80000
	v_add_nc_u32_e32 v179, v179, v160
	s_delay_alu instid0(VALU_DEP_4) | instskip(NEXT) | instid1(VALU_DEP_4)
	v_and_b32_e32 v177, v180, v177
	v_bfe_u32 v182, v181, 20, 1
	s_delay_alu instid0(VALU_DEP_2) | instskip(NEXT) | instid1(VALU_DEP_2)
	v_cmp_eq_u32_e64 s13, v177, v183
	v_add_nc_u32_e32 v180, -1, v182
	s_delay_alu instid0(VALU_DEP_1) | instskip(SKIP_2) | instid1(VALU_DEP_2)
	v_cndmask_b32_e64 v177, 0, v180, s13
	v_lshrrev_b32_e32 v180, 23, v181
	s_mov_b32 s13, exec_lo
	v_add_nc_u32_e32 v177, v177, v181
	s_delay_alu instid0(VALU_DEP_2) | instskip(NEXT) | instid1(VALU_DEP_2)
	v_xor_b32_e32 v180, 1, v180
	v_and_b32_e32 v160, 0xfffff, v177
	s_delay_alu instid0(VALU_DEP_1) | instskip(NEXT) | instid1(VALU_DEP_3)
	v_add_nc_u32_e32 v177, v160, v181
                                        ; implicit-def: $vgpr160
	v_cmpx_ne_u32_e64 v179, v180
	s_xor_b32 s13, exec_lo, s13
; %bb.8883:                             ;   in Loop: Header=BB4_8714 Depth=3
	s_delay_alu instid0(VALU_DEP_2) | instskip(SKIP_2) | instid1(VALU_DEP_2)
	v_cmp_lt_u32_e32 vcc_lo, 0xffffff, v177
	v_sub_nc_u32_e32 v160, v179, v180
	v_cndmask_b32_e64 v179, 0, 1, vcc_lo
	v_add_co_ci_u32_e32 v160, vcc_lo, 0, v160, vcc_lo
	s_delay_alu instid0(VALU_DEP_2)
	v_lshrrev_b32_e32 v177, v179, v177
; %bb.8884:                             ;   in Loop: Header=BB4_8714 Depth=3
	s_and_not1_saveexec_b32 s13, s13
; %bb.8885:                             ;   in Loop: Header=BB4_8714 Depth=3
	s_delay_alu instid0(VALU_DEP_1)
	v_bfe_u32 v160, v177, 23, 1
; %bb.8886:                             ;   in Loop: Header=BB4_8714 Depth=3
	s_or_b32 exec_lo, exec_lo, s13
	v_lshrrev_b32_e32 v177, 20, v177
	s_delay_alu instid0(VALU_DEP_2) | instskip(SKIP_2) | instid1(VALU_DEP_2)
	v_cmp_gt_i32_e32 vcc_lo, 16, v160
	v_lshrrev_b32_e32 v178, 24, v178
	v_min_i32_e32 v179, 15, v160
	v_dual_cndmask_b32 v177, 7, v177 :: v_dual_and_b32 v178, 0x80, v178
	s_delay_alu instid0(VALU_DEP_1) | instskip(SKIP_1) | instid1(VALU_DEP_2)
	v_or_b32_e32 v160, v160, v177
	v_and_b32_e32 v180, 7, v177
	v_cmp_ne_u32_e32 vcc_lo, 0, v160
	v_lshlrev_b32_e32 v179, 3, v179
	s_delay_alu instid0(VALU_DEP_1) | instskip(NEXT) | instid1(VALU_DEP_1)
	v_or3_b32 v177, v179, v178, v180
	v_cndmask_b32_e32 v160, 0, v177, vcc_lo
.LBB4_8887:                             ;   in Loop: Header=BB4_8714 Depth=3
	s_or_b32 exec_lo, exec_lo, s34
.LBB4_8888:                             ;   in Loop: Header=BB4_8714 Depth=3
	s_delay_alu instid0(SALU_CYCLE_1) | instskip(NEXT) | instid1(SALU_CYCLE_1)
	s_or_b32 exec_lo, exec_lo, s31
	s_and_not1_b32 vcc_lo, exec_lo, s16
	s_cbranch_vccnz .LBB4_8898
; %bb.8889:                             ;   in Loop: Header=BB4_8714 Depth=3
	v_and_b32_e32 v178, 0xff, v176
	s_mov_b32 s13, 0
	s_mov_b32 s34, exec_lo
                                        ; implicit-def: $sgpr31
	s_delay_alu instid0(VALU_DEP_1)
	v_cmpx_lt_i16_e64 0x7f, v178
	s_xor_b32 s34, exec_lo, s34
	s_cbranch_execnz .LBB4_9272
; %bb.8890:                             ;   in Loop: Header=BB4_8714 Depth=3
	s_or_saveexec_b32 s34, s34
	v_mov_b32_e32 v177, s31
	s_xor_b32 exec_lo, exec_lo, s34
	s_cbranch_execnz .LBB4_9275
.LBB4_8891:                             ;   in Loop: Header=BB4_8714 Depth=3
	s_or_b32 exec_lo, exec_lo, s34
	s_and_saveexec_b32 s31, s13
	s_cbranch_execz .LBB4_8893
.LBB4_8892:                             ;   in Loop: Header=BB4_8714 Depth=3
	v_lshrrev_b16 v180, 3, v176
	v_lshlrev_b32_e32 v181, 24, v176
	s_delay_alu instid0(VALU_DEP_2) | instskip(NEXT) | instid1(VALU_DEP_1)
	v_and_b32_e32 v180, 15, v180
	v_cmp_eq_u32_e32 vcc_lo, 0, v180
	v_and_b32_e32 v177, 7, v176
	s_delay_alu instid0(VALU_DEP_1) | instskip(NEXT) | instid1(VALU_DEP_1)
	v_clz_i32_u32_e32 v178, v177
	v_min_u32_e32 v178, 32, v178
	s_delay_alu instid0(VALU_DEP_1) | instskip(SKIP_1) | instid1(VALU_DEP_1)
	v_subrev_nc_u32_e32 v179, 28, v178
	v_sub_nc_u32_e32 v178, 29, v178
	v_dual_cndmask_b32 v178, v180, v178 :: v_dual_lshlrev_b32 v179, v179, v176
	s_delay_alu instid0(VALU_DEP_1) | instskip(NEXT) | instid1(VALU_DEP_2)
	v_and_b32_e32 v179, 7, v179
	v_lshl_add_u32 v178, v178, 23, 0x3b800000
	s_delay_alu instid0(VALU_DEP_2) | instskip(SKIP_1) | instid1(VALU_DEP_2)
	v_cndmask_b32_e32 v177, v177, v179, vcc_lo
	v_and_b32_e32 v179, 0x80000000, v181
	v_lshlrev_b32_e32 v177, 20, v177
	s_delay_alu instid0(VALU_DEP_1)
	v_or3_b32 v177, v179, v178, v177
.LBB4_8893:                             ;   in Loop: Header=BB4_8714 Depth=3
	s_or_b32 exec_lo, exec_lo, s31
	s_waitcnt vmcnt(9) lgkmcnt(9)
	v_and_b32_e32 v179, 0xff, v163
	s_mov_b32 s13, 0
	s_mov_b32 s34, exec_lo
                                        ; implicit-def: $sgpr31
	s_delay_alu instid0(VALU_DEP_1)
	v_cmpx_lt_i16_e64 0x7f, v179
	s_xor_b32 s34, exec_lo, s34
	s_cbranch_execnz .LBB4_9276
; %bb.8894:                             ;   in Loop: Header=BB4_8714 Depth=3
	s_or_saveexec_b32 s34, s34
	v_mov_b32_e32 v178, s31
	s_xor_b32 exec_lo, exec_lo, s34
	s_cbranch_execnz .LBB4_9279
.LBB4_8895:                             ;   in Loop: Header=BB4_8714 Depth=3
	s_or_b32 exec_lo, exec_lo, s34
	s_and_saveexec_b32 s31, s13
	s_cbranch_execz .LBB4_8897
.LBB4_8896:                             ;   in Loop: Header=BB4_8714 Depth=3
	v_and_b32_e32 v178, 7, v163
	v_lshrrev_b16 v181, 3, v163
	v_lshlrev_b32_e32 v182, 24, v163
	s_delay_alu instid0(VALU_DEP_3) | instskip(NEXT) | instid1(VALU_DEP_1)
	v_clz_i32_u32_e32 v179, v178
	v_min_u32_e32 v179, 32, v179
	s_delay_alu instid0(VALU_DEP_1) | instskip(SKIP_1) | instid1(VALU_DEP_2)
	v_subrev_nc_u32_e32 v180, 28, v179
	v_sub_nc_u32_e32 v179, 29, v179
	v_lshlrev_b32_e32 v180, v180, v163
	s_delay_alu instid0(VALU_DEP_1) | instskip(SKIP_1) | instid1(VALU_DEP_1)
	v_and_b32_e32 v180, 7, v180
	v_and_b32_e32 v181, 15, v181
	v_cmp_eq_u32_e32 vcc_lo, 0, v181
	s_delay_alu instid0(VALU_DEP_3) | instskip(SKIP_1) | instid1(VALU_DEP_2)
	v_dual_cndmask_b32 v178, v178, v180 :: v_dual_cndmask_b32 v179, v181, v179
	v_and_b32_e32 v180, 0x80000000, v182
	v_lshlrev_b32_e32 v178, 20, v178
	s_delay_alu instid0(VALU_DEP_3) | instskip(NEXT) | instid1(VALU_DEP_1)
	v_lshl_add_u32 v179, v179, 23, 0x3b800000
	v_or3_b32 v178, v180, v179, v178
.LBB4_8897:                             ;   in Loop: Header=BB4_8714 Depth=3
	s_or_b32 exec_lo, exec_lo, s31
	s_delay_alu instid0(VALU_DEP_1) | instskip(SKIP_1) | instid1(VALU_DEP_1)
	v_dual_max_f32 v178, v178, v178 :: v_dual_max_f32 v177, v177, v177
	s_mov_b32 s13, 0
	v_max_f32_e32 v177, v177, v178
	s_branch .LBB4_8899
.LBB4_8898:                             ;   in Loop: Header=BB4_8714 Depth=3
	s_mov_b32 s13, -1
                                        ; implicit-def: $vgpr177
.LBB4_8899:                             ;   in Loop: Header=BB4_8714 Depth=3
	s_delay_alu instid0(SALU_CYCLE_1)
	s_and_b32 vcc_lo, exec_lo, s13
	s_cbranch_vccz .LBB4_8909
; %bb.8900:                             ;   in Loop: Header=BB4_8714 Depth=3
	v_and_b32_e32 v178, 0xff, v176
	s_mov_b32 s13, 0
	s_mov_b32 s34, exec_lo
                                        ; implicit-def: $sgpr31
	s_delay_alu instid0(VALU_DEP_1)
	v_cmpx_lt_i16_e64 0x7f, v178
	s_xor_b32 s34, exec_lo, s34
	s_cbranch_execnz .LBB4_9280
; %bb.8901:                             ;   in Loop: Header=BB4_8714 Depth=3
	s_or_saveexec_b32 s34, s34
	v_mov_b32_e32 v177, s31
	s_xor_b32 exec_lo, exec_lo, s34
	s_cbranch_execnz .LBB4_9283
.LBB4_8902:                             ;   in Loop: Header=BB4_8714 Depth=3
	s_or_b32 exec_lo, exec_lo, s34
	s_and_saveexec_b32 s31, s13
	s_cbranch_execz .LBB4_8904
.LBB4_8903:                             ;   in Loop: Header=BB4_8714 Depth=3
	v_lshrrev_b16 v180, 3, v176
	s_delay_alu instid0(VALU_DEP_1) | instskip(NEXT) | instid1(VALU_DEP_1)
	v_and_b32_e32 v180, 15, v180
	v_cmp_eq_u32_e32 vcc_lo, 0, v180
	v_and_b32_e32 v177, 7, v176
	s_delay_alu instid0(VALU_DEP_1) | instskip(NEXT) | instid1(VALU_DEP_1)
	v_clz_i32_u32_e32 v178, v177
	v_min_u32_e32 v178, 32, v178
	s_delay_alu instid0(VALU_DEP_1) | instskip(SKIP_1) | instid1(VALU_DEP_1)
	v_subrev_nc_u32_e32 v179, 28, v178
	v_sub_nc_u32_e32 v178, 29, v178
	v_dual_cndmask_b32 v178, v180, v178 :: v_dual_lshlrev_b32 v179, v179, v176
	v_lshlrev_b32_e32 v176, 24, v176
	s_delay_alu instid0(VALU_DEP_2) | instskip(NEXT) | instid1(VALU_DEP_3)
	v_and_b32_e32 v179, 7, v179
	v_lshl_add_u32 v178, v178, 23, 0x3b800000
	s_delay_alu instid0(VALU_DEP_2) | instskip(NEXT) | instid1(VALU_DEP_1)
	v_dual_cndmask_b32 v177, v177, v179 :: v_dual_and_b32 v176, 0x80000000, v176
	v_lshlrev_b32_e32 v177, 20, v177
	s_delay_alu instid0(VALU_DEP_1)
	v_or3_b32 v177, v176, v178, v177
.LBB4_8904:                             ;   in Loop: Header=BB4_8714 Depth=3
	s_or_b32 exec_lo, exec_lo, s31
	s_waitcnt vmcnt(9) lgkmcnt(9)
	v_and_b32_e32 v178, 0xff, v163
	s_mov_b32 s13, 0
	s_mov_b32 s34, exec_lo
                                        ; implicit-def: $sgpr31
	s_delay_alu instid0(VALU_DEP_1)
	v_cmpx_lt_i16_e64 0x7f, v178
	s_xor_b32 s34, exec_lo, s34
	s_cbranch_execnz .LBB4_9284
; %bb.8905:                             ;   in Loop: Header=BB4_8714 Depth=3
	s_or_saveexec_b32 s34, s34
	v_mov_b32_e32 v176, s31
	s_xor_b32 exec_lo, exec_lo, s34
	s_cbranch_execnz .LBB4_9287
.LBB4_8906:                             ;   in Loop: Header=BB4_8714 Depth=3
	s_or_b32 exec_lo, exec_lo, s34
	s_and_saveexec_b32 s31, s13
	s_cbranch_execz .LBB4_8908
.LBB4_8907:                             ;   in Loop: Header=BB4_8714 Depth=3
	v_and_b32_e32 v176, 7, v163
	v_lshrrev_b16 v180, 3, v163
	s_delay_alu instid0(VALU_DEP_2) | instskip(NEXT) | instid1(VALU_DEP_2)
	v_clz_i32_u32_e32 v178, v176
	v_and_b32_e32 v180, 15, v180
	s_delay_alu instid0(VALU_DEP_2) | instskip(NEXT) | instid1(VALU_DEP_2)
	v_min_u32_e32 v178, 32, v178
	v_cmp_eq_u32_e32 vcc_lo, 0, v180
	s_delay_alu instid0(VALU_DEP_2) | instskip(SKIP_1) | instid1(VALU_DEP_1)
	v_subrev_nc_u32_e32 v179, 28, v178
	v_sub_nc_u32_e32 v178, 29, v178
	v_dual_cndmask_b32 v178, v180, v178 :: v_dual_lshlrev_b32 v179, v179, v163
	v_lshlrev_b32_e32 v163, 24, v163
	s_delay_alu instid0(VALU_DEP_2) | instskip(NEXT) | instid1(VALU_DEP_3)
	v_and_b32_e32 v179, 7, v179
	v_lshl_add_u32 v178, v178, 23, 0x3b800000
	s_delay_alu instid0(VALU_DEP_3) | instskip(NEXT) | instid1(VALU_DEP_3)
	v_and_b32_e32 v163, 0x80000000, v163
	v_cndmask_b32_e32 v176, v176, v179, vcc_lo
	s_delay_alu instid0(VALU_DEP_1) | instskip(NEXT) | instid1(VALU_DEP_1)
	v_lshlrev_b32_e32 v176, 20, v176
	v_or3_b32 v176, v163, v178, v176
.LBB4_8908:                             ;   in Loop: Header=BB4_8714 Depth=3
	s_or_b32 exec_lo, exec_lo, s31
	s_delay_alu instid0(VALU_DEP_1) | instskip(NEXT) | instid1(VALU_DEP_1)
	v_dual_max_f32 v163, v176, v176 :: v_dual_max_f32 v176, v177, v177
	v_min_f32_e32 v177, v176, v163
.LBB4_8909:                             ;   in Loop: Header=BB4_8714 Depth=3
	s_waitcnt vmcnt(9) lgkmcnt(9)
	s_delay_alu instid0(VALU_DEP_1) | instskip(NEXT) | instid1(VALU_DEP_1)
	v_and_b32_e32 v163, 0x7f800000, v177
	v_cmp_ne_u32_e32 vcc_lo, 0x7f800000, v163
	v_mov_b32_e32 v163, 0x80
	s_and_saveexec_b32 s31, vcc_lo
	s_cbranch_execz .LBB4_8917
; %bb.8910:                             ;   in Loop: Header=BB4_8714 Depth=3
	v_mov_b32_e32 v163, 0
	s_mov_b32 s34, exec_lo
	v_cmpx_ne_u32_e32 0, v177
	s_cbranch_execz .LBB4_8916
; %bb.8911:                             ;   in Loop: Header=BB4_8714 Depth=3
	v_bfe_u32 v163, v177, 23, 8
	v_and_b32_e32 v176, 0x7fffff, v177
	s_delay_alu instid0(VALU_DEP_2) | instskip(SKIP_1) | instid1(VALU_DEP_3)
	v_sub_nc_u32_e32 v178, 0x78, v163
	v_cmp_gt_u32_e32 vcc_lo, 0x79, v163
	v_or_b32_e32 v179, 0x800000, v176
	s_delay_alu instid0(VALU_DEP_3) | instskip(SKIP_2) | instid1(VALU_DEP_3)
	v_cndmask_b32_e32 v178, 0, v178, vcc_lo
	v_cmp_eq_u32_e32 vcc_lo, 0, v163
	v_add_nc_u32_e32 v163, 0xffffff89, v163
	v_cndmask_b32_e64 v178, v178, 0x77, vcc_lo
	v_cndmask_b32_e32 v176, v179, v176, vcc_lo
	s_delay_alu instid0(VALU_DEP_3) | instskip(NEXT) | instid1(VALU_DEP_3)
	v_cndmask_b32_e64 v163, v163, 0xffffff8a, vcc_lo
	v_lshl_add_u32 v179, 0x100000, v178, -1
	s_delay_alu instid0(VALU_DEP_3) | instskip(SKIP_1) | instid1(VALU_DEP_4)
	v_lshrrev_b32_e32 v180, v178, v176
	v_lshlrev_b32_e64 v182, v178, 0x80000
	v_add_nc_u32_e32 v178, v178, v163
	s_delay_alu instid0(VALU_DEP_4) | instskip(NEXT) | instid1(VALU_DEP_4)
	v_and_b32_e32 v176, v179, v176
	v_bfe_u32 v181, v180, 20, 1
	s_delay_alu instid0(VALU_DEP_2) | instskip(NEXT) | instid1(VALU_DEP_2)
	v_cmp_eq_u32_e64 s13, v176, v182
	v_add_nc_u32_e32 v179, -1, v181
	s_delay_alu instid0(VALU_DEP_1) | instskip(SKIP_2) | instid1(VALU_DEP_2)
	v_cndmask_b32_e64 v176, 0, v179, s13
	v_lshrrev_b32_e32 v179, 23, v180
	s_mov_b32 s13, exec_lo
	v_add_nc_u32_e32 v176, v176, v180
	s_delay_alu instid0(VALU_DEP_2) | instskip(NEXT) | instid1(VALU_DEP_2)
	v_xor_b32_e32 v179, 1, v179
	v_and_b32_e32 v163, 0xfffff, v176
	s_delay_alu instid0(VALU_DEP_1) | instskip(NEXT) | instid1(VALU_DEP_3)
	v_add_nc_u32_e32 v176, v163, v180
                                        ; implicit-def: $vgpr163
	v_cmpx_ne_u32_e64 v178, v179
	s_xor_b32 s13, exec_lo, s13
; %bb.8912:                             ;   in Loop: Header=BB4_8714 Depth=3
	s_delay_alu instid0(VALU_DEP_2) | instskip(SKIP_2) | instid1(VALU_DEP_2)
	v_cmp_lt_u32_e32 vcc_lo, 0xffffff, v176
	v_sub_nc_u32_e32 v163, v178, v179
	v_cndmask_b32_e64 v178, 0, 1, vcc_lo
	v_add_co_ci_u32_e32 v163, vcc_lo, 0, v163, vcc_lo
	s_delay_alu instid0(VALU_DEP_2)
	v_lshrrev_b32_e32 v176, v178, v176
; %bb.8913:                             ;   in Loop: Header=BB4_8714 Depth=3
	s_and_not1_saveexec_b32 s13, s13
; %bb.8914:                             ;   in Loop: Header=BB4_8714 Depth=3
	s_delay_alu instid0(VALU_DEP_1)
	v_bfe_u32 v163, v176, 23, 1
; %bb.8915:                             ;   in Loop: Header=BB4_8714 Depth=3
	s_or_b32 exec_lo, exec_lo, s13
	v_lshrrev_b32_e32 v176, 20, v176
	s_delay_alu instid0(VALU_DEP_2) | instskip(SKIP_2) | instid1(VALU_DEP_2)
	v_cmp_gt_i32_e32 vcc_lo, 16, v163
	v_lshrrev_b32_e32 v177, 24, v177
	v_min_i32_e32 v178, 15, v163
	v_dual_cndmask_b32 v176, 7, v176 :: v_dual_and_b32 v177, 0x80, v177
	s_delay_alu instid0(VALU_DEP_1) | instskip(SKIP_1) | instid1(VALU_DEP_2)
	v_or_b32_e32 v163, v163, v176
	v_and_b32_e32 v179, 7, v176
	v_cmp_ne_u32_e32 vcc_lo, 0, v163
	v_lshlrev_b32_e32 v178, 3, v178
	s_delay_alu instid0(VALU_DEP_1) | instskip(NEXT) | instid1(VALU_DEP_1)
	v_or3_b32 v176, v178, v177, v179
	v_cndmask_b32_e32 v163, 0, v176, vcc_lo
.LBB4_8916:                             ;   in Loop: Header=BB4_8714 Depth=3
	s_or_b32 exec_lo, exec_lo, s34
.LBB4_8917:                             ;   in Loop: Header=BB4_8714 Depth=3
	s_delay_alu instid0(SALU_CYCLE_1) | instskip(NEXT) | instid1(SALU_CYCLE_1)
	s_or_b32 exec_lo, exec_lo, s31
	s_and_not1_b32 vcc_lo, exec_lo, s16
	s_cbranch_vccnz .LBB4_8927
; %bb.8918:                             ;   in Loop: Header=BB4_8714 Depth=3
	v_and_b32_e32 v177, 0xff, v167
	s_mov_b32 s13, 0
	s_mov_b32 s34, exec_lo
                                        ; implicit-def: $sgpr31
	s_delay_alu instid0(VALU_DEP_1)
	v_cmpx_lt_i16_e64 0x7f, v177
	s_xor_b32 s34, exec_lo, s34
	s_cbranch_execnz .LBB4_9288
; %bb.8919:                             ;   in Loop: Header=BB4_8714 Depth=3
	s_or_saveexec_b32 s34, s34
	v_mov_b32_e32 v176, s31
	s_xor_b32 exec_lo, exec_lo, s34
	s_cbranch_execnz .LBB4_9291
.LBB4_8920:                             ;   in Loop: Header=BB4_8714 Depth=3
	s_or_b32 exec_lo, exec_lo, s34
	s_and_saveexec_b32 s31, s13
	s_cbranch_execz .LBB4_8922
.LBB4_8921:                             ;   in Loop: Header=BB4_8714 Depth=3
	v_lshrrev_b16 v179, 3, v167
	v_lshlrev_b32_e32 v180, 24, v167
	s_delay_alu instid0(VALU_DEP_2) | instskip(NEXT) | instid1(VALU_DEP_1)
	v_and_b32_e32 v179, 15, v179
	v_cmp_eq_u32_e32 vcc_lo, 0, v179
	v_and_b32_e32 v176, 7, v167
	s_delay_alu instid0(VALU_DEP_1) | instskip(NEXT) | instid1(VALU_DEP_1)
	v_clz_i32_u32_e32 v177, v176
	v_min_u32_e32 v177, 32, v177
	s_delay_alu instid0(VALU_DEP_1) | instskip(SKIP_1) | instid1(VALU_DEP_1)
	v_subrev_nc_u32_e32 v178, 28, v177
	v_sub_nc_u32_e32 v177, 29, v177
	v_dual_cndmask_b32 v177, v179, v177 :: v_dual_lshlrev_b32 v178, v178, v167
	s_delay_alu instid0(VALU_DEP_1) | instskip(NEXT) | instid1(VALU_DEP_2)
	v_and_b32_e32 v178, 7, v178
	v_lshl_add_u32 v177, v177, 23, 0x3b800000
	s_delay_alu instid0(VALU_DEP_2) | instskip(SKIP_1) | instid1(VALU_DEP_2)
	v_cndmask_b32_e32 v176, v176, v178, vcc_lo
	v_and_b32_e32 v178, 0x80000000, v180
	v_lshlrev_b32_e32 v176, 20, v176
	s_delay_alu instid0(VALU_DEP_1)
	v_or3_b32 v176, v178, v177, v176
.LBB4_8922:                             ;   in Loop: Header=BB4_8714 Depth=3
	s_or_b32 exec_lo, exec_lo, s31
	s_waitcnt vmcnt(8) lgkmcnt(8)
	v_and_b32_e32 v178, 0xff, v166
	s_mov_b32 s13, 0
	s_mov_b32 s34, exec_lo
                                        ; implicit-def: $sgpr31
	s_delay_alu instid0(VALU_DEP_1)
	v_cmpx_lt_i16_e64 0x7f, v178
	s_xor_b32 s34, exec_lo, s34
	s_cbranch_execnz .LBB4_9292
; %bb.8923:                             ;   in Loop: Header=BB4_8714 Depth=3
	s_or_saveexec_b32 s34, s34
	v_mov_b32_e32 v177, s31
	s_xor_b32 exec_lo, exec_lo, s34
	s_cbranch_execnz .LBB4_9295
.LBB4_8924:                             ;   in Loop: Header=BB4_8714 Depth=3
	s_or_b32 exec_lo, exec_lo, s34
	s_and_saveexec_b32 s31, s13
	s_cbranch_execz .LBB4_8926
.LBB4_8925:                             ;   in Loop: Header=BB4_8714 Depth=3
	v_and_b32_e32 v177, 7, v166
	v_lshrrev_b16 v180, 3, v166
	v_lshlrev_b32_e32 v181, 24, v166
	s_delay_alu instid0(VALU_DEP_3) | instskip(NEXT) | instid1(VALU_DEP_1)
	v_clz_i32_u32_e32 v178, v177
	v_min_u32_e32 v178, 32, v178
	s_delay_alu instid0(VALU_DEP_1) | instskip(SKIP_1) | instid1(VALU_DEP_2)
	v_subrev_nc_u32_e32 v179, 28, v178
	v_sub_nc_u32_e32 v178, 29, v178
	v_lshlrev_b32_e32 v179, v179, v166
	s_delay_alu instid0(VALU_DEP_1) | instskip(SKIP_1) | instid1(VALU_DEP_1)
	v_and_b32_e32 v179, 7, v179
	v_and_b32_e32 v180, 15, v180
	v_cmp_eq_u32_e32 vcc_lo, 0, v180
	s_delay_alu instid0(VALU_DEP_3) | instskip(SKIP_1) | instid1(VALU_DEP_2)
	v_dual_cndmask_b32 v177, v177, v179 :: v_dual_cndmask_b32 v178, v180, v178
	v_and_b32_e32 v179, 0x80000000, v181
	v_lshlrev_b32_e32 v177, 20, v177
	s_delay_alu instid0(VALU_DEP_3) | instskip(NEXT) | instid1(VALU_DEP_1)
	v_lshl_add_u32 v178, v178, 23, 0x3b800000
	v_or3_b32 v177, v179, v178, v177
.LBB4_8926:                             ;   in Loop: Header=BB4_8714 Depth=3
	s_or_b32 exec_lo, exec_lo, s31
	s_delay_alu instid0(VALU_DEP_1) | instskip(SKIP_1) | instid1(VALU_DEP_1)
	v_dual_max_f32 v177, v177, v177 :: v_dual_max_f32 v176, v176, v176
	s_mov_b32 s13, 0
	v_max_f32_e32 v176, v176, v177
	s_branch .LBB4_8928
.LBB4_8927:                             ;   in Loop: Header=BB4_8714 Depth=3
	s_mov_b32 s13, -1
                                        ; implicit-def: $vgpr176
.LBB4_8928:                             ;   in Loop: Header=BB4_8714 Depth=3
	s_delay_alu instid0(SALU_CYCLE_1)
	s_and_b32 vcc_lo, exec_lo, s13
	s_cbranch_vccz .LBB4_8938
; %bb.8929:                             ;   in Loop: Header=BB4_8714 Depth=3
	v_and_b32_e32 v177, 0xff, v167
	s_mov_b32 s13, 0
	s_mov_b32 s34, exec_lo
                                        ; implicit-def: $sgpr31
	s_delay_alu instid0(VALU_DEP_1)
	v_cmpx_lt_i16_e64 0x7f, v177
	s_xor_b32 s34, exec_lo, s34
	s_cbranch_execnz .LBB4_9296
; %bb.8930:                             ;   in Loop: Header=BB4_8714 Depth=3
	s_or_saveexec_b32 s34, s34
	v_mov_b32_e32 v176, s31
	s_xor_b32 exec_lo, exec_lo, s34
	s_cbranch_execnz .LBB4_9299
.LBB4_8931:                             ;   in Loop: Header=BB4_8714 Depth=3
	s_or_b32 exec_lo, exec_lo, s34
	s_and_saveexec_b32 s31, s13
	s_cbranch_execz .LBB4_8933
.LBB4_8932:                             ;   in Loop: Header=BB4_8714 Depth=3
	v_lshrrev_b16 v179, 3, v167
	s_delay_alu instid0(VALU_DEP_1) | instskip(NEXT) | instid1(VALU_DEP_1)
	v_and_b32_e32 v179, 15, v179
	v_cmp_eq_u32_e32 vcc_lo, 0, v179
	v_and_b32_e32 v176, 7, v167
	s_delay_alu instid0(VALU_DEP_1) | instskip(NEXT) | instid1(VALU_DEP_1)
	v_clz_i32_u32_e32 v177, v176
	v_min_u32_e32 v177, 32, v177
	s_delay_alu instid0(VALU_DEP_1) | instskip(SKIP_1) | instid1(VALU_DEP_1)
	v_subrev_nc_u32_e32 v178, 28, v177
	v_sub_nc_u32_e32 v177, 29, v177
	v_dual_cndmask_b32 v177, v179, v177 :: v_dual_lshlrev_b32 v178, v178, v167
	v_lshlrev_b32_e32 v167, 24, v167
	s_delay_alu instid0(VALU_DEP_2) | instskip(NEXT) | instid1(VALU_DEP_3)
	v_and_b32_e32 v178, 7, v178
	v_lshl_add_u32 v177, v177, 23, 0x3b800000
	s_delay_alu instid0(VALU_DEP_2) | instskip(NEXT) | instid1(VALU_DEP_1)
	v_dual_cndmask_b32 v176, v176, v178 :: v_dual_and_b32 v167, 0x80000000, v167
	v_lshlrev_b32_e32 v176, 20, v176
	s_delay_alu instid0(VALU_DEP_1)
	v_or3_b32 v176, v167, v177, v176
.LBB4_8933:                             ;   in Loop: Header=BB4_8714 Depth=3
	s_or_b32 exec_lo, exec_lo, s31
	s_waitcnt vmcnt(8) lgkmcnt(8)
	v_and_b32_e32 v177, 0xff, v166
	s_mov_b32 s13, 0
	s_mov_b32 s34, exec_lo
                                        ; implicit-def: $sgpr31
	s_delay_alu instid0(VALU_DEP_1)
	v_cmpx_lt_i16_e64 0x7f, v177
	s_xor_b32 s34, exec_lo, s34
	s_cbranch_execnz .LBB4_9300
; %bb.8934:                             ;   in Loop: Header=BB4_8714 Depth=3
	s_or_saveexec_b32 s34, s34
	v_mov_b32_e32 v167, s31
	s_xor_b32 exec_lo, exec_lo, s34
	s_cbranch_execnz .LBB4_9303
.LBB4_8935:                             ;   in Loop: Header=BB4_8714 Depth=3
	s_or_b32 exec_lo, exec_lo, s34
	s_and_saveexec_b32 s31, s13
	s_cbranch_execz .LBB4_8937
.LBB4_8936:                             ;   in Loop: Header=BB4_8714 Depth=3
	v_and_b32_e32 v167, 7, v166
	v_lshrrev_b16 v179, 3, v166
	s_delay_alu instid0(VALU_DEP_2) | instskip(NEXT) | instid1(VALU_DEP_2)
	v_clz_i32_u32_e32 v177, v167
	v_and_b32_e32 v179, 15, v179
	s_delay_alu instid0(VALU_DEP_2) | instskip(NEXT) | instid1(VALU_DEP_2)
	v_min_u32_e32 v177, 32, v177
	v_cmp_eq_u32_e32 vcc_lo, 0, v179
	s_delay_alu instid0(VALU_DEP_2) | instskip(SKIP_1) | instid1(VALU_DEP_1)
	v_subrev_nc_u32_e32 v178, 28, v177
	v_sub_nc_u32_e32 v177, 29, v177
	v_dual_cndmask_b32 v177, v179, v177 :: v_dual_lshlrev_b32 v178, v178, v166
	v_lshlrev_b32_e32 v166, 24, v166
	s_delay_alu instid0(VALU_DEP_2) | instskip(NEXT) | instid1(VALU_DEP_3)
	v_and_b32_e32 v178, 7, v178
	v_lshl_add_u32 v177, v177, 23, 0x3b800000
	s_delay_alu instid0(VALU_DEP_3) | instskip(NEXT) | instid1(VALU_DEP_3)
	v_and_b32_e32 v166, 0x80000000, v166
	v_cndmask_b32_e32 v167, v167, v178, vcc_lo
	s_delay_alu instid0(VALU_DEP_1) | instskip(NEXT) | instid1(VALU_DEP_1)
	v_lshlrev_b32_e32 v167, 20, v167
	v_or3_b32 v167, v166, v177, v167
.LBB4_8937:                             ;   in Loop: Header=BB4_8714 Depth=3
	s_or_b32 exec_lo, exec_lo, s31
	s_delay_alu instid0(VALU_DEP_1) | instskip(NEXT) | instid1(VALU_DEP_1)
	v_dual_max_f32 v166, v167, v167 :: v_dual_max_f32 v167, v176, v176
	v_min_f32_e32 v176, v167, v166
.LBB4_8938:                             ;   in Loop: Header=BB4_8714 Depth=3
	s_waitcnt vmcnt(8) lgkmcnt(8)
	s_delay_alu instid0(VALU_DEP_1) | instskip(NEXT) | instid1(VALU_DEP_1)
	v_and_b32_e32 v166, 0x7f800000, v176
	v_cmp_ne_u32_e32 vcc_lo, 0x7f800000, v166
	v_mov_b32_e32 v166, 0x80
	s_and_saveexec_b32 s31, vcc_lo
	s_cbranch_execz .LBB4_8946
; %bb.8939:                             ;   in Loop: Header=BB4_8714 Depth=3
	v_mov_b32_e32 v166, 0
	s_mov_b32 s34, exec_lo
	v_cmpx_ne_u32_e32 0, v176
	s_cbranch_execz .LBB4_8945
; %bb.8940:                             ;   in Loop: Header=BB4_8714 Depth=3
	v_bfe_u32 v166, v176, 23, 8
	v_and_b32_e32 v167, 0x7fffff, v176
	s_delay_alu instid0(VALU_DEP_2) | instskip(SKIP_1) | instid1(VALU_DEP_3)
	v_sub_nc_u32_e32 v177, 0x78, v166
	v_cmp_gt_u32_e32 vcc_lo, 0x79, v166
	v_or_b32_e32 v178, 0x800000, v167
	s_delay_alu instid0(VALU_DEP_3) | instskip(SKIP_2) | instid1(VALU_DEP_3)
	v_cndmask_b32_e32 v177, 0, v177, vcc_lo
	v_cmp_eq_u32_e32 vcc_lo, 0, v166
	v_add_nc_u32_e32 v166, 0xffffff89, v166
	v_cndmask_b32_e64 v177, v177, 0x77, vcc_lo
	v_cndmask_b32_e32 v167, v178, v167, vcc_lo
	s_delay_alu instid0(VALU_DEP_3) | instskip(NEXT) | instid1(VALU_DEP_3)
	v_cndmask_b32_e64 v166, v166, 0xffffff8a, vcc_lo
	v_lshl_add_u32 v178, 0x100000, v177, -1
	s_delay_alu instid0(VALU_DEP_3) | instskip(SKIP_1) | instid1(VALU_DEP_4)
	v_lshrrev_b32_e32 v179, v177, v167
	v_lshlrev_b32_e64 v181, v177, 0x80000
	v_add_nc_u32_e32 v177, v177, v166
	s_delay_alu instid0(VALU_DEP_4) | instskip(NEXT) | instid1(VALU_DEP_4)
	v_and_b32_e32 v167, v178, v167
	v_bfe_u32 v180, v179, 20, 1
	s_delay_alu instid0(VALU_DEP_2) | instskip(NEXT) | instid1(VALU_DEP_2)
	v_cmp_eq_u32_e64 s13, v167, v181
	v_add_nc_u32_e32 v178, -1, v180
	s_delay_alu instid0(VALU_DEP_1) | instskip(SKIP_2) | instid1(VALU_DEP_2)
	v_cndmask_b32_e64 v167, 0, v178, s13
	v_lshrrev_b32_e32 v178, 23, v179
	s_mov_b32 s13, exec_lo
	v_add_nc_u32_e32 v167, v167, v179
	s_delay_alu instid0(VALU_DEP_2) | instskip(NEXT) | instid1(VALU_DEP_2)
	v_xor_b32_e32 v178, 1, v178
	v_and_b32_e32 v166, 0xfffff, v167
	s_delay_alu instid0(VALU_DEP_1) | instskip(NEXT) | instid1(VALU_DEP_3)
	v_add_nc_u32_e32 v167, v166, v179
                                        ; implicit-def: $vgpr166
	v_cmpx_ne_u32_e64 v177, v178
	s_xor_b32 s13, exec_lo, s13
; %bb.8941:                             ;   in Loop: Header=BB4_8714 Depth=3
	s_delay_alu instid0(VALU_DEP_2) | instskip(SKIP_2) | instid1(VALU_DEP_2)
	v_cmp_lt_u32_e32 vcc_lo, 0xffffff, v167
	v_sub_nc_u32_e32 v166, v177, v178
	v_cndmask_b32_e64 v177, 0, 1, vcc_lo
	v_add_co_ci_u32_e32 v166, vcc_lo, 0, v166, vcc_lo
	s_delay_alu instid0(VALU_DEP_2)
	v_lshrrev_b32_e32 v167, v177, v167
; %bb.8942:                             ;   in Loop: Header=BB4_8714 Depth=3
	s_and_not1_saveexec_b32 s13, s13
; %bb.8943:                             ;   in Loop: Header=BB4_8714 Depth=3
	s_delay_alu instid0(VALU_DEP_1)
	v_bfe_u32 v166, v167, 23, 1
; %bb.8944:                             ;   in Loop: Header=BB4_8714 Depth=3
	s_or_b32 exec_lo, exec_lo, s13
	v_lshrrev_b32_e32 v167, 20, v167
	s_delay_alu instid0(VALU_DEP_2) | instskip(SKIP_2) | instid1(VALU_DEP_2)
	v_cmp_gt_i32_e32 vcc_lo, 16, v166
	v_lshrrev_b32_e32 v176, 24, v176
	v_min_i32_e32 v177, 15, v166
	v_dual_cndmask_b32 v167, 7, v167 :: v_dual_and_b32 v176, 0x80, v176
	s_delay_alu instid0(VALU_DEP_1) | instskip(SKIP_1) | instid1(VALU_DEP_2)
	v_or_b32_e32 v166, v166, v167
	v_and_b32_e32 v178, 7, v167
	v_cmp_ne_u32_e32 vcc_lo, 0, v166
	v_lshlrev_b32_e32 v177, 3, v177
	s_delay_alu instid0(VALU_DEP_1) | instskip(NEXT) | instid1(VALU_DEP_1)
	v_or3_b32 v167, v177, v176, v178
	v_cndmask_b32_e32 v166, 0, v167, vcc_lo
.LBB4_8945:                             ;   in Loop: Header=BB4_8714 Depth=3
	s_or_b32 exec_lo, exec_lo, s34
.LBB4_8946:                             ;   in Loop: Header=BB4_8714 Depth=3
	s_delay_alu instid0(SALU_CYCLE_1) | instskip(NEXT) | instid1(SALU_CYCLE_1)
	s_or_b32 exec_lo, exec_lo, s31
	s_and_not1_b32 vcc_lo, exec_lo, s16
	s_cbranch_vccnz .LBB4_8956
; %bb.8947:                             ;   in Loop: Header=BB4_8714 Depth=3
	v_and_b32_e32 v176, 0xff, v165
	s_mov_b32 s13, 0
	s_mov_b32 s34, exec_lo
                                        ; implicit-def: $sgpr31
	s_delay_alu instid0(VALU_DEP_1)
	v_cmpx_lt_i16_e64 0x7f, v176
	s_xor_b32 s34, exec_lo, s34
	s_cbranch_execnz .LBB4_9304
; %bb.8948:                             ;   in Loop: Header=BB4_8714 Depth=3
	s_or_saveexec_b32 s34, s34
	v_mov_b32_e32 v167, s31
	s_xor_b32 exec_lo, exec_lo, s34
	s_cbranch_execnz .LBB4_9307
.LBB4_8949:                             ;   in Loop: Header=BB4_8714 Depth=3
	s_or_b32 exec_lo, exec_lo, s34
	s_and_saveexec_b32 s31, s13
	s_cbranch_execz .LBB4_8951
.LBB4_8950:                             ;   in Loop: Header=BB4_8714 Depth=3
	v_lshrrev_b16 v178, 3, v165
	v_lshlrev_b32_e32 v179, 24, v165
	s_delay_alu instid0(VALU_DEP_2) | instskip(NEXT) | instid1(VALU_DEP_1)
	v_and_b32_e32 v178, 15, v178
	v_cmp_eq_u32_e32 vcc_lo, 0, v178
	v_and_b32_e32 v167, 7, v165
	s_delay_alu instid0(VALU_DEP_1) | instskip(NEXT) | instid1(VALU_DEP_1)
	v_clz_i32_u32_e32 v176, v167
	v_min_u32_e32 v176, 32, v176
	s_delay_alu instid0(VALU_DEP_1) | instskip(SKIP_1) | instid1(VALU_DEP_1)
	v_subrev_nc_u32_e32 v177, 28, v176
	v_sub_nc_u32_e32 v176, 29, v176
	v_dual_cndmask_b32 v176, v178, v176 :: v_dual_lshlrev_b32 v177, v177, v165
	s_delay_alu instid0(VALU_DEP_1) | instskip(NEXT) | instid1(VALU_DEP_2)
	v_and_b32_e32 v177, 7, v177
	v_lshl_add_u32 v176, v176, 23, 0x3b800000
	s_delay_alu instid0(VALU_DEP_2) | instskip(SKIP_1) | instid1(VALU_DEP_2)
	v_cndmask_b32_e32 v167, v167, v177, vcc_lo
	v_and_b32_e32 v177, 0x80000000, v179
	v_lshlrev_b32_e32 v167, 20, v167
	s_delay_alu instid0(VALU_DEP_1)
	v_or3_b32 v167, v177, v176, v167
.LBB4_8951:                             ;   in Loop: Header=BB4_8714 Depth=3
	s_or_b32 exec_lo, exec_lo, s31
	s_waitcnt vmcnt(7) lgkmcnt(7)
	v_and_b32_e32 v177, 0xff, v164
	s_mov_b32 s13, 0
	s_mov_b32 s34, exec_lo
                                        ; implicit-def: $sgpr31
	s_delay_alu instid0(VALU_DEP_1)
	v_cmpx_lt_i16_e64 0x7f, v177
	s_xor_b32 s34, exec_lo, s34
	s_cbranch_execnz .LBB4_9308
; %bb.8952:                             ;   in Loop: Header=BB4_8714 Depth=3
	s_or_saveexec_b32 s34, s34
	v_mov_b32_e32 v176, s31
	s_xor_b32 exec_lo, exec_lo, s34
	s_cbranch_execnz .LBB4_9311
.LBB4_8953:                             ;   in Loop: Header=BB4_8714 Depth=3
	s_or_b32 exec_lo, exec_lo, s34
	s_and_saveexec_b32 s31, s13
	s_cbranch_execz .LBB4_8955
.LBB4_8954:                             ;   in Loop: Header=BB4_8714 Depth=3
	v_lshrrev_b16 v179, 3, v164
	v_lshlrev_b32_e32 v180, 24, v164
	s_delay_alu instid0(VALU_DEP_2) | instskip(NEXT) | instid1(VALU_DEP_1)
	v_and_b32_e32 v179, 15, v179
	v_cmp_eq_u32_e32 vcc_lo, 0, v179
	v_and_b32_e32 v176, 7, v164
	s_delay_alu instid0(VALU_DEP_1) | instskip(NEXT) | instid1(VALU_DEP_1)
	v_clz_i32_u32_e32 v177, v176
	v_min_u32_e32 v177, 32, v177
	s_delay_alu instid0(VALU_DEP_1) | instskip(SKIP_1) | instid1(VALU_DEP_1)
	v_subrev_nc_u32_e32 v178, 28, v177
	v_sub_nc_u32_e32 v177, 29, v177
	v_dual_cndmask_b32 v177, v179, v177 :: v_dual_lshlrev_b32 v178, v178, v164
	s_delay_alu instid0(VALU_DEP_1) | instskip(NEXT) | instid1(VALU_DEP_2)
	v_and_b32_e32 v178, 7, v178
	v_lshl_add_u32 v177, v177, 23, 0x3b800000
	s_delay_alu instid0(VALU_DEP_2) | instskip(SKIP_1) | instid1(VALU_DEP_2)
	v_cndmask_b32_e32 v176, v176, v178, vcc_lo
	v_and_b32_e32 v178, 0x80000000, v180
	v_lshlrev_b32_e32 v176, 20, v176
	s_delay_alu instid0(VALU_DEP_1)
	v_or3_b32 v176, v178, v177, v176
.LBB4_8955:                             ;   in Loop: Header=BB4_8714 Depth=3
	s_or_b32 exec_lo, exec_lo, s31
	s_delay_alu instid0(VALU_DEP_1) | instskip(SKIP_1) | instid1(VALU_DEP_1)
	v_dual_max_f32 v176, v176, v176 :: v_dual_max_f32 v167, v167, v167
	s_mov_b32 s13, 0
	v_max_f32_e32 v167, v167, v176
	s_branch .LBB4_8957
.LBB4_8956:                             ;   in Loop: Header=BB4_8714 Depth=3
	s_mov_b32 s13, -1
                                        ; implicit-def: $vgpr167
.LBB4_8957:                             ;   in Loop: Header=BB4_8714 Depth=3
	s_delay_alu instid0(SALU_CYCLE_1)
	s_and_b32 vcc_lo, exec_lo, s13
	s_cbranch_vccz .LBB4_8967
; %bb.8958:                             ;   in Loop: Header=BB4_8714 Depth=3
	v_and_b32_e32 v176, 0xff, v165
	s_mov_b32 s13, 0
	s_mov_b32 s34, exec_lo
                                        ; implicit-def: $sgpr31
	s_delay_alu instid0(VALU_DEP_1)
	v_cmpx_lt_i16_e64 0x7f, v176
	s_xor_b32 s34, exec_lo, s34
	s_cbranch_execnz .LBB4_9312
; %bb.8959:                             ;   in Loop: Header=BB4_8714 Depth=3
	s_or_saveexec_b32 s34, s34
	v_mov_b32_e32 v167, s31
	s_xor_b32 exec_lo, exec_lo, s34
	s_cbranch_execnz .LBB4_9315
.LBB4_8960:                             ;   in Loop: Header=BB4_8714 Depth=3
	s_or_b32 exec_lo, exec_lo, s34
	s_and_saveexec_b32 s31, s13
	s_cbranch_execz .LBB4_8962
.LBB4_8961:                             ;   in Loop: Header=BB4_8714 Depth=3
	v_lshrrev_b16 v178, 3, v165
	s_delay_alu instid0(VALU_DEP_1) | instskip(NEXT) | instid1(VALU_DEP_1)
	v_and_b32_e32 v178, 15, v178
	v_cmp_eq_u32_e32 vcc_lo, 0, v178
	v_and_b32_e32 v167, 7, v165
	s_delay_alu instid0(VALU_DEP_1) | instskip(NEXT) | instid1(VALU_DEP_1)
	v_clz_i32_u32_e32 v176, v167
	v_min_u32_e32 v176, 32, v176
	s_delay_alu instid0(VALU_DEP_1) | instskip(SKIP_1) | instid1(VALU_DEP_1)
	v_subrev_nc_u32_e32 v177, 28, v176
	v_sub_nc_u32_e32 v176, 29, v176
	v_dual_cndmask_b32 v176, v178, v176 :: v_dual_lshlrev_b32 v177, v177, v165
	v_lshlrev_b32_e32 v165, 24, v165
	s_delay_alu instid0(VALU_DEP_2) | instskip(NEXT) | instid1(VALU_DEP_3)
	v_and_b32_e32 v177, 7, v177
	v_lshl_add_u32 v176, v176, 23, 0x3b800000
	s_delay_alu instid0(VALU_DEP_3) | instskip(NEXT) | instid1(VALU_DEP_3)
	v_and_b32_e32 v165, 0x80000000, v165
	v_cndmask_b32_e32 v167, v167, v177, vcc_lo
	s_delay_alu instid0(VALU_DEP_1) | instskip(NEXT) | instid1(VALU_DEP_1)
	v_lshlrev_b32_e32 v167, 20, v167
	v_or3_b32 v167, v165, v176, v167
.LBB4_8962:                             ;   in Loop: Header=BB4_8714 Depth=3
	s_or_b32 exec_lo, exec_lo, s31
	s_waitcnt vmcnt(7) lgkmcnt(7)
	v_and_b32_e32 v176, 0xff, v164
	s_mov_b32 s13, 0
	s_mov_b32 s34, exec_lo
                                        ; implicit-def: $sgpr31
	s_delay_alu instid0(VALU_DEP_1)
	v_cmpx_lt_i16_e64 0x7f, v176
	s_xor_b32 s34, exec_lo, s34
	s_cbranch_execnz .LBB4_9316
; %bb.8963:                             ;   in Loop: Header=BB4_8714 Depth=3
	s_or_saveexec_b32 s34, s34
	v_mov_b32_e32 v165, s31
	s_xor_b32 exec_lo, exec_lo, s34
	s_cbranch_execnz .LBB4_9319
.LBB4_8964:                             ;   in Loop: Header=BB4_8714 Depth=3
	s_or_b32 exec_lo, exec_lo, s34
	s_and_saveexec_b32 s31, s13
	s_cbranch_execz .LBB4_8966
.LBB4_8965:                             ;   in Loop: Header=BB4_8714 Depth=3
	v_and_b32_e32 v165, 7, v164
	v_lshrrev_b16 v178, 3, v164
	s_delay_alu instid0(VALU_DEP_2) | instskip(NEXT) | instid1(VALU_DEP_1)
	v_clz_i32_u32_e32 v176, v165
	v_min_u32_e32 v176, 32, v176
	s_delay_alu instid0(VALU_DEP_1) | instskip(SKIP_1) | instid1(VALU_DEP_2)
	v_subrev_nc_u32_e32 v177, 28, v176
	v_sub_nc_u32_e32 v176, 29, v176
	v_lshlrev_b32_e32 v177, v177, v164
	v_lshlrev_b32_e32 v164, 24, v164
	s_delay_alu instid0(VALU_DEP_2) | instskip(SKIP_1) | instid1(VALU_DEP_3)
	v_and_b32_e32 v177, 7, v177
	v_and_b32_e32 v178, 15, v178
	;; [unrolled: 1-line block ×3, first 2 shown]
	s_delay_alu instid0(VALU_DEP_2) | instskip(NEXT) | instid1(VALU_DEP_4)
	v_cmp_eq_u32_e32 vcc_lo, 0, v178
	v_dual_cndmask_b32 v165, v165, v177 :: v_dual_cndmask_b32 v176, v178, v176
	s_delay_alu instid0(VALU_DEP_1) | instskip(NEXT) | instid1(VALU_DEP_2)
	v_lshlrev_b32_e32 v165, 20, v165
	v_lshl_add_u32 v176, v176, 23, 0x3b800000
	s_delay_alu instid0(VALU_DEP_1)
	v_or3_b32 v165, v164, v176, v165
.LBB4_8966:                             ;   in Loop: Header=BB4_8714 Depth=3
	s_or_b32 exec_lo, exec_lo, s31
	s_delay_alu instid0(VALU_DEP_1) | instskip(NEXT) | instid1(VALU_DEP_1)
	v_dual_max_f32 v164, v165, v165 :: v_dual_max_f32 v165, v167, v167
	v_min_f32_e32 v167, v165, v164
.LBB4_8967:                             ;   in Loop: Header=BB4_8714 Depth=3
	s_waitcnt vmcnt(7) lgkmcnt(7)
	s_delay_alu instid0(VALU_DEP_1) | instskip(NEXT) | instid1(VALU_DEP_1)
	v_and_b32_e32 v164, 0x7f800000, v167
	v_cmp_ne_u32_e32 vcc_lo, 0x7f800000, v164
	v_mov_b32_e32 v164, 0x80
	s_and_saveexec_b32 s31, vcc_lo
	s_cbranch_execz .LBB4_8975
; %bb.8968:                             ;   in Loop: Header=BB4_8714 Depth=3
	v_mov_b32_e32 v164, 0
	s_mov_b32 s34, exec_lo
	v_cmpx_ne_u32_e32 0, v167
	s_cbranch_execz .LBB4_8974
; %bb.8969:                             ;   in Loop: Header=BB4_8714 Depth=3
	v_bfe_u32 v164, v167, 23, 8
	s_delay_alu instid0(VALU_DEP_1) | instskip(SKIP_1) | instid1(VALU_DEP_2)
	v_sub_nc_u32_e32 v176, 0x78, v164
	v_cmp_gt_u32_e32 vcc_lo, 0x79, v164
	v_dual_cndmask_b32 v176, 0, v176 :: v_dual_and_b32 v165, 0x7fffff, v167
	s_delay_alu instid0(VALU_DEP_1) | instskip(SKIP_2) | instid1(VALU_DEP_4)
	v_or_b32_e32 v177, 0x800000, v165
	v_cmp_eq_u32_e32 vcc_lo, 0, v164
	v_add_nc_u32_e32 v164, 0xffffff89, v164
	v_cndmask_b32_e64 v176, v176, 0x77, vcc_lo
	s_delay_alu instid0(VALU_DEP_4) | instskip(NEXT) | instid1(VALU_DEP_3)
	v_cndmask_b32_e32 v165, v177, v165, vcc_lo
	v_cndmask_b32_e64 v164, v164, 0xffffff8a, vcc_lo
	s_delay_alu instid0(VALU_DEP_3) | instskip(NEXT) | instid1(VALU_DEP_3)
	v_lshl_add_u32 v177, 0x100000, v176, -1
	v_lshrrev_b32_e32 v178, v176, v165
	v_lshlrev_b32_e64 v180, v176, 0x80000
	s_delay_alu instid0(VALU_DEP_4) | instskip(NEXT) | instid1(VALU_DEP_4)
	v_add_nc_u32_e32 v176, v176, v164
	v_and_b32_e32 v165, v177, v165
	s_delay_alu instid0(VALU_DEP_4) | instskip(NEXT) | instid1(VALU_DEP_2)
	v_bfe_u32 v179, v178, 20, 1
	v_cmp_eq_u32_e64 s13, v165, v180
	s_delay_alu instid0(VALU_DEP_2) | instskip(NEXT) | instid1(VALU_DEP_1)
	v_add_nc_u32_e32 v177, -1, v179
	v_cndmask_b32_e64 v165, 0, v177, s13
	v_lshrrev_b32_e32 v177, 23, v178
	s_mov_b32 s13, exec_lo
	s_delay_alu instid0(VALU_DEP_2) | instskip(NEXT) | instid1(VALU_DEP_2)
	v_add_nc_u32_e32 v165, v165, v178
	v_xor_b32_e32 v177, 1, v177
	s_delay_alu instid0(VALU_DEP_2) | instskip(NEXT) | instid1(VALU_DEP_1)
	v_and_b32_e32 v164, 0xfffff, v165
	v_add_nc_u32_e32 v165, v164, v178
                                        ; implicit-def: $vgpr164
	s_delay_alu instid0(VALU_DEP_3)
	v_cmpx_ne_u32_e64 v176, v177
	s_xor_b32 s13, exec_lo, s13
; %bb.8970:                             ;   in Loop: Header=BB4_8714 Depth=3
	s_delay_alu instid0(VALU_DEP_2) | instskip(SKIP_2) | instid1(VALU_DEP_2)
	v_cmp_lt_u32_e32 vcc_lo, 0xffffff, v165
	v_sub_nc_u32_e32 v164, v176, v177
	v_cndmask_b32_e64 v176, 0, 1, vcc_lo
	v_add_co_ci_u32_e32 v164, vcc_lo, 0, v164, vcc_lo
	s_delay_alu instid0(VALU_DEP_2)
	v_lshrrev_b32_e32 v165, v176, v165
; %bb.8971:                             ;   in Loop: Header=BB4_8714 Depth=3
	s_and_not1_saveexec_b32 s13, s13
; %bb.8972:                             ;   in Loop: Header=BB4_8714 Depth=3
	s_delay_alu instid0(VALU_DEP_1)
	v_bfe_u32 v164, v165, 23, 1
; %bb.8973:                             ;   in Loop: Header=BB4_8714 Depth=3
	s_or_b32 exec_lo, exec_lo, s13
	v_lshrrev_b32_e32 v165, 20, v165
	s_delay_alu instid0(VALU_DEP_2) | instskip(SKIP_2) | instid1(VALU_DEP_2)
	v_cmp_gt_i32_e32 vcc_lo, 16, v164
	v_min_i32_e32 v176, 15, v164
	v_lshrrev_b32_e32 v167, 24, v167
	v_dual_cndmask_b32 v165, 7, v165 :: v_dual_lshlrev_b32 v176, 3, v176
	s_delay_alu instid0(VALU_DEP_1) | instskip(SKIP_1) | instid1(VALU_DEP_2)
	v_or_b32_e32 v164, v164, v165
	v_and_b32_e32 v177, 7, v165
	v_cmp_ne_u32_e32 vcc_lo, 0, v164
	v_and_b32_e32 v167, 0x80, v167
	s_delay_alu instid0(VALU_DEP_1) | instskip(NEXT) | instid1(VALU_DEP_1)
	v_or3_b32 v165, v176, v167, v177
	v_cndmask_b32_e32 v164, 0, v165, vcc_lo
.LBB4_8974:                             ;   in Loop: Header=BB4_8714 Depth=3
	s_or_b32 exec_lo, exec_lo, s34
.LBB4_8975:                             ;   in Loop: Header=BB4_8714 Depth=3
	s_delay_alu instid0(SALU_CYCLE_1) | instskip(NEXT) | instid1(SALU_CYCLE_1)
	s_or_b32 exec_lo, exec_lo, s31
	s_and_not1_b32 vcc_lo, exec_lo, s16
	s_cbranch_vccnz .LBB4_8985
; %bb.8976:                             ;   in Loop: Header=BB4_8714 Depth=3
	v_and_b32_e32 v167, 0xff, v162
	s_mov_b32 s13, 0
	s_mov_b32 s34, exec_lo
                                        ; implicit-def: $sgpr31
	s_delay_alu instid0(VALU_DEP_1)
	v_cmpx_lt_i16_e64 0x7f, v167
	s_xor_b32 s34, exec_lo, s34
	s_cbranch_execnz .LBB4_9320
; %bb.8977:                             ;   in Loop: Header=BB4_8714 Depth=3
	s_or_saveexec_b32 s34, s34
	v_mov_b32_e32 v165, s31
	s_xor_b32 exec_lo, exec_lo, s34
	s_cbranch_execnz .LBB4_9323
.LBB4_8978:                             ;   in Loop: Header=BB4_8714 Depth=3
	s_or_b32 exec_lo, exec_lo, s34
	s_and_saveexec_b32 s31, s13
	s_cbranch_execz .LBB4_8980
.LBB4_8979:                             ;   in Loop: Header=BB4_8714 Depth=3
	v_and_b32_e32 v165, 7, v162
	v_lshrrev_b16 v177, 3, v162
	s_delay_alu instid0(VALU_DEP_2) | instskip(NEXT) | instid1(VALU_DEP_2)
	v_clz_i32_u32_e32 v167, v165
	v_and_b32_e32 v177, 15, v177
	s_delay_alu instid0(VALU_DEP_2) | instskip(NEXT) | instid1(VALU_DEP_2)
	v_min_u32_e32 v167, 32, v167
	v_cmp_eq_u32_e32 vcc_lo, 0, v177
	s_delay_alu instid0(VALU_DEP_2) | instskip(SKIP_1) | instid1(VALU_DEP_1)
	v_subrev_nc_u32_e32 v176, 28, v167
	v_sub_nc_u32_e32 v167, 29, v167
	v_dual_cndmask_b32 v167, v177, v167 :: v_dual_lshlrev_b32 v176, v176, v162
	s_delay_alu instid0(VALU_DEP_1) | instskip(SKIP_1) | instid1(VALU_DEP_3)
	v_and_b32_e32 v176, 7, v176
	v_lshlrev_b32_e32 v178, 24, v162
	v_lshl_add_u32 v167, v167, 23, 0x3b800000
	s_delay_alu instid0(VALU_DEP_2) | instskip(NEXT) | instid1(VALU_DEP_1)
	v_dual_cndmask_b32 v165, v165, v176 :: v_dual_and_b32 v176, 0x80000000, v178
	v_lshlrev_b32_e32 v165, 20, v165
	s_delay_alu instid0(VALU_DEP_1)
	v_or3_b32 v165, v176, v167, v165
.LBB4_8980:                             ;   in Loop: Header=BB4_8714 Depth=3
	s_or_b32 exec_lo, exec_lo, s31
	s_waitcnt vmcnt(6) lgkmcnt(6)
	v_and_b32_e32 v176, 0xff, v161
	s_mov_b32 s13, 0
	s_mov_b32 s34, exec_lo
                                        ; implicit-def: $sgpr31
	s_delay_alu instid0(VALU_DEP_1)
	v_cmpx_lt_i16_e64 0x7f, v176
	s_xor_b32 s34, exec_lo, s34
	s_cbranch_execnz .LBB4_9324
; %bb.8981:                             ;   in Loop: Header=BB4_8714 Depth=3
	s_or_saveexec_b32 s34, s34
	v_mov_b32_e32 v167, s31
	s_xor_b32 exec_lo, exec_lo, s34
	s_cbranch_execnz .LBB4_9327
.LBB4_8982:                             ;   in Loop: Header=BB4_8714 Depth=3
	s_or_b32 exec_lo, exec_lo, s34
	s_and_saveexec_b32 s31, s13
	s_cbranch_execz .LBB4_8984
.LBB4_8983:                             ;   in Loop: Header=BB4_8714 Depth=3
	v_lshrrev_b16 v178, 3, v161
	v_lshlrev_b32_e32 v179, 24, v161
	s_delay_alu instid0(VALU_DEP_2) | instskip(NEXT) | instid1(VALU_DEP_1)
	v_and_b32_e32 v178, 15, v178
	v_cmp_eq_u32_e32 vcc_lo, 0, v178
	v_and_b32_e32 v167, 7, v161
	s_delay_alu instid0(VALU_DEP_1) | instskip(NEXT) | instid1(VALU_DEP_1)
	v_clz_i32_u32_e32 v176, v167
	v_min_u32_e32 v176, 32, v176
	s_delay_alu instid0(VALU_DEP_1) | instskip(SKIP_1) | instid1(VALU_DEP_1)
	v_subrev_nc_u32_e32 v177, 28, v176
	v_sub_nc_u32_e32 v176, 29, v176
	v_dual_cndmask_b32 v176, v178, v176 :: v_dual_lshlrev_b32 v177, v177, v161
	s_delay_alu instid0(VALU_DEP_1) | instskip(NEXT) | instid1(VALU_DEP_2)
	v_and_b32_e32 v177, 7, v177
	v_lshl_add_u32 v176, v176, 23, 0x3b800000
	s_delay_alu instid0(VALU_DEP_2) | instskip(SKIP_1) | instid1(VALU_DEP_2)
	v_cndmask_b32_e32 v167, v167, v177, vcc_lo
	v_and_b32_e32 v177, 0x80000000, v179
	v_lshlrev_b32_e32 v167, 20, v167
	s_delay_alu instid0(VALU_DEP_1)
	v_or3_b32 v167, v177, v176, v167
.LBB4_8984:                             ;   in Loop: Header=BB4_8714 Depth=3
	s_or_b32 exec_lo, exec_lo, s31
	s_delay_alu instid0(VALU_DEP_1) | instskip(SKIP_2) | instid1(VALU_DEP_1)
	v_max_f32_e32 v167, v167, v167
	v_max_f32_e32 v165, v165, v165
	s_mov_b32 s13, 0
	v_max_f32_e32 v165, v165, v167
	s_branch .LBB4_8986
.LBB4_8985:                             ;   in Loop: Header=BB4_8714 Depth=3
	s_mov_b32 s13, -1
                                        ; implicit-def: $vgpr165
.LBB4_8986:                             ;   in Loop: Header=BB4_8714 Depth=3
	s_delay_alu instid0(SALU_CYCLE_1)
	s_and_b32 vcc_lo, exec_lo, s13
	s_cbranch_vccz .LBB4_8996
; %bb.8987:                             ;   in Loop: Header=BB4_8714 Depth=3
	v_and_b32_e32 v167, 0xff, v162
	s_mov_b32 s13, 0
	s_mov_b32 s34, exec_lo
                                        ; implicit-def: $sgpr31
	s_delay_alu instid0(VALU_DEP_1)
	v_cmpx_lt_i16_e64 0x7f, v167
	s_xor_b32 s34, exec_lo, s34
	s_cbranch_execnz .LBB4_9328
; %bb.8988:                             ;   in Loop: Header=BB4_8714 Depth=3
	s_or_saveexec_b32 s34, s34
	v_mov_b32_e32 v165, s31
	s_xor_b32 exec_lo, exec_lo, s34
	s_cbranch_execnz .LBB4_9331
.LBB4_8989:                             ;   in Loop: Header=BB4_8714 Depth=3
	s_or_b32 exec_lo, exec_lo, s34
	s_and_saveexec_b32 s31, s13
	s_cbranch_execz .LBB4_8991
.LBB4_8990:                             ;   in Loop: Header=BB4_8714 Depth=3
	v_and_b32_e32 v165, 7, v162
	v_lshrrev_b16 v177, 3, v162
	s_delay_alu instid0(VALU_DEP_2) | instskip(NEXT) | instid1(VALU_DEP_2)
	v_clz_i32_u32_e32 v167, v165
	v_and_b32_e32 v177, 15, v177
	s_delay_alu instid0(VALU_DEP_2) | instskip(NEXT) | instid1(VALU_DEP_2)
	v_min_u32_e32 v167, 32, v167
	v_cmp_eq_u32_e32 vcc_lo, 0, v177
	s_delay_alu instid0(VALU_DEP_2) | instskip(SKIP_1) | instid1(VALU_DEP_1)
	v_subrev_nc_u32_e32 v176, 28, v167
	v_sub_nc_u32_e32 v167, 29, v167
	v_dual_cndmask_b32 v167, v177, v167 :: v_dual_lshlrev_b32 v176, v176, v162
	s_delay_alu instid0(VALU_DEP_1) | instskip(SKIP_1) | instid1(VALU_DEP_3)
	v_and_b32_e32 v176, 7, v176
	v_lshlrev_b32_e32 v162, 24, v162
	v_lshl_add_u32 v167, v167, 23, 0x3b800000
	s_delay_alu instid0(VALU_DEP_2) | instskip(NEXT) | instid1(VALU_DEP_1)
	v_dual_cndmask_b32 v165, v165, v176 :: v_dual_and_b32 v162, 0x80000000, v162
	v_lshlrev_b32_e32 v165, 20, v165
	s_delay_alu instid0(VALU_DEP_1)
	v_or3_b32 v165, v162, v167, v165
.LBB4_8991:                             ;   in Loop: Header=BB4_8714 Depth=3
	s_or_b32 exec_lo, exec_lo, s31
	s_waitcnt vmcnt(6) lgkmcnt(6)
	v_and_b32_e32 v167, 0xff, v161
	s_mov_b32 s13, 0
	s_mov_b32 s34, exec_lo
                                        ; implicit-def: $sgpr31
	s_delay_alu instid0(VALU_DEP_1)
	v_cmpx_lt_i16_e64 0x7f, v167
	s_xor_b32 s34, exec_lo, s34
	s_cbranch_execnz .LBB4_9332
; %bb.8992:                             ;   in Loop: Header=BB4_8714 Depth=3
	s_or_saveexec_b32 s34, s34
	v_mov_b32_e32 v162, s31
	s_xor_b32 exec_lo, exec_lo, s34
	s_cbranch_execnz .LBB4_9335
.LBB4_8993:                             ;   in Loop: Header=BB4_8714 Depth=3
	s_or_b32 exec_lo, exec_lo, s34
	s_and_saveexec_b32 s31, s13
	s_cbranch_execz .LBB4_8995
.LBB4_8994:                             ;   in Loop: Header=BB4_8714 Depth=3
	v_lshrrev_b16 v177, 3, v161
	s_delay_alu instid0(VALU_DEP_1) | instskip(NEXT) | instid1(VALU_DEP_1)
	v_and_b32_e32 v177, 15, v177
	v_cmp_eq_u32_e32 vcc_lo, 0, v177
	v_and_b32_e32 v162, 7, v161
	s_delay_alu instid0(VALU_DEP_1) | instskip(NEXT) | instid1(VALU_DEP_1)
	v_clz_i32_u32_e32 v167, v162
	v_min_u32_e32 v167, 32, v167
	s_delay_alu instid0(VALU_DEP_1) | instskip(SKIP_1) | instid1(VALU_DEP_1)
	v_subrev_nc_u32_e32 v176, 28, v167
	v_sub_nc_u32_e32 v167, 29, v167
	v_dual_cndmask_b32 v167, v177, v167 :: v_dual_lshlrev_b32 v176, v176, v161
	v_lshlrev_b32_e32 v161, 24, v161
	s_delay_alu instid0(VALU_DEP_2) | instskip(NEXT) | instid1(VALU_DEP_3)
	v_and_b32_e32 v176, 7, v176
	v_lshl_add_u32 v167, v167, 23, 0x3b800000
	s_delay_alu instid0(VALU_DEP_2) | instskip(NEXT) | instid1(VALU_DEP_1)
	v_dual_cndmask_b32 v162, v162, v176 :: v_dual_and_b32 v161, 0x80000000, v161
	v_lshlrev_b32_e32 v162, 20, v162
	s_delay_alu instid0(VALU_DEP_1)
	v_or3_b32 v162, v161, v167, v162
.LBB4_8995:                             ;   in Loop: Header=BB4_8714 Depth=3
	s_or_b32 exec_lo, exec_lo, s31
	s_delay_alu instid0(VALU_DEP_1) | instskip(NEXT) | instid1(VALU_DEP_1)
	v_dual_max_f32 v161, v162, v162 :: v_dual_max_f32 v162, v165, v165
	v_min_f32_e32 v165, v162, v161
.LBB4_8996:                             ;   in Loop: Header=BB4_8714 Depth=3
	s_waitcnt vmcnt(6) lgkmcnt(6)
	s_delay_alu instid0(VALU_DEP_1) | instskip(NEXT) | instid1(VALU_DEP_1)
	v_and_b32_e32 v161, 0x7f800000, v165
	v_cmp_ne_u32_e32 vcc_lo, 0x7f800000, v161
	v_mov_b32_e32 v161, 0x80
	s_and_saveexec_b32 s31, vcc_lo
	s_cbranch_execz .LBB4_9004
; %bb.8997:                             ;   in Loop: Header=BB4_8714 Depth=3
	v_mov_b32_e32 v161, 0
	s_mov_b32 s34, exec_lo
	v_cmpx_ne_u32_e32 0, v165
	s_cbranch_execz .LBB4_9003
; %bb.8998:                             ;   in Loop: Header=BB4_8714 Depth=3
	v_bfe_u32 v161, v165, 23, 8
	s_delay_alu instid0(VALU_DEP_1) | instskip(SKIP_1) | instid1(VALU_DEP_2)
	v_sub_nc_u32_e32 v167, 0x78, v161
	v_cmp_gt_u32_e32 vcc_lo, 0x79, v161
	v_dual_cndmask_b32 v167, 0, v167 :: v_dual_and_b32 v162, 0x7fffff, v165
	s_delay_alu instid0(VALU_DEP_1) | instskip(SKIP_2) | instid1(VALU_DEP_4)
	v_or_b32_e32 v176, 0x800000, v162
	v_cmp_eq_u32_e32 vcc_lo, 0, v161
	v_add_nc_u32_e32 v161, 0xffffff89, v161
	v_cndmask_b32_e64 v167, v167, 0x77, vcc_lo
	s_delay_alu instid0(VALU_DEP_4) | instskip(NEXT) | instid1(VALU_DEP_3)
	v_cndmask_b32_e32 v162, v176, v162, vcc_lo
	v_cndmask_b32_e64 v161, v161, 0xffffff8a, vcc_lo
	s_delay_alu instid0(VALU_DEP_3) | instskip(NEXT) | instid1(VALU_DEP_3)
	v_lshl_add_u32 v176, 0x100000, v167, -1
	v_lshrrev_b32_e32 v177, v167, v162
	v_lshlrev_b32_e64 v179, v167, 0x80000
	s_delay_alu instid0(VALU_DEP_4) | instskip(NEXT) | instid1(VALU_DEP_4)
	v_add_nc_u32_e32 v167, v167, v161
	v_and_b32_e32 v162, v176, v162
	s_delay_alu instid0(VALU_DEP_4) | instskip(NEXT) | instid1(VALU_DEP_2)
	v_bfe_u32 v178, v177, 20, 1
	v_cmp_eq_u32_e64 s13, v162, v179
	s_delay_alu instid0(VALU_DEP_2) | instskip(NEXT) | instid1(VALU_DEP_1)
	v_add_nc_u32_e32 v176, -1, v178
	v_cndmask_b32_e64 v162, 0, v176, s13
	v_lshrrev_b32_e32 v176, 23, v177
	s_mov_b32 s13, exec_lo
	s_delay_alu instid0(VALU_DEP_2) | instskip(NEXT) | instid1(VALU_DEP_2)
	v_add_nc_u32_e32 v162, v162, v177
	v_xor_b32_e32 v176, 1, v176
	s_delay_alu instid0(VALU_DEP_2) | instskip(NEXT) | instid1(VALU_DEP_1)
	v_and_b32_e32 v161, 0xfffff, v162
	v_add_nc_u32_e32 v162, v161, v177
                                        ; implicit-def: $vgpr161
	s_delay_alu instid0(VALU_DEP_3)
	v_cmpx_ne_u32_e64 v167, v176
	s_xor_b32 s13, exec_lo, s13
; %bb.8999:                             ;   in Loop: Header=BB4_8714 Depth=3
	s_delay_alu instid0(VALU_DEP_2) | instskip(SKIP_2) | instid1(VALU_DEP_2)
	v_cmp_lt_u32_e32 vcc_lo, 0xffffff, v162
	v_sub_nc_u32_e32 v161, v167, v176
	v_cndmask_b32_e64 v167, 0, 1, vcc_lo
	v_add_co_ci_u32_e32 v161, vcc_lo, 0, v161, vcc_lo
	s_delay_alu instid0(VALU_DEP_2)
	v_lshrrev_b32_e32 v162, v167, v162
; %bb.9000:                             ;   in Loop: Header=BB4_8714 Depth=3
	s_and_not1_saveexec_b32 s13, s13
; %bb.9001:                             ;   in Loop: Header=BB4_8714 Depth=3
	s_delay_alu instid0(VALU_DEP_1)
	v_bfe_u32 v161, v162, 23, 1
; %bb.9002:                             ;   in Loop: Header=BB4_8714 Depth=3
	s_or_b32 exec_lo, exec_lo, s13
	v_lshrrev_b32_e32 v162, 20, v162
	s_delay_alu instid0(VALU_DEP_2) | instskip(SKIP_2) | instid1(VALU_DEP_2)
	v_cmp_gt_i32_e32 vcc_lo, 16, v161
	v_lshrrev_b32_e32 v165, 24, v165
	v_min_i32_e32 v167, 15, v161
	v_dual_cndmask_b32 v162, 7, v162 :: v_dual_and_b32 v165, 0x80, v165
	s_delay_alu instid0(VALU_DEP_2) | instskip(NEXT) | instid1(VALU_DEP_2)
	v_lshlrev_b32_e32 v167, 3, v167
	v_and_b32_e32 v176, 7, v162
	v_or_b32_e32 v161, v161, v162
	s_delay_alu instid0(VALU_DEP_2) | instskip(NEXT) | instid1(VALU_DEP_2)
	v_or3_b32 v162, v167, v165, v176
	v_cmp_ne_u32_e32 vcc_lo, 0, v161
	s_delay_alu instid0(VALU_DEP_2)
	v_cndmask_b32_e32 v161, 0, v162, vcc_lo
.LBB4_9003:                             ;   in Loop: Header=BB4_8714 Depth=3
	s_or_b32 exec_lo, exec_lo, s34
.LBB4_9004:                             ;   in Loop: Header=BB4_8714 Depth=3
	s_delay_alu instid0(SALU_CYCLE_1) | instskip(NEXT) | instid1(SALU_CYCLE_1)
	s_or_b32 exec_lo, exec_lo, s31
	s_and_not1_b32 vcc_lo, exec_lo, s16
	s_cbranch_vccnz .LBB4_9014
; %bb.9005:                             ;   in Loop: Header=BB4_8714 Depth=3
	v_and_b32_e32 v165, 0xff, v151
	s_mov_b32 s13, 0
	s_mov_b32 s34, exec_lo
                                        ; implicit-def: $sgpr31
	s_delay_alu instid0(VALU_DEP_1)
	v_cmpx_lt_i16_e64 0x7f, v165
	s_xor_b32 s34, exec_lo, s34
	s_cbranch_execnz .LBB4_9336
; %bb.9006:                             ;   in Loop: Header=BB4_8714 Depth=3
	s_or_saveexec_b32 s34, s34
	v_mov_b32_e32 v162, s31
	s_xor_b32 exec_lo, exec_lo, s34
	s_cbranch_execnz .LBB4_9339
.LBB4_9007:                             ;   in Loop: Header=BB4_8714 Depth=3
	s_or_b32 exec_lo, exec_lo, s34
	s_and_saveexec_b32 s31, s13
	s_cbranch_execz .LBB4_9009
.LBB4_9008:                             ;   in Loop: Header=BB4_8714 Depth=3
	v_lshrrev_b16 v176, 3, v151
	v_lshlrev_b32_e32 v177, 24, v151
	s_delay_alu instid0(VALU_DEP_2) | instskip(NEXT) | instid1(VALU_DEP_1)
	v_and_b32_e32 v176, 15, v176
	v_cmp_eq_u32_e32 vcc_lo, 0, v176
	v_and_b32_e32 v162, 7, v151
	s_delay_alu instid0(VALU_DEP_1) | instskip(NEXT) | instid1(VALU_DEP_1)
	v_clz_i32_u32_e32 v165, v162
	v_min_u32_e32 v165, 32, v165
	s_delay_alu instid0(VALU_DEP_1) | instskip(SKIP_1) | instid1(VALU_DEP_2)
	v_subrev_nc_u32_e32 v167, 28, v165
	v_sub_nc_u32_e32 v165, 29, v165
	v_lshlrev_b32_e32 v167, v167, v151
	s_delay_alu instid0(VALU_DEP_2) | instskip(NEXT) | instid1(VALU_DEP_2)
	v_cndmask_b32_e32 v165, v176, v165, vcc_lo
	v_and_b32_e32 v167, 7, v167
	s_delay_alu instid0(VALU_DEP_2) | instskip(NEXT) | instid1(VALU_DEP_2)
	v_lshl_add_u32 v165, v165, 23, 0x3b800000
	v_dual_cndmask_b32 v162, v162, v167 :: v_dual_and_b32 v167, 0x80000000, v177
	s_delay_alu instid0(VALU_DEP_1) | instskip(NEXT) | instid1(VALU_DEP_1)
	v_lshlrev_b32_e32 v162, 20, v162
	v_or3_b32 v162, v167, v165, v162
.LBB4_9009:                             ;   in Loop: Header=BB4_8714 Depth=3
	s_or_b32 exec_lo, exec_lo, s31
	s_waitcnt vmcnt(5) lgkmcnt(5)
	v_and_b32_e32 v167, 0xff, v150
	s_mov_b32 s13, 0
	s_mov_b32 s34, exec_lo
                                        ; implicit-def: $sgpr31
	s_delay_alu instid0(VALU_DEP_1)
	v_cmpx_lt_i16_e64 0x7f, v167
	s_xor_b32 s34, exec_lo, s34
	s_cbranch_execnz .LBB4_9340
; %bb.9010:                             ;   in Loop: Header=BB4_8714 Depth=3
	s_or_saveexec_b32 s34, s34
	v_mov_b32_e32 v165, s31
	s_xor_b32 exec_lo, exec_lo, s34
	s_cbranch_execnz .LBB4_9343
.LBB4_9011:                             ;   in Loop: Header=BB4_8714 Depth=3
	s_or_b32 exec_lo, exec_lo, s34
	s_and_saveexec_b32 s31, s13
	s_cbranch_execz .LBB4_9013
.LBB4_9012:                             ;   in Loop: Header=BB4_8714 Depth=3
	v_and_b32_e32 v165, 7, v150
	v_lshrrev_b16 v177, 3, v150
	s_delay_alu instid0(VALU_DEP_2) | instskip(NEXT) | instid1(VALU_DEP_2)
	v_clz_i32_u32_e32 v167, v165
	v_and_b32_e32 v177, 15, v177
	s_delay_alu instid0(VALU_DEP_2) | instskip(NEXT) | instid1(VALU_DEP_2)
	v_min_u32_e32 v167, 32, v167
	v_cmp_eq_u32_e32 vcc_lo, 0, v177
	s_delay_alu instid0(VALU_DEP_2) | instskip(SKIP_1) | instid1(VALU_DEP_1)
	v_subrev_nc_u32_e32 v176, 28, v167
	v_sub_nc_u32_e32 v167, 29, v167
	v_dual_cndmask_b32 v167, v177, v167 :: v_dual_lshlrev_b32 v176, v176, v150
	s_delay_alu instid0(VALU_DEP_1) | instskip(SKIP_1) | instid1(VALU_DEP_3)
	v_and_b32_e32 v176, 7, v176
	v_lshlrev_b32_e32 v178, 24, v150
	v_lshl_add_u32 v167, v167, 23, 0x3b800000
	s_delay_alu instid0(VALU_DEP_2) | instskip(NEXT) | instid1(VALU_DEP_1)
	v_dual_cndmask_b32 v165, v165, v176 :: v_dual_and_b32 v176, 0x80000000, v178
	v_lshlrev_b32_e32 v165, 20, v165
	s_delay_alu instid0(VALU_DEP_1)
	v_or3_b32 v165, v176, v167, v165
.LBB4_9013:                             ;   in Loop: Header=BB4_8714 Depth=3
	s_or_b32 exec_lo, exec_lo, s31
	s_delay_alu instid0(VALU_DEP_1) | instskip(SKIP_1) | instid1(VALU_DEP_1)
	v_dual_max_f32 v165, v165, v165 :: v_dual_max_f32 v162, v162, v162
	s_mov_b32 s13, 0
	v_max_f32_e32 v162, v162, v165
	s_branch .LBB4_9015
.LBB4_9014:                             ;   in Loop: Header=BB4_8714 Depth=3
	s_mov_b32 s13, -1
                                        ; implicit-def: $vgpr162
.LBB4_9015:                             ;   in Loop: Header=BB4_8714 Depth=3
	s_delay_alu instid0(SALU_CYCLE_1)
	s_and_b32 vcc_lo, exec_lo, s13
	s_cbranch_vccz .LBB4_9025
; %bb.9016:                             ;   in Loop: Header=BB4_8714 Depth=3
	v_and_b32_e32 v165, 0xff, v151
	s_mov_b32 s13, 0
	s_mov_b32 s34, exec_lo
                                        ; implicit-def: $sgpr31
	s_delay_alu instid0(VALU_DEP_1)
	v_cmpx_lt_i16_e64 0x7f, v165
	s_xor_b32 s34, exec_lo, s34
	s_cbranch_execnz .LBB4_9344
; %bb.9017:                             ;   in Loop: Header=BB4_8714 Depth=3
	s_or_saveexec_b32 s34, s34
	v_mov_b32_e32 v162, s31
	s_xor_b32 exec_lo, exec_lo, s34
	s_cbranch_execnz .LBB4_9347
.LBB4_9018:                             ;   in Loop: Header=BB4_8714 Depth=3
	s_or_b32 exec_lo, exec_lo, s34
	s_and_saveexec_b32 s31, s13
	s_cbranch_execz .LBB4_9020
.LBB4_9019:                             ;   in Loop: Header=BB4_8714 Depth=3
	v_lshrrev_b16 v176, 3, v151
	s_delay_alu instid0(VALU_DEP_1) | instskip(NEXT) | instid1(VALU_DEP_1)
	v_and_b32_e32 v176, 15, v176
	v_cmp_eq_u32_e32 vcc_lo, 0, v176
	v_and_b32_e32 v162, 7, v151
	s_delay_alu instid0(VALU_DEP_1) | instskip(NEXT) | instid1(VALU_DEP_1)
	v_clz_i32_u32_e32 v165, v162
	v_min_u32_e32 v165, 32, v165
	s_delay_alu instid0(VALU_DEP_1) | instskip(SKIP_1) | instid1(VALU_DEP_2)
	v_subrev_nc_u32_e32 v167, 28, v165
	v_sub_nc_u32_e32 v165, 29, v165
	v_lshlrev_b32_e32 v167, v167, v151
	s_delay_alu instid0(VALU_DEP_2) | instskip(SKIP_1) | instid1(VALU_DEP_3)
	v_cndmask_b32_e32 v165, v176, v165, vcc_lo
	v_lshlrev_b32_e32 v151, 24, v151
	v_and_b32_e32 v167, 7, v167
	s_delay_alu instid0(VALU_DEP_3) | instskip(NEXT) | instid1(VALU_DEP_3)
	v_lshl_add_u32 v165, v165, 23, 0x3b800000
	v_and_b32_e32 v151, 0x80000000, v151
	s_delay_alu instid0(VALU_DEP_3) | instskip(NEXT) | instid1(VALU_DEP_1)
	v_cndmask_b32_e32 v162, v162, v167, vcc_lo
	v_lshlrev_b32_e32 v162, 20, v162
	s_delay_alu instid0(VALU_DEP_1)
	v_or3_b32 v162, v151, v165, v162
.LBB4_9020:                             ;   in Loop: Header=BB4_8714 Depth=3
	s_or_b32 exec_lo, exec_lo, s31
	s_waitcnt vmcnt(5) lgkmcnt(5)
	v_and_b32_e32 v165, 0xff, v150
	s_mov_b32 s13, 0
	s_mov_b32 s34, exec_lo
                                        ; implicit-def: $sgpr31
	s_delay_alu instid0(VALU_DEP_1)
	v_cmpx_lt_i16_e64 0x7f, v165
	s_xor_b32 s34, exec_lo, s34
	s_cbranch_execnz .LBB4_9348
; %bb.9021:                             ;   in Loop: Header=BB4_8714 Depth=3
	s_or_saveexec_b32 s34, s34
	v_mov_b32_e32 v151, s31
	s_xor_b32 exec_lo, exec_lo, s34
	s_cbranch_execnz .LBB4_9351
.LBB4_9022:                             ;   in Loop: Header=BB4_8714 Depth=3
	s_or_b32 exec_lo, exec_lo, s34
	s_and_saveexec_b32 s31, s13
	s_cbranch_execz .LBB4_9024
.LBB4_9023:                             ;   in Loop: Header=BB4_8714 Depth=3
	v_and_b32_e32 v151, 7, v150
	v_lshrrev_b16 v176, 3, v150
	s_delay_alu instid0(VALU_DEP_2) | instskip(NEXT) | instid1(VALU_DEP_1)
	v_clz_i32_u32_e32 v165, v151
	v_min_u32_e32 v165, 32, v165
	s_delay_alu instid0(VALU_DEP_1) | instskip(SKIP_1) | instid1(VALU_DEP_2)
	v_subrev_nc_u32_e32 v167, 28, v165
	v_sub_nc_u32_e32 v165, 29, v165
	v_lshlrev_b32_e32 v167, v167, v150
	s_delay_alu instid0(VALU_DEP_1) | instskip(SKIP_1) | instid1(VALU_DEP_1)
	v_and_b32_e32 v167, 7, v167
	v_and_b32_e32 v176, 15, v176
	v_cmp_eq_u32_e32 vcc_lo, 0, v176
	s_delay_alu instid0(VALU_DEP_3) | instskip(SKIP_1) | instid1(VALU_DEP_2)
	v_dual_cndmask_b32 v151, v151, v167 :: v_dual_lshlrev_b32 v150, 24, v150
	v_cndmask_b32_e32 v165, v176, v165, vcc_lo
	v_lshlrev_b32_e32 v151, 20, v151
	s_delay_alu instid0(VALU_DEP_3) | instskip(NEXT) | instid1(VALU_DEP_3)
	v_and_b32_e32 v150, 0x80000000, v150
	v_lshl_add_u32 v165, v165, 23, 0x3b800000
	s_delay_alu instid0(VALU_DEP_1)
	v_or3_b32 v151, v150, v165, v151
.LBB4_9024:                             ;   in Loop: Header=BB4_8714 Depth=3
	s_or_b32 exec_lo, exec_lo, s31
	s_delay_alu instid0(VALU_DEP_1) | instskip(NEXT) | instid1(VALU_DEP_1)
	v_dual_max_f32 v150, v151, v151 :: v_dual_max_f32 v151, v162, v162
	v_min_f32_e32 v162, v151, v150
.LBB4_9025:                             ;   in Loop: Header=BB4_8714 Depth=3
	s_waitcnt vmcnt(5) lgkmcnt(5)
	s_delay_alu instid0(VALU_DEP_1) | instskip(NEXT) | instid1(VALU_DEP_1)
	v_and_b32_e32 v150, 0x7f800000, v162
	v_cmp_ne_u32_e32 vcc_lo, 0x7f800000, v150
	v_mov_b32_e32 v150, 0x80
	s_and_saveexec_b32 s31, vcc_lo
	s_cbranch_execz .LBB4_9033
; %bb.9026:                             ;   in Loop: Header=BB4_8714 Depth=3
	v_mov_b32_e32 v150, 0
	s_mov_b32 s34, exec_lo
	v_cmpx_ne_u32_e32 0, v162
	s_cbranch_execz .LBB4_9032
; %bb.9027:                             ;   in Loop: Header=BB4_8714 Depth=3
	v_bfe_u32 v150, v162, 23, 8
	v_and_b32_e32 v151, 0x7fffff, v162
	s_delay_alu instid0(VALU_DEP_2) | instskip(SKIP_1) | instid1(VALU_DEP_3)
	v_sub_nc_u32_e32 v165, 0x78, v150
	v_cmp_gt_u32_e32 vcc_lo, 0x79, v150
	v_or_b32_e32 v167, 0x800000, v151
	s_delay_alu instid0(VALU_DEP_3) | instskip(SKIP_2) | instid1(VALU_DEP_3)
	v_cndmask_b32_e32 v165, 0, v165, vcc_lo
	v_cmp_eq_u32_e32 vcc_lo, 0, v150
	v_add_nc_u32_e32 v150, 0xffffff89, v150
	v_cndmask_b32_e64 v165, v165, 0x77, vcc_lo
	v_cndmask_b32_e32 v151, v167, v151, vcc_lo
	s_delay_alu instid0(VALU_DEP_3) | instskip(NEXT) | instid1(VALU_DEP_3)
	v_cndmask_b32_e64 v150, v150, 0xffffff8a, vcc_lo
	v_lshl_add_u32 v167, 0x100000, v165, -1
	s_delay_alu instid0(VALU_DEP_3) | instskip(SKIP_1) | instid1(VALU_DEP_4)
	v_lshrrev_b32_e32 v176, v165, v151
	v_lshlrev_b32_e64 v178, v165, 0x80000
	v_add_nc_u32_e32 v165, v165, v150
	s_delay_alu instid0(VALU_DEP_4) | instskip(NEXT) | instid1(VALU_DEP_4)
	v_and_b32_e32 v151, v167, v151
	v_bfe_u32 v177, v176, 20, 1
	s_delay_alu instid0(VALU_DEP_2) | instskip(NEXT) | instid1(VALU_DEP_2)
	v_cmp_eq_u32_e64 s13, v151, v178
	v_add_nc_u32_e32 v167, -1, v177
	s_delay_alu instid0(VALU_DEP_1) | instskip(SKIP_2) | instid1(VALU_DEP_2)
	v_cndmask_b32_e64 v151, 0, v167, s13
	v_lshrrev_b32_e32 v167, 23, v176
	s_mov_b32 s13, exec_lo
	v_add_nc_u32_e32 v151, v151, v176
	s_delay_alu instid0(VALU_DEP_2) | instskip(NEXT) | instid1(VALU_DEP_2)
	v_xor_b32_e32 v167, 1, v167
	v_and_b32_e32 v150, 0xfffff, v151
	s_delay_alu instid0(VALU_DEP_1) | instskip(NEXT) | instid1(VALU_DEP_3)
	v_add_nc_u32_e32 v151, v150, v176
                                        ; implicit-def: $vgpr150
	v_cmpx_ne_u32_e64 v165, v167
	s_xor_b32 s13, exec_lo, s13
; %bb.9028:                             ;   in Loop: Header=BB4_8714 Depth=3
	s_delay_alu instid0(VALU_DEP_2) | instskip(SKIP_2) | instid1(VALU_DEP_2)
	v_cmp_lt_u32_e32 vcc_lo, 0xffffff, v151
	v_sub_nc_u32_e32 v150, v165, v167
	v_cndmask_b32_e64 v165, 0, 1, vcc_lo
	v_add_co_ci_u32_e32 v150, vcc_lo, 0, v150, vcc_lo
	s_delay_alu instid0(VALU_DEP_2)
	v_lshrrev_b32_e32 v151, v165, v151
; %bb.9029:                             ;   in Loop: Header=BB4_8714 Depth=3
	s_and_not1_saveexec_b32 s13, s13
; %bb.9030:                             ;   in Loop: Header=BB4_8714 Depth=3
	s_delay_alu instid0(VALU_DEP_1)
	v_bfe_u32 v150, v151, 23, 1
; %bb.9031:                             ;   in Loop: Header=BB4_8714 Depth=3
	s_or_b32 exec_lo, exec_lo, s13
	v_lshrrev_b32_e32 v151, 20, v151
	s_delay_alu instid0(VALU_DEP_2) | instskip(SKIP_2) | instid1(VALU_DEP_2)
	v_cmp_gt_i32_e32 vcc_lo, 16, v150
	v_lshrrev_b32_e32 v162, 24, v162
	v_min_i32_e32 v165, 15, v150
	v_dual_cndmask_b32 v151, 7, v151 :: v_dual_and_b32 v162, 0x80, v162
	s_delay_alu instid0(VALU_DEP_1) | instskip(SKIP_1) | instid1(VALU_DEP_2)
	v_or_b32_e32 v150, v150, v151
	v_and_b32_e32 v167, 7, v151
	v_cmp_ne_u32_e32 vcc_lo, 0, v150
	v_lshlrev_b32_e32 v165, 3, v165
	s_delay_alu instid0(VALU_DEP_1) | instskip(NEXT) | instid1(VALU_DEP_1)
	v_or3_b32 v151, v165, v162, v167
	v_cndmask_b32_e32 v150, 0, v151, vcc_lo
.LBB4_9032:                             ;   in Loop: Header=BB4_8714 Depth=3
	s_or_b32 exec_lo, exec_lo, s34
.LBB4_9033:                             ;   in Loop: Header=BB4_8714 Depth=3
	s_delay_alu instid0(SALU_CYCLE_1) | instskip(NEXT) | instid1(SALU_CYCLE_1)
	s_or_b32 exec_lo, exec_lo, s31
	s_and_not1_b32 vcc_lo, exec_lo, s16
	s_cbranch_vccnz .LBB4_9043
; %bb.9034:                             ;   in Loop: Header=BB4_8714 Depth=3
	v_and_b32_e32 v162, 0xff, v85
	s_mov_b32 s13, 0
	s_mov_b32 s34, exec_lo
                                        ; implicit-def: $sgpr31
	s_delay_alu instid0(VALU_DEP_1)
	v_cmpx_lt_i16_e64 0x7f, v162
	s_xor_b32 s34, exec_lo, s34
	s_cbranch_execnz .LBB4_9352
; %bb.9035:                             ;   in Loop: Header=BB4_8714 Depth=3
	s_or_saveexec_b32 s34, s34
	v_mov_b32_e32 v151, s31
	s_xor_b32 exec_lo, exec_lo, s34
	s_cbranch_execnz .LBB4_9355
.LBB4_9036:                             ;   in Loop: Header=BB4_8714 Depth=3
	s_or_b32 exec_lo, exec_lo, s34
	s_and_saveexec_b32 s31, s13
	s_cbranch_execz .LBB4_9038
.LBB4_9037:                             ;   in Loop: Header=BB4_8714 Depth=3
	v_lshrrev_b16 v167, 3, v85
	v_lshlrev_b32_e32 v176, 24, v85
	s_delay_alu instid0(VALU_DEP_2) | instskip(NEXT) | instid1(VALU_DEP_1)
	v_and_b32_e32 v167, 15, v167
	v_cmp_eq_u32_e32 vcc_lo, 0, v167
	v_and_b32_e32 v151, 7, v85
	s_delay_alu instid0(VALU_DEP_1) | instskip(NEXT) | instid1(VALU_DEP_1)
	v_clz_i32_u32_e32 v162, v151
	v_min_u32_e32 v162, 32, v162
	s_delay_alu instid0(VALU_DEP_1) | instskip(SKIP_1) | instid1(VALU_DEP_1)
	v_subrev_nc_u32_e32 v165, 28, v162
	v_sub_nc_u32_e32 v162, 29, v162
	v_dual_cndmask_b32 v162, v167, v162 :: v_dual_lshlrev_b32 v165, v165, v85
	s_delay_alu instid0(VALU_DEP_1) | instskip(NEXT) | instid1(VALU_DEP_2)
	v_and_b32_e32 v165, 7, v165
	v_lshl_add_u32 v162, v162, 23, 0x3b800000
	s_delay_alu instid0(VALU_DEP_2) | instskip(SKIP_1) | instid1(VALU_DEP_2)
	v_cndmask_b32_e32 v151, v151, v165, vcc_lo
	v_and_b32_e32 v165, 0x80000000, v176
	v_lshlrev_b32_e32 v151, 20, v151
	s_delay_alu instid0(VALU_DEP_1)
	v_or3_b32 v151, v165, v162, v151
.LBB4_9038:                             ;   in Loop: Header=BB4_8714 Depth=3
	s_or_b32 exec_lo, exec_lo, s31
	s_waitcnt vmcnt(4) lgkmcnt(4)
	v_and_b32_e32 v165, 0xff, v84
	s_mov_b32 s13, 0
	s_mov_b32 s34, exec_lo
                                        ; implicit-def: $sgpr31
	s_delay_alu instid0(VALU_DEP_1)
	v_cmpx_lt_i16_e64 0x7f, v165
	s_xor_b32 s34, exec_lo, s34
	s_cbranch_execnz .LBB4_9356
; %bb.9039:                             ;   in Loop: Header=BB4_8714 Depth=3
	s_or_saveexec_b32 s34, s34
	v_mov_b32_e32 v162, s31
	s_xor_b32 exec_lo, exec_lo, s34
	s_cbranch_execnz .LBB4_9359
.LBB4_9040:                             ;   in Loop: Header=BB4_8714 Depth=3
	s_or_b32 exec_lo, exec_lo, s34
	s_and_saveexec_b32 s31, s13
	s_cbranch_execz .LBB4_9042
.LBB4_9041:                             ;   in Loop: Header=BB4_8714 Depth=3
	v_lshrrev_b16 v176, 3, v84
	s_delay_alu instid0(VALU_DEP_1) | instskip(NEXT) | instid1(VALU_DEP_1)
	v_and_b32_e32 v176, 15, v176
	v_cmp_eq_u32_e32 vcc_lo, 0, v176
	v_and_b32_e32 v162, 7, v84
	s_delay_alu instid0(VALU_DEP_1) | instskip(NEXT) | instid1(VALU_DEP_1)
	v_clz_i32_u32_e32 v165, v162
	v_min_u32_e32 v165, 32, v165
	s_delay_alu instid0(VALU_DEP_1) | instskip(SKIP_1) | instid1(VALU_DEP_2)
	v_subrev_nc_u32_e32 v167, 28, v165
	v_sub_nc_u32_e32 v165, 29, v165
	v_lshlrev_b32_e32 v167, v167, v84
	s_delay_alu instid0(VALU_DEP_2) | instskip(NEXT) | instid1(VALU_DEP_2)
	v_cndmask_b32_e32 v165, v176, v165, vcc_lo
	v_and_b32_e32 v167, 7, v167
	v_lshlrev_b32_e32 v177, 24, v84
	s_delay_alu instid0(VALU_DEP_3) | instskip(NEXT) | instid1(VALU_DEP_2)
	v_lshl_add_u32 v165, v165, 23, 0x3b800000
	v_dual_cndmask_b32 v162, v162, v167 :: v_dual_and_b32 v167, 0x80000000, v177
	s_delay_alu instid0(VALU_DEP_1) | instskip(NEXT) | instid1(VALU_DEP_1)
	v_lshlrev_b32_e32 v162, 20, v162
	v_or3_b32 v162, v167, v165, v162
.LBB4_9042:                             ;   in Loop: Header=BB4_8714 Depth=3
	s_or_b32 exec_lo, exec_lo, s31
	s_delay_alu instid0(VALU_DEP_1) | instskip(SKIP_1) | instid1(VALU_DEP_1)
	v_dual_max_f32 v162, v162, v162 :: v_dual_max_f32 v151, v151, v151
	s_mov_b32 s13, 0
	v_max_f32_e32 v151, v151, v162
	s_branch .LBB4_9044
.LBB4_9043:                             ;   in Loop: Header=BB4_8714 Depth=3
	s_mov_b32 s13, -1
                                        ; implicit-def: $vgpr151
.LBB4_9044:                             ;   in Loop: Header=BB4_8714 Depth=3
	s_delay_alu instid0(SALU_CYCLE_1)
	s_and_b32 vcc_lo, exec_lo, s13
	s_cbranch_vccz .LBB4_9054
; %bb.9045:                             ;   in Loop: Header=BB4_8714 Depth=3
	v_and_b32_e32 v162, 0xff, v85
	s_mov_b32 s13, 0
	s_mov_b32 s34, exec_lo
                                        ; implicit-def: $sgpr31
	s_delay_alu instid0(VALU_DEP_1)
	v_cmpx_lt_i16_e64 0x7f, v162
	s_xor_b32 s34, exec_lo, s34
	s_cbranch_execnz .LBB4_9360
; %bb.9046:                             ;   in Loop: Header=BB4_8714 Depth=3
	s_or_saveexec_b32 s34, s34
	v_mov_b32_e32 v151, s31
	s_xor_b32 exec_lo, exec_lo, s34
	s_cbranch_execnz .LBB4_9363
.LBB4_9047:                             ;   in Loop: Header=BB4_8714 Depth=3
	s_or_b32 exec_lo, exec_lo, s34
	s_and_saveexec_b32 s31, s13
	s_cbranch_execz .LBB4_9049
.LBB4_9048:                             ;   in Loop: Header=BB4_8714 Depth=3
	v_lshrrev_b16 v167, 3, v85
	s_delay_alu instid0(VALU_DEP_1) | instskip(NEXT) | instid1(VALU_DEP_1)
	v_and_b32_e32 v167, 15, v167
	v_cmp_eq_u32_e32 vcc_lo, 0, v167
	v_and_b32_e32 v151, 7, v85
	s_delay_alu instid0(VALU_DEP_1) | instskip(NEXT) | instid1(VALU_DEP_1)
	v_clz_i32_u32_e32 v162, v151
	v_min_u32_e32 v162, 32, v162
	s_delay_alu instid0(VALU_DEP_1) | instskip(SKIP_1) | instid1(VALU_DEP_1)
	v_subrev_nc_u32_e32 v165, 28, v162
	v_sub_nc_u32_e32 v162, 29, v162
	v_dual_cndmask_b32 v162, v167, v162 :: v_dual_lshlrev_b32 v165, v165, v85
	v_lshlrev_b32_e32 v85, 24, v85
	s_delay_alu instid0(VALU_DEP_2) | instskip(NEXT) | instid1(VALU_DEP_3)
	v_and_b32_e32 v165, 7, v165
	v_lshl_add_u32 v162, v162, 23, 0x3b800000
	s_delay_alu instid0(VALU_DEP_3) | instskip(NEXT) | instid1(VALU_DEP_3)
	v_and_b32_e32 v85, 0x80000000, v85
	v_cndmask_b32_e32 v151, v151, v165, vcc_lo
	s_delay_alu instid0(VALU_DEP_1) | instskip(NEXT) | instid1(VALU_DEP_1)
	v_lshlrev_b32_e32 v151, 20, v151
	v_or3_b32 v151, v85, v162, v151
.LBB4_9049:                             ;   in Loop: Header=BB4_8714 Depth=3
	s_or_b32 exec_lo, exec_lo, s31
	s_waitcnt vmcnt(4) lgkmcnt(4)
	v_and_b32_e32 v162, 0xff, v84
	s_mov_b32 s13, 0
	s_mov_b32 s34, exec_lo
                                        ; implicit-def: $sgpr31
	s_delay_alu instid0(VALU_DEP_1)
	v_cmpx_lt_i16_e64 0x7f, v162
	s_xor_b32 s34, exec_lo, s34
	s_cbranch_execnz .LBB4_9364
; %bb.9050:                             ;   in Loop: Header=BB4_8714 Depth=3
	s_or_saveexec_b32 s34, s34
	v_mov_b32_e32 v85, s31
	s_xor_b32 exec_lo, exec_lo, s34
	s_cbranch_execnz .LBB4_9367
.LBB4_9051:                             ;   in Loop: Header=BB4_8714 Depth=3
	s_or_b32 exec_lo, exec_lo, s34
	s_and_saveexec_b32 s31, s13
	s_cbranch_execz .LBB4_9053
.LBB4_9052:                             ;   in Loop: Header=BB4_8714 Depth=3
	v_lshrrev_b16 v167, 3, v84
	s_delay_alu instid0(VALU_DEP_1) | instskip(NEXT) | instid1(VALU_DEP_1)
	v_and_b32_e32 v167, 15, v167
	v_cmp_eq_u32_e32 vcc_lo, 0, v167
	v_and_b32_e32 v85, 7, v84
	s_delay_alu instid0(VALU_DEP_1) | instskip(NEXT) | instid1(VALU_DEP_1)
	v_clz_i32_u32_e32 v162, v85
	v_min_u32_e32 v162, 32, v162
	s_delay_alu instid0(VALU_DEP_1) | instskip(SKIP_1) | instid1(VALU_DEP_1)
	v_subrev_nc_u32_e32 v165, 28, v162
	v_sub_nc_u32_e32 v162, 29, v162
	v_dual_cndmask_b32 v162, v167, v162 :: v_dual_lshlrev_b32 v165, v165, v84
	s_delay_alu instid0(VALU_DEP_1) | instskip(SKIP_1) | instid1(VALU_DEP_3)
	v_and_b32_e32 v165, 7, v165
	v_lshlrev_b32_e32 v84, 24, v84
	v_lshl_add_u32 v162, v162, 23, 0x3b800000
	s_delay_alu instid0(VALU_DEP_2) | instskip(NEXT) | instid1(VALU_DEP_1)
	v_dual_cndmask_b32 v85, v85, v165 :: v_dual_and_b32 v84, 0x80000000, v84
	v_lshlrev_b32_e32 v85, 20, v85
	s_delay_alu instid0(VALU_DEP_1)
	v_or3_b32 v85, v84, v162, v85
.LBB4_9053:                             ;   in Loop: Header=BB4_8714 Depth=3
	s_or_b32 exec_lo, exec_lo, s31
	s_delay_alu instid0(VALU_DEP_1) | instskip(NEXT) | instid1(VALU_DEP_1)
	v_dual_max_f32 v84, v85, v85 :: v_dual_max_f32 v85, v151, v151
	v_min_f32_e32 v151, v85, v84
.LBB4_9054:                             ;   in Loop: Header=BB4_8714 Depth=3
	s_waitcnt vmcnt(4) lgkmcnt(4)
	s_delay_alu instid0(VALU_DEP_1) | instskip(NEXT) | instid1(VALU_DEP_1)
	v_and_b32_e32 v84, 0x7f800000, v151
	v_cmp_ne_u32_e32 vcc_lo, 0x7f800000, v84
	v_mov_b32_e32 v84, 0x80
	s_and_saveexec_b32 s31, vcc_lo
	s_cbranch_execz .LBB4_9062
; %bb.9055:                             ;   in Loop: Header=BB4_8714 Depth=3
	v_mov_b32_e32 v84, 0
	s_mov_b32 s34, exec_lo
	v_cmpx_ne_u32_e32 0, v151
	s_cbranch_execz .LBB4_9061
; %bb.9056:                             ;   in Loop: Header=BB4_8714 Depth=3
	v_bfe_u32 v84, v151, 23, 8
	s_delay_alu instid0(VALU_DEP_1) | instskip(SKIP_1) | instid1(VALU_DEP_2)
	v_sub_nc_u32_e32 v162, 0x78, v84
	v_cmp_gt_u32_e32 vcc_lo, 0x79, v84
	v_dual_cndmask_b32 v162, 0, v162 :: v_dual_and_b32 v85, 0x7fffff, v151
	s_delay_alu instid0(VALU_DEP_1) | instskip(SKIP_2) | instid1(VALU_DEP_4)
	v_or_b32_e32 v165, 0x800000, v85
	v_cmp_eq_u32_e32 vcc_lo, 0, v84
	v_add_nc_u32_e32 v84, 0xffffff89, v84
	v_cndmask_b32_e64 v162, v162, 0x77, vcc_lo
	s_delay_alu instid0(VALU_DEP_4) | instskip(NEXT) | instid1(VALU_DEP_3)
	v_cndmask_b32_e32 v85, v165, v85, vcc_lo
	v_cndmask_b32_e64 v84, v84, 0xffffff8a, vcc_lo
	s_delay_alu instid0(VALU_DEP_3) | instskip(NEXT) | instid1(VALU_DEP_3)
	v_lshl_add_u32 v165, 0x100000, v162, -1
	v_lshrrev_b32_e32 v167, v162, v85
	v_lshlrev_b32_e64 v177, v162, 0x80000
	s_delay_alu instid0(VALU_DEP_4) | instskip(NEXT) | instid1(VALU_DEP_4)
	v_add_nc_u32_e32 v162, v162, v84
	v_and_b32_e32 v85, v165, v85
	s_delay_alu instid0(VALU_DEP_4) | instskip(NEXT) | instid1(VALU_DEP_2)
	v_bfe_u32 v176, v167, 20, 1
	v_cmp_eq_u32_e64 s13, v85, v177
	s_delay_alu instid0(VALU_DEP_2) | instskip(NEXT) | instid1(VALU_DEP_1)
	v_add_nc_u32_e32 v165, -1, v176
	v_cndmask_b32_e64 v85, 0, v165, s13
	v_lshrrev_b32_e32 v165, 23, v167
	s_mov_b32 s13, exec_lo
	s_delay_alu instid0(VALU_DEP_2) | instskip(NEXT) | instid1(VALU_DEP_2)
	v_add_nc_u32_e32 v85, v85, v167
	v_xor_b32_e32 v165, 1, v165
	s_delay_alu instid0(VALU_DEP_2) | instskip(NEXT) | instid1(VALU_DEP_1)
	v_and_b32_e32 v84, 0xfffff, v85
	v_add_nc_u32_e32 v85, v84, v167
                                        ; implicit-def: $vgpr84
	s_delay_alu instid0(VALU_DEP_3)
	v_cmpx_ne_u32_e64 v162, v165
	s_xor_b32 s13, exec_lo, s13
; %bb.9057:                             ;   in Loop: Header=BB4_8714 Depth=3
	s_delay_alu instid0(VALU_DEP_2) | instskip(SKIP_2) | instid1(VALU_DEP_2)
	v_cmp_lt_u32_e32 vcc_lo, 0xffffff, v85
	v_sub_nc_u32_e32 v84, v162, v165
	v_cndmask_b32_e64 v162, 0, 1, vcc_lo
	v_add_co_ci_u32_e32 v84, vcc_lo, 0, v84, vcc_lo
	s_delay_alu instid0(VALU_DEP_2)
	v_lshrrev_b32_e32 v85, v162, v85
; %bb.9058:                             ;   in Loop: Header=BB4_8714 Depth=3
	s_and_not1_saveexec_b32 s13, s13
; %bb.9059:                             ;   in Loop: Header=BB4_8714 Depth=3
	s_delay_alu instid0(VALU_DEP_1)
	v_bfe_u32 v84, v85, 23, 1
; %bb.9060:                             ;   in Loop: Header=BB4_8714 Depth=3
	s_or_b32 exec_lo, exec_lo, s13
	v_lshrrev_b32_e32 v85, 20, v85
	s_delay_alu instid0(VALU_DEP_2) | instskip(SKIP_2) | instid1(VALU_DEP_2)
	v_cmp_gt_i32_e32 vcc_lo, 16, v84
	v_min_i32_e32 v162, 15, v84
	v_lshrrev_b32_e32 v151, 24, v151
	v_dual_cndmask_b32 v85, 7, v85 :: v_dual_lshlrev_b32 v162, 3, v162
	s_delay_alu instid0(VALU_DEP_1) | instskip(SKIP_1) | instid1(VALU_DEP_2)
	v_or_b32_e32 v84, v84, v85
	v_and_b32_e32 v165, 7, v85
	v_cmp_ne_u32_e32 vcc_lo, 0, v84
	v_and_b32_e32 v151, 0x80, v151
	s_delay_alu instid0(VALU_DEP_1) | instskip(NEXT) | instid1(VALU_DEP_1)
	v_or3_b32 v85, v162, v151, v165
	v_cndmask_b32_e32 v84, 0, v85, vcc_lo
.LBB4_9061:                             ;   in Loop: Header=BB4_8714 Depth=3
	s_or_b32 exec_lo, exec_lo, s34
.LBB4_9062:                             ;   in Loop: Header=BB4_8714 Depth=3
	s_delay_alu instid0(SALU_CYCLE_1) | instskip(NEXT) | instid1(SALU_CYCLE_1)
	s_or_b32 exec_lo, exec_lo, s31
	s_and_not1_b32 vcc_lo, exec_lo, s16
	s_cbranch_vccnz .LBB4_9072
; %bb.9063:                             ;   in Loop: Header=BB4_8714 Depth=3
	v_and_b32_e32 v151, 0xff, v82
	s_mov_b32 s13, 0
	s_mov_b32 s34, exec_lo
                                        ; implicit-def: $sgpr31
	s_delay_alu instid0(VALU_DEP_1)
	v_cmpx_lt_i16_e64 0x7f, v151
	s_xor_b32 s34, exec_lo, s34
	s_cbranch_execnz .LBB4_9368
; %bb.9064:                             ;   in Loop: Header=BB4_8714 Depth=3
	s_or_saveexec_b32 s34, s34
	v_mov_b32_e32 v85, s31
	s_xor_b32 exec_lo, exec_lo, s34
	s_cbranch_execnz .LBB4_9371
.LBB4_9065:                             ;   in Loop: Header=BB4_8714 Depth=3
	s_or_b32 exec_lo, exec_lo, s34
	s_and_saveexec_b32 s31, s13
	s_cbranch_execz .LBB4_9067
.LBB4_9066:                             ;   in Loop: Header=BB4_8714 Depth=3
	v_and_b32_e32 v85, 7, v82
	v_lshrrev_b16 v165, 3, v82
	v_lshlrev_b32_e32 v167, 24, v82
	s_delay_alu instid0(VALU_DEP_3) | instskip(NEXT) | instid1(VALU_DEP_3)
	v_clz_i32_u32_e32 v151, v85
	v_and_b32_e32 v165, 15, v165
	s_delay_alu instid0(VALU_DEP_2) | instskip(NEXT) | instid1(VALU_DEP_2)
	v_min_u32_e32 v151, 32, v151
	v_cmp_eq_u32_e32 vcc_lo, 0, v165
	s_delay_alu instid0(VALU_DEP_2) | instskip(SKIP_1) | instid1(VALU_DEP_1)
	v_subrev_nc_u32_e32 v162, 28, v151
	v_sub_nc_u32_e32 v151, 29, v151
	v_dual_cndmask_b32 v151, v165, v151 :: v_dual_lshlrev_b32 v162, v162, v82
	s_delay_alu instid0(VALU_DEP_1) | instskip(NEXT) | instid1(VALU_DEP_2)
	v_and_b32_e32 v162, 7, v162
	v_lshl_add_u32 v151, v151, 23, 0x3b800000
	s_delay_alu instid0(VALU_DEP_2) | instskip(NEXT) | instid1(VALU_DEP_1)
	v_dual_cndmask_b32 v85, v85, v162 :: v_dual_and_b32 v162, 0x80000000, v167
	v_lshlrev_b32_e32 v85, 20, v85
	s_delay_alu instid0(VALU_DEP_1)
	v_or3_b32 v85, v162, v151, v85
.LBB4_9067:                             ;   in Loop: Header=BB4_8714 Depth=3
	s_or_b32 exec_lo, exec_lo, s31
	s_waitcnt vmcnt(3) lgkmcnt(3)
	v_and_b32_e32 v162, 0xff, v81
	s_mov_b32 s13, 0
	s_mov_b32 s34, exec_lo
                                        ; implicit-def: $sgpr31
	s_delay_alu instid0(VALU_DEP_1)
	v_cmpx_lt_i16_e64 0x7f, v162
	s_xor_b32 s34, exec_lo, s34
	s_cbranch_execnz .LBB4_9372
; %bb.9068:                             ;   in Loop: Header=BB4_8714 Depth=3
	s_or_saveexec_b32 s34, s34
	v_mov_b32_e32 v151, s31
	s_xor_b32 exec_lo, exec_lo, s34
	s_cbranch_execnz .LBB4_9375
.LBB4_9069:                             ;   in Loop: Header=BB4_8714 Depth=3
	s_or_b32 exec_lo, exec_lo, s34
	s_and_saveexec_b32 s31, s13
	s_cbranch_execz .LBB4_9071
.LBB4_9070:                             ;   in Loop: Header=BB4_8714 Depth=3
	v_lshrrev_b16 v167, 3, v81
	v_lshlrev_b32_e32 v176, 24, v81
	s_delay_alu instid0(VALU_DEP_2) | instskip(NEXT) | instid1(VALU_DEP_1)
	v_and_b32_e32 v167, 15, v167
	v_cmp_eq_u32_e32 vcc_lo, 0, v167
	v_and_b32_e32 v151, 7, v81
	s_delay_alu instid0(VALU_DEP_1) | instskip(NEXT) | instid1(VALU_DEP_1)
	v_clz_i32_u32_e32 v162, v151
	v_min_u32_e32 v162, 32, v162
	s_delay_alu instid0(VALU_DEP_1) | instskip(SKIP_1) | instid1(VALU_DEP_1)
	v_subrev_nc_u32_e32 v165, 28, v162
	v_sub_nc_u32_e32 v162, 29, v162
	v_dual_cndmask_b32 v162, v167, v162 :: v_dual_lshlrev_b32 v165, v165, v81
	s_delay_alu instid0(VALU_DEP_1) | instskip(NEXT) | instid1(VALU_DEP_2)
	v_and_b32_e32 v165, 7, v165
	v_lshl_add_u32 v162, v162, 23, 0x3b800000
	s_delay_alu instid0(VALU_DEP_2) | instskip(SKIP_1) | instid1(VALU_DEP_2)
	v_cndmask_b32_e32 v151, v151, v165, vcc_lo
	v_and_b32_e32 v165, 0x80000000, v176
	v_lshlrev_b32_e32 v151, 20, v151
	s_delay_alu instid0(VALU_DEP_1)
	v_or3_b32 v151, v165, v162, v151
.LBB4_9071:                             ;   in Loop: Header=BB4_8714 Depth=3
	s_or_b32 exec_lo, exec_lo, s31
	s_delay_alu instid0(VALU_DEP_1) | instskip(SKIP_2) | instid1(VALU_DEP_1)
	v_max_f32_e32 v151, v151, v151
	v_max_f32_e32 v85, v85, v85
	s_mov_b32 s13, 0
	v_max_f32_e32 v85, v85, v151
	s_branch .LBB4_9073
.LBB4_9072:                             ;   in Loop: Header=BB4_8714 Depth=3
	s_mov_b32 s13, -1
                                        ; implicit-def: $vgpr85
.LBB4_9073:                             ;   in Loop: Header=BB4_8714 Depth=3
	s_delay_alu instid0(SALU_CYCLE_1)
	s_and_b32 vcc_lo, exec_lo, s13
	s_cbranch_vccz .LBB4_9083
; %bb.9074:                             ;   in Loop: Header=BB4_8714 Depth=3
	v_and_b32_e32 v151, 0xff, v82
	s_mov_b32 s13, 0
	s_mov_b32 s34, exec_lo
                                        ; implicit-def: $sgpr31
	s_delay_alu instid0(VALU_DEP_1)
	v_cmpx_lt_i16_e64 0x7f, v151
	s_xor_b32 s34, exec_lo, s34
	s_cbranch_execnz .LBB4_9376
; %bb.9075:                             ;   in Loop: Header=BB4_8714 Depth=3
	s_or_saveexec_b32 s34, s34
	v_mov_b32_e32 v85, s31
	s_xor_b32 exec_lo, exec_lo, s34
	s_cbranch_execnz .LBB4_9379
.LBB4_9076:                             ;   in Loop: Header=BB4_8714 Depth=3
	s_or_b32 exec_lo, exec_lo, s34
	s_and_saveexec_b32 s31, s13
	s_cbranch_execz .LBB4_9078
.LBB4_9077:                             ;   in Loop: Header=BB4_8714 Depth=3
	v_and_b32_e32 v85, 7, v82
	v_lshrrev_b16 v165, 3, v82
	s_delay_alu instid0(VALU_DEP_2) | instskip(NEXT) | instid1(VALU_DEP_2)
	v_clz_i32_u32_e32 v151, v85
	v_and_b32_e32 v165, 15, v165
	s_delay_alu instid0(VALU_DEP_2) | instskip(NEXT) | instid1(VALU_DEP_2)
	v_min_u32_e32 v151, 32, v151
	v_cmp_eq_u32_e32 vcc_lo, 0, v165
	s_delay_alu instid0(VALU_DEP_2) | instskip(SKIP_1) | instid1(VALU_DEP_1)
	v_subrev_nc_u32_e32 v162, 28, v151
	v_sub_nc_u32_e32 v151, 29, v151
	v_dual_cndmask_b32 v151, v165, v151 :: v_dual_lshlrev_b32 v162, v162, v82
	v_lshlrev_b32_e32 v82, 24, v82
	s_delay_alu instid0(VALU_DEP_2) | instskip(NEXT) | instid1(VALU_DEP_3)
	v_and_b32_e32 v162, 7, v162
	v_lshl_add_u32 v151, v151, 23, 0x3b800000
	s_delay_alu instid0(VALU_DEP_3) | instskip(NEXT) | instid1(VALU_DEP_3)
	v_and_b32_e32 v82, 0x80000000, v82
	v_cndmask_b32_e32 v85, v85, v162, vcc_lo
	s_delay_alu instid0(VALU_DEP_1) | instskip(NEXT) | instid1(VALU_DEP_1)
	v_lshlrev_b32_e32 v85, 20, v85
	v_or3_b32 v85, v82, v151, v85
.LBB4_9078:                             ;   in Loop: Header=BB4_8714 Depth=3
	s_or_b32 exec_lo, exec_lo, s31
	s_waitcnt vmcnt(3) lgkmcnt(3)
	v_and_b32_e32 v151, 0xff, v81
	s_mov_b32 s13, 0
	s_mov_b32 s34, exec_lo
                                        ; implicit-def: $sgpr31
	s_delay_alu instid0(VALU_DEP_1)
	v_cmpx_lt_i16_e64 0x7f, v151
	s_xor_b32 s34, exec_lo, s34
	s_cbranch_execnz .LBB4_9380
; %bb.9079:                             ;   in Loop: Header=BB4_8714 Depth=3
	s_or_saveexec_b32 s34, s34
	v_mov_b32_e32 v82, s31
	s_xor_b32 exec_lo, exec_lo, s34
	s_cbranch_execnz .LBB4_9383
.LBB4_9080:                             ;   in Loop: Header=BB4_8714 Depth=3
	s_or_b32 exec_lo, exec_lo, s34
	s_and_saveexec_b32 s31, s13
	s_cbranch_execz .LBB4_9082
.LBB4_9081:                             ;   in Loop: Header=BB4_8714 Depth=3
	v_lshrrev_b16 v165, 3, v81
	s_delay_alu instid0(VALU_DEP_1) | instskip(NEXT) | instid1(VALU_DEP_1)
	v_and_b32_e32 v165, 15, v165
	v_cmp_eq_u32_e32 vcc_lo, 0, v165
	v_and_b32_e32 v82, 7, v81
	s_delay_alu instid0(VALU_DEP_1) | instskip(NEXT) | instid1(VALU_DEP_1)
	v_clz_i32_u32_e32 v151, v82
	v_min_u32_e32 v151, 32, v151
	s_delay_alu instid0(VALU_DEP_1) | instskip(SKIP_1) | instid1(VALU_DEP_1)
	v_subrev_nc_u32_e32 v162, 28, v151
	v_sub_nc_u32_e32 v151, 29, v151
	v_dual_cndmask_b32 v151, v165, v151 :: v_dual_lshlrev_b32 v162, v162, v81
	v_lshlrev_b32_e32 v81, 24, v81
	s_delay_alu instid0(VALU_DEP_2) | instskip(NEXT) | instid1(VALU_DEP_3)
	v_and_b32_e32 v162, 7, v162
	v_lshl_add_u32 v151, v151, 23, 0x3b800000
	s_delay_alu instid0(VALU_DEP_2) | instskip(NEXT) | instid1(VALU_DEP_1)
	v_dual_cndmask_b32 v82, v82, v162 :: v_dual_and_b32 v81, 0x80000000, v81
	v_lshlrev_b32_e32 v82, 20, v82
	s_delay_alu instid0(VALU_DEP_1)
	v_or3_b32 v82, v81, v151, v82
.LBB4_9082:                             ;   in Loop: Header=BB4_8714 Depth=3
	s_or_b32 exec_lo, exec_lo, s31
	s_delay_alu instid0(VALU_DEP_1) | instskip(NEXT) | instid1(VALU_DEP_1)
	v_dual_max_f32 v81, v82, v82 :: v_dual_max_f32 v82, v85, v85
	v_min_f32_e32 v85, v82, v81
.LBB4_9083:                             ;   in Loop: Header=BB4_8714 Depth=3
	s_waitcnt vmcnt(3) lgkmcnt(3)
	s_delay_alu instid0(VALU_DEP_1) | instskip(NEXT) | instid1(VALU_DEP_1)
	v_and_b32_e32 v81, 0x7f800000, v85
	v_cmp_ne_u32_e32 vcc_lo, 0x7f800000, v81
	v_mov_b32_e32 v81, 0x80
	s_and_saveexec_b32 s31, vcc_lo
	s_cbranch_execz .LBB4_9091
; %bb.9084:                             ;   in Loop: Header=BB4_8714 Depth=3
	v_mov_b32_e32 v81, 0
	s_mov_b32 s34, exec_lo
	v_cmpx_ne_u32_e32 0, v85
	s_cbranch_execz .LBB4_9090
; %bb.9085:                             ;   in Loop: Header=BB4_8714 Depth=3
	v_bfe_u32 v81, v85, 23, 8
	s_delay_alu instid0(VALU_DEP_1) | instskip(SKIP_1) | instid1(VALU_DEP_2)
	v_sub_nc_u32_e32 v151, 0x78, v81
	v_cmp_gt_u32_e32 vcc_lo, 0x79, v81
	v_dual_cndmask_b32 v151, 0, v151 :: v_dual_and_b32 v82, 0x7fffff, v85
	s_delay_alu instid0(VALU_DEP_1) | instskip(SKIP_2) | instid1(VALU_DEP_4)
	v_or_b32_e32 v162, 0x800000, v82
	v_cmp_eq_u32_e32 vcc_lo, 0, v81
	v_add_nc_u32_e32 v81, 0xffffff89, v81
	v_cndmask_b32_e64 v151, v151, 0x77, vcc_lo
	s_delay_alu instid0(VALU_DEP_4) | instskip(NEXT) | instid1(VALU_DEP_3)
	v_cndmask_b32_e32 v82, v162, v82, vcc_lo
	v_cndmask_b32_e64 v81, v81, 0xffffff8a, vcc_lo
	s_delay_alu instid0(VALU_DEP_3) | instskip(NEXT) | instid1(VALU_DEP_3)
	v_lshl_add_u32 v162, 0x100000, v151, -1
	v_lshrrev_b32_e32 v165, v151, v82
	v_lshlrev_b32_e64 v176, v151, 0x80000
	s_delay_alu instid0(VALU_DEP_4) | instskip(NEXT) | instid1(VALU_DEP_4)
	v_add_nc_u32_e32 v151, v151, v81
	v_and_b32_e32 v82, v162, v82
	s_delay_alu instid0(VALU_DEP_4) | instskip(NEXT) | instid1(VALU_DEP_2)
	v_bfe_u32 v167, v165, 20, 1
	v_cmp_eq_u32_e64 s13, v82, v176
	s_delay_alu instid0(VALU_DEP_2) | instskip(NEXT) | instid1(VALU_DEP_1)
	v_add_nc_u32_e32 v162, -1, v167
	v_cndmask_b32_e64 v82, 0, v162, s13
	v_lshrrev_b32_e32 v162, 23, v165
	s_mov_b32 s13, exec_lo
	s_delay_alu instid0(VALU_DEP_2) | instskip(NEXT) | instid1(VALU_DEP_2)
	v_add_nc_u32_e32 v82, v82, v165
	v_xor_b32_e32 v162, 1, v162
	s_delay_alu instid0(VALU_DEP_2) | instskip(NEXT) | instid1(VALU_DEP_1)
	v_and_b32_e32 v81, 0xfffff, v82
	v_add_nc_u32_e32 v82, v81, v165
                                        ; implicit-def: $vgpr81
	s_delay_alu instid0(VALU_DEP_3)
	v_cmpx_ne_u32_e64 v151, v162
	s_xor_b32 s13, exec_lo, s13
; %bb.9086:                             ;   in Loop: Header=BB4_8714 Depth=3
	s_delay_alu instid0(VALU_DEP_2) | instskip(SKIP_2) | instid1(VALU_DEP_2)
	v_cmp_lt_u32_e32 vcc_lo, 0xffffff, v82
	v_sub_nc_u32_e32 v81, v151, v162
	v_cndmask_b32_e64 v151, 0, 1, vcc_lo
	v_add_co_ci_u32_e32 v81, vcc_lo, 0, v81, vcc_lo
	s_delay_alu instid0(VALU_DEP_2)
	v_lshrrev_b32_e32 v82, v151, v82
; %bb.9087:                             ;   in Loop: Header=BB4_8714 Depth=3
	s_and_not1_saveexec_b32 s13, s13
; %bb.9088:                             ;   in Loop: Header=BB4_8714 Depth=3
	s_delay_alu instid0(VALU_DEP_1)
	v_bfe_u32 v81, v82, 23, 1
; %bb.9089:                             ;   in Loop: Header=BB4_8714 Depth=3
	s_or_b32 exec_lo, exec_lo, s13
	v_lshrrev_b32_e32 v82, 20, v82
	s_delay_alu instid0(VALU_DEP_2) | instskip(SKIP_2) | instid1(VALU_DEP_2)
	v_cmp_gt_i32_e32 vcc_lo, 16, v81
	v_lshrrev_b32_e32 v85, 24, v85
	v_min_i32_e32 v151, 15, v81
	v_dual_cndmask_b32 v82, 7, v82 :: v_dual_and_b32 v85, 0x80, v85
	s_delay_alu instid0(VALU_DEP_2) | instskip(NEXT) | instid1(VALU_DEP_2)
	v_lshlrev_b32_e32 v151, 3, v151
	v_and_b32_e32 v162, 7, v82
	v_or_b32_e32 v81, v81, v82
	s_delay_alu instid0(VALU_DEP_2) | instskip(NEXT) | instid1(VALU_DEP_2)
	v_or3_b32 v82, v151, v85, v162
	v_cmp_ne_u32_e32 vcc_lo, 0, v81
	s_delay_alu instid0(VALU_DEP_2)
	v_cndmask_b32_e32 v81, 0, v82, vcc_lo
.LBB4_9090:                             ;   in Loop: Header=BB4_8714 Depth=3
	s_or_b32 exec_lo, exec_lo, s34
.LBB4_9091:                             ;   in Loop: Header=BB4_8714 Depth=3
	s_delay_alu instid0(SALU_CYCLE_1) | instskip(NEXT) | instid1(SALU_CYCLE_1)
	s_or_b32 exec_lo, exec_lo, s31
	s_and_not1_b32 vcc_lo, exec_lo, s16
	s_cbranch_vccnz .LBB4_9101
; %bb.9092:                             ;   in Loop: Header=BB4_8714 Depth=3
	v_and_b32_e32 v85, 0xff, v70
	s_mov_b32 s13, 0
	s_mov_b32 s34, exec_lo
                                        ; implicit-def: $sgpr31
	s_delay_alu instid0(VALU_DEP_1)
	v_cmpx_lt_i16_e32 0x7f, v85
	s_xor_b32 s34, exec_lo, s34
	s_cbranch_execnz .LBB4_9384
; %bb.9093:                             ;   in Loop: Header=BB4_8714 Depth=3
	s_or_saveexec_b32 s34, s34
	v_mov_b32_e32 v82, s31
	s_xor_b32 exec_lo, exec_lo, s34
	s_cbranch_execnz .LBB4_9387
.LBB4_9094:                             ;   in Loop: Header=BB4_8714 Depth=3
	s_or_b32 exec_lo, exec_lo, s34
	s_and_saveexec_b32 s31, s13
	s_cbranch_execz .LBB4_9096
.LBB4_9095:                             ;   in Loop: Header=BB4_8714 Depth=3
	v_lshrrev_b16 v162, 3, v70
	s_delay_alu instid0(VALU_DEP_1) | instskip(NEXT) | instid1(VALU_DEP_1)
	v_and_b32_e32 v162, 15, v162
	v_cmp_eq_u32_e32 vcc_lo, 0, v162
	v_and_b32_e32 v82, 7, v70
	s_delay_alu instid0(VALU_DEP_1) | instskip(NEXT) | instid1(VALU_DEP_1)
	v_clz_i32_u32_e32 v85, v82
	v_min_u32_e32 v85, 32, v85
	s_delay_alu instid0(VALU_DEP_1) | instskip(SKIP_1) | instid1(VALU_DEP_2)
	v_subrev_nc_u32_e32 v151, 28, v85
	v_sub_nc_u32_e32 v85, 29, v85
	v_lshlrev_b32_e32 v151, v151, v70
	s_delay_alu instid0(VALU_DEP_2) | instskip(NEXT) | instid1(VALU_DEP_2)
	v_cndmask_b32_e32 v85, v162, v85, vcc_lo
	v_and_b32_e32 v151, 7, v151
	v_lshlrev_b32_e32 v165, 24, v70
	s_delay_alu instid0(VALU_DEP_3) | instskip(NEXT) | instid1(VALU_DEP_2)
	v_lshl_add_u32 v85, v85, 23, 0x3b800000
	v_dual_cndmask_b32 v82, v82, v151 :: v_dual_and_b32 v151, 0x80000000, v165
	s_delay_alu instid0(VALU_DEP_1) | instskip(NEXT) | instid1(VALU_DEP_1)
	v_lshlrev_b32_e32 v82, 20, v82
	v_or3_b32 v82, v151, v85, v82
.LBB4_9096:                             ;   in Loop: Header=BB4_8714 Depth=3
	s_or_b32 exec_lo, exec_lo, s31
	s_waitcnt vmcnt(2) lgkmcnt(2)
	v_and_b32_e32 v151, 0xff, v69
	s_mov_b32 s13, 0
	s_mov_b32 s34, exec_lo
                                        ; implicit-def: $sgpr31
	s_delay_alu instid0(VALU_DEP_1)
	v_cmpx_lt_i16_e64 0x7f, v151
	s_xor_b32 s34, exec_lo, s34
	s_cbranch_execnz .LBB4_9388
; %bb.9097:                             ;   in Loop: Header=BB4_8714 Depth=3
	s_or_saveexec_b32 s34, s34
	v_mov_b32_e32 v85, s31
	s_xor_b32 exec_lo, exec_lo, s34
	s_cbranch_execnz .LBB4_9391
.LBB4_9098:                             ;   in Loop: Header=BB4_8714 Depth=3
	s_or_b32 exec_lo, exec_lo, s34
	s_and_saveexec_b32 s31, s13
	s_cbranch_execz .LBB4_9100
.LBB4_9099:                             ;   in Loop: Header=BB4_8714 Depth=3
	v_and_b32_e32 v85, 7, v69
	v_lshrrev_b16 v165, 3, v69
	v_lshlrev_b32_e32 v167, 24, v69
	s_delay_alu instid0(VALU_DEP_3) | instskip(NEXT) | instid1(VALU_DEP_3)
	v_clz_i32_u32_e32 v151, v85
	v_and_b32_e32 v165, 15, v165
	s_delay_alu instid0(VALU_DEP_2) | instskip(NEXT) | instid1(VALU_DEP_2)
	v_min_u32_e32 v151, 32, v151
	v_cmp_eq_u32_e32 vcc_lo, 0, v165
	s_delay_alu instid0(VALU_DEP_2) | instskip(SKIP_1) | instid1(VALU_DEP_1)
	v_subrev_nc_u32_e32 v162, 28, v151
	v_sub_nc_u32_e32 v151, 29, v151
	v_dual_cndmask_b32 v151, v165, v151 :: v_dual_lshlrev_b32 v162, v162, v69
	s_delay_alu instid0(VALU_DEP_1) | instskip(NEXT) | instid1(VALU_DEP_2)
	v_and_b32_e32 v162, 7, v162
	v_lshl_add_u32 v151, v151, 23, 0x3b800000
	s_delay_alu instid0(VALU_DEP_2) | instskip(NEXT) | instid1(VALU_DEP_1)
	v_dual_cndmask_b32 v85, v85, v162 :: v_dual_and_b32 v162, 0x80000000, v167
	v_lshlrev_b32_e32 v85, 20, v85
	s_delay_alu instid0(VALU_DEP_1)
	v_or3_b32 v85, v162, v151, v85
.LBB4_9100:                             ;   in Loop: Header=BB4_8714 Depth=3
	s_or_b32 exec_lo, exec_lo, s31
	s_delay_alu instid0(VALU_DEP_1) | instskip(SKIP_1) | instid1(VALU_DEP_1)
	v_dual_max_f32 v85, v85, v85 :: v_dual_max_f32 v82, v82, v82
	s_mov_b32 s13, 0
	v_max_f32_e32 v82, v82, v85
	s_branch .LBB4_9102
.LBB4_9101:                             ;   in Loop: Header=BB4_8714 Depth=3
	s_mov_b32 s13, -1
                                        ; implicit-def: $vgpr82
.LBB4_9102:                             ;   in Loop: Header=BB4_8714 Depth=3
	s_delay_alu instid0(SALU_CYCLE_1)
	s_and_b32 vcc_lo, exec_lo, s13
	s_cbranch_vccz .LBB4_9112
; %bb.9103:                             ;   in Loop: Header=BB4_8714 Depth=3
	v_and_b32_e32 v85, 0xff, v70
	s_mov_b32 s13, 0
	s_mov_b32 s34, exec_lo
                                        ; implicit-def: $sgpr31
	s_delay_alu instid0(VALU_DEP_1)
	v_cmpx_lt_i16_e32 0x7f, v85
	s_xor_b32 s34, exec_lo, s34
	s_cbranch_execnz .LBB4_9392
; %bb.9104:                             ;   in Loop: Header=BB4_8714 Depth=3
	s_or_saveexec_b32 s34, s34
	v_mov_b32_e32 v82, s31
	s_xor_b32 exec_lo, exec_lo, s34
	s_cbranch_execnz .LBB4_9395
.LBB4_9105:                             ;   in Loop: Header=BB4_8714 Depth=3
	s_or_b32 exec_lo, exec_lo, s34
	s_and_saveexec_b32 s31, s13
	s_cbranch_execz .LBB4_9107
.LBB4_9106:                             ;   in Loop: Header=BB4_8714 Depth=3
	v_lshrrev_b16 v162, 3, v70
	s_delay_alu instid0(VALU_DEP_1) | instskip(NEXT) | instid1(VALU_DEP_1)
	v_and_b32_e32 v162, 15, v162
	v_cmp_eq_u32_e32 vcc_lo, 0, v162
	v_and_b32_e32 v82, 7, v70
	s_delay_alu instid0(VALU_DEP_1) | instskip(NEXT) | instid1(VALU_DEP_1)
	v_clz_i32_u32_e32 v85, v82
	v_min_u32_e32 v85, 32, v85
	s_delay_alu instid0(VALU_DEP_1) | instskip(SKIP_1) | instid1(VALU_DEP_2)
	v_subrev_nc_u32_e32 v151, 28, v85
	v_sub_nc_u32_e32 v85, 29, v85
	v_lshlrev_b32_e32 v151, v151, v70
	s_delay_alu instid0(VALU_DEP_2) | instskip(NEXT) | instid1(VALU_DEP_2)
	v_dual_cndmask_b32 v85, v162, v85 :: v_dual_lshlrev_b32 v70, 24, v70
	v_and_b32_e32 v151, 7, v151
	s_delay_alu instid0(VALU_DEP_2) | instskip(NEXT) | instid1(VALU_DEP_3)
	v_lshl_add_u32 v85, v85, 23, 0x3b800000
	v_and_b32_e32 v70, 0x80000000, v70
	s_delay_alu instid0(VALU_DEP_3) | instskip(NEXT) | instid1(VALU_DEP_1)
	v_cndmask_b32_e32 v82, v82, v151, vcc_lo
	v_lshlrev_b32_e32 v82, 20, v82
	s_delay_alu instid0(VALU_DEP_1)
	v_or3_b32 v82, v70, v85, v82
.LBB4_9107:                             ;   in Loop: Header=BB4_8714 Depth=3
	s_or_b32 exec_lo, exec_lo, s31
	s_waitcnt vmcnt(2) lgkmcnt(2)
	v_and_b32_e32 v85, 0xff, v69
	s_mov_b32 s13, 0
	s_mov_b32 s34, exec_lo
                                        ; implicit-def: $sgpr31
	s_delay_alu instid0(VALU_DEP_1)
	v_cmpx_lt_i16_e32 0x7f, v85
	s_xor_b32 s34, exec_lo, s34
	s_cbranch_execnz .LBB4_9396
; %bb.9108:                             ;   in Loop: Header=BB4_8714 Depth=3
	s_or_saveexec_b32 s34, s34
	v_mov_b32_e32 v70, s31
	s_xor_b32 exec_lo, exec_lo, s34
	s_cbranch_execnz .LBB4_9399
.LBB4_9109:                             ;   in Loop: Header=BB4_8714 Depth=3
	s_or_b32 exec_lo, exec_lo, s34
	s_and_saveexec_b32 s31, s13
	s_cbranch_execz .LBB4_9111
.LBB4_9110:                             ;   in Loop: Header=BB4_8714 Depth=3
	v_and_b32_e32 v70, 7, v69
	v_lshrrev_b16 v162, 3, v69
	s_delay_alu instid0(VALU_DEP_2) | instskip(NEXT) | instid1(VALU_DEP_2)
	v_clz_i32_u32_e32 v85, v70
	v_and_b32_e32 v162, 15, v162
	s_delay_alu instid0(VALU_DEP_2) | instskip(NEXT) | instid1(VALU_DEP_2)
	v_min_u32_e32 v85, 32, v85
	v_cmp_eq_u32_e32 vcc_lo, 0, v162
	s_delay_alu instid0(VALU_DEP_2) | instskip(SKIP_1) | instid1(VALU_DEP_2)
	v_subrev_nc_u32_e32 v151, 28, v85
	v_sub_nc_u32_e32 v85, 29, v85
	v_lshlrev_b32_e32 v151, v151, v69
	s_delay_alu instid0(VALU_DEP_1) | instskip(NEXT) | instid1(VALU_DEP_1)
	v_and_b32_e32 v151, 7, v151
	v_dual_cndmask_b32 v70, v70, v151 :: v_dual_lshlrev_b32 v69, 24, v69
	s_delay_alu instid0(VALU_DEP_4) | instskip(NEXT) | instid1(VALU_DEP_2)
	v_cndmask_b32_e32 v85, v162, v85, vcc_lo
	v_and_b32_e32 v69, 0x80000000, v69
	s_delay_alu instid0(VALU_DEP_3) | instskip(NEXT) | instid1(VALU_DEP_3)
	v_lshlrev_b32_e32 v70, 20, v70
	v_lshl_add_u32 v85, v85, 23, 0x3b800000
	s_delay_alu instid0(VALU_DEP_1)
	v_or3_b32 v70, v69, v85, v70
.LBB4_9111:                             ;   in Loop: Header=BB4_8714 Depth=3
	s_or_b32 exec_lo, exec_lo, s31
	s_delay_alu instid0(VALU_DEP_1) | instskip(SKIP_1) | instid1(VALU_DEP_1)
	v_max_f32_e32 v69, v70, v70
	v_max_f32_e32 v70, v82, v82
	v_min_f32_e32 v82, v70, v69
.LBB4_9112:                             ;   in Loop: Header=BB4_8714 Depth=3
	s_waitcnt vmcnt(2) lgkmcnt(2)
	s_delay_alu instid0(VALU_DEP_1) | instskip(NEXT) | instid1(VALU_DEP_1)
	v_and_b32_e32 v69, 0x7f800000, v82
	v_cmp_ne_u32_e32 vcc_lo, 0x7f800000, v69
	v_mov_b32_e32 v69, 0x80
	s_and_saveexec_b32 s31, vcc_lo
	s_cbranch_execz .LBB4_9120
; %bb.9113:                             ;   in Loop: Header=BB4_8714 Depth=3
	v_mov_b32_e32 v69, 0
	s_mov_b32 s34, exec_lo
	v_cmpx_ne_u32_e32 0, v82
	s_cbranch_execz .LBB4_9119
; %bb.9114:                             ;   in Loop: Header=BB4_8714 Depth=3
	v_bfe_u32 v69, v82, 23, 8
	s_delay_alu instid0(VALU_DEP_1) | instskip(SKIP_1) | instid1(VALU_DEP_2)
	v_sub_nc_u32_e32 v85, 0x78, v69
	v_cmp_gt_u32_e32 vcc_lo, 0x79, v69
	v_dual_cndmask_b32 v85, 0, v85 :: v_dual_and_b32 v70, 0x7fffff, v82
	s_delay_alu instid0(VALU_DEP_1) | instskip(SKIP_2) | instid1(VALU_DEP_4)
	v_or_b32_e32 v151, 0x800000, v70
	v_cmp_eq_u32_e32 vcc_lo, 0, v69
	v_add_nc_u32_e32 v69, 0xffffff89, v69
	v_cndmask_b32_e64 v85, v85, 0x77, vcc_lo
	s_delay_alu instid0(VALU_DEP_4) | instskip(NEXT) | instid1(VALU_DEP_3)
	v_cndmask_b32_e32 v70, v151, v70, vcc_lo
	v_cndmask_b32_e64 v69, v69, 0xffffff8a, vcc_lo
	s_delay_alu instid0(VALU_DEP_3) | instskip(NEXT) | instid1(VALU_DEP_3)
	v_lshl_add_u32 v151, 0x100000, v85, -1
	v_lshrrev_b32_e32 v162, v85, v70
	v_lshlrev_b32_e64 v167, v85, 0x80000
	s_delay_alu instid0(VALU_DEP_4) | instskip(NEXT) | instid1(VALU_DEP_4)
	v_add_nc_u32_e32 v85, v85, v69
	v_and_b32_e32 v70, v151, v70
	s_delay_alu instid0(VALU_DEP_4) | instskip(NEXT) | instid1(VALU_DEP_2)
	v_bfe_u32 v165, v162, 20, 1
	v_cmp_eq_u32_e64 s13, v70, v167
	s_delay_alu instid0(VALU_DEP_2) | instskip(NEXT) | instid1(VALU_DEP_1)
	v_add_nc_u32_e32 v151, -1, v165
	v_cndmask_b32_e64 v70, 0, v151, s13
	v_lshrrev_b32_e32 v151, 23, v162
	s_mov_b32 s13, exec_lo
	s_delay_alu instid0(VALU_DEP_2) | instskip(NEXT) | instid1(VALU_DEP_2)
	v_add_nc_u32_e32 v70, v70, v162
	v_xor_b32_e32 v151, 1, v151
	s_delay_alu instid0(VALU_DEP_2) | instskip(NEXT) | instid1(VALU_DEP_1)
	v_and_b32_e32 v69, 0xfffff, v70
	v_add_nc_u32_e32 v70, v69, v162
                                        ; implicit-def: $vgpr69
	s_delay_alu instid0(VALU_DEP_3)
	v_cmpx_ne_u32_e64 v85, v151
	s_xor_b32 s13, exec_lo, s13
; %bb.9115:                             ;   in Loop: Header=BB4_8714 Depth=3
	s_delay_alu instid0(VALU_DEP_2) | instskip(SKIP_2) | instid1(VALU_DEP_2)
	v_cmp_lt_u32_e32 vcc_lo, 0xffffff, v70
	v_sub_nc_u32_e32 v69, v85, v151
	v_cndmask_b32_e64 v85, 0, 1, vcc_lo
	v_add_co_ci_u32_e32 v69, vcc_lo, 0, v69, vcc_lo
	s_delay_alu instid0(VALU_DEP_2)
	v_lshrrev_b32_e32 v70, v85, v70
; %bb.9116:                             ;   in Loop: Header=BB4_8714 Depth=3
	s_and_not1_saveexec_b32 s13, s13
; %bb.9117:                             ;   in Loop: Header=BB4_8714 Depth=3
	s_delay_alu instid0(VALU_DEP_1)
	v_bfe_u32 v69, v70, 23, 1
; %bb.9118:                             ;   in Loop: Header=BB4_8714 Depth=3
	s_or_b32 exec_lo, exec_lo, s13
	v_lshrrev_b32_e32 v70, 20, v70
	s_delay_alu instid0(VALU_DEP_2) | instskip(SKIP_2) | instid1(VALU_DEP_4)
	v_cmp_gt_i32_e32 vcc_lo, 16, v69
	v_lshrrev_b32_e32 v82, 24, v82
	v_min_i32_e32 v85, 15, v69
	v_cndmask_b32_e32 v70, 7, v70, vcc_lo
	s_delay_alu instid0(VALU_DEP_3) | instskip(NEXT) | instid1(VALU_DEP_3)
	v_and_b32_e32 v82, 0x80, v82
	v_lshlrev_b32_e32 v85, 3, v85
	s_delay_alu instid0(VALU_DEP_3) | instskip(SKIP_1) | instid1(VALU_DEP_2)
	v_and_b32_e32 v151, 7, v70
	v_or_b32_e32 v69, v69, v70
	v_or3_b32 v70, v85, v82, v151
	s_delay_alu instid0(VALU_DEP_2) | instskip(NEXT) | instid1(VALU_DEP_2)
	v_cmp_ne_u32_e32 vcc_lo, 0, v69
	v_cndmask_b32_e32 v69, 0, v70, vcc_lo
.LBB4_9119:                             ;   in Loop: Header=BB4_8714 Depth=3
	s_or_b32 exec_lo, exec_lo, s34
.LBB4_9120:                             ;   in Loop: Header=BB4_8714 Depth=3
	s_delay_alu instid0(SALU_CYCLE_1) | instskip(NEXT) | instid1(SALU_CYCLE_1)
	s_or_b32 exec_lo, exec_lo, s31
	s_and_not1_b32 vcc_lo, exec_lo, s16
	s_cbranch_vccnz .LBB4_9130
; %bb.9121:                             ;   in Loop: Header=BB4_8714 Depth=3
	v_and_b32_e32 v82, 0xff, v22
	s_mov_b32 s13, 0
	s_mov_b32 s34, exec_lo
                                        ; implicit-def: $sgpr31
	s_delay_alu instid0(VALU_DEP_1)
	v_cmpx_lt_i16_e32 0x7f, v82
	s_xor_b32 s34, exec_lo, s34
	s_cbranch_execnz .LBB4_9400
; %bb.9122:                             ;   in Loop: Header=BB4_8714 Depth=3
	s_or_saveexec_b32 s34, s34
	v_mov_b32_e32 v70, s31
	s_xor_b32 exec_lo, exec_lo, s34
	s_cbranch_execnz .LBB4_9403
.LBB4_9123:                             ;   in Loop: Header=BB4_8714 Depth=3
	s_or_b32 exec_lo, exec_lo, s34
	s_and_saveexec_b32 s31, s13
	s_cbranch_execz .LBB4_9125
.LBB4_9124:                             ;   in Loop: Header=BB4_8714 Depth=3
	v_and_b32_e32 v70, 7, v22
	v_lshrrev_b16 v151, 3, v22
	v_lshlrev_b32_e32 v162, 24, v22
	s_delay_alu instid0(VALU_DEP_3) | instskip(NEXT) | instid1(VALU_DEP_1)
	v_clz_i32_u32_e32 v82, v70
	v_min_u32_e32 v82, 32, v82
	s_delay_alu instid0(VALU_DEP_1) | instskip(SKIP_1) | instid1(VALU_DEP_2)
	v_subrev_nc_u32_e32 v85, 28, v82
	v_sub_nc_u32_e32 v82, 29, v82
	v_lshlrev_b32_e32 v85, v85, v22
	s_delay_alu instid0(VALU_DEP_1) | instskip(SKIP_1) | instid1(VALU_DEP_1)
	v_and_b32_e32 v85, 7, v85
	v_and_b32_e32 v151, 15, v151
	v_cmp_eq_u32_e32 vcc_lo, 0, v151
	s_delay_alu instid0(VALU_DEP_3) | instskip(SKIP_2) | instid1(VALU_DEP_3)
	v_cndmask_b32_e32 v70, v70, v85, vcc_lo
	v_cndmask_b32_e32 v82, v151, v82, vcc_lo
	v_and_b32_e32 v85, 0x80000000, v162
	v_lshlrev_b32_e32 v70, 20, v70
	s_delay_alu instid0(VALU_DEP_3) | instskip(NEXT) | instid1(VALU_DEP_1)
	v_lshl_add_u32 v82, v82, 23, 0x3b800000
	v_or3_b32 v70, v85, v82, v70
.LBB4_9125:                             ;   in Loop: Header=BB4_8714 Depth=3
	s_or_b32 exec_lo, exec_lo, s31
	s_waitcnt vmcnt(1) lgkmcnt(1)
	v_and_b32_e32 v85, 0xff, v21
	s_mov_b32 s13, 0
	s_mov_b32 s34, exec_lo
                                        ; implicit-def: $sgpr31
	s_delay_alu instid0(VALU_DEP_1)
	v_cmpx_lt_i16_e32 0x7f, v85
	s_xor_b32 s34, exec_lo, s34
	s_cbranch_execnz .LBB4_9404
; %bb.9126:                             ;   in Loop: Header=BB4_8714 Depth=3
	s_or_saveexec_b32 s34, s34
	v_mov_b32_e32 v82, s31
	s_xor_b32 exec_lo, exec_lo, s34
	s_cbranch_execnz .LBB4_9407
.LBB4_9127:                             ;   in Loop: Header=BB4_8714 Depth=3
	s_or_b32 exec_lo, exec_lo, s34
	s_and_saveexec_b32 s31, s13
	s_cbranch_execz .LBB4_9129
.LBB4_9128:                             ;   in Loop: Header=BB4_8714 Depth=3
	v_and_b32_e32 v82, 7, v21
	v_lshrrev_b16 v162, 3, v21
	s_delay_alu instid0(VALU_DEP_2) | instskip(NEXT) | instid1(VALU_DEP_2)
	v_clz_i32_u32_e32 v85, v82
	v_and_b32_e32 v162, 15, v162
	s_delay_alu instid0(VALU_DEP_2) | instskip(NEXT) | instid1(VALU_DEP_2)
	v_min_u32_e32 v85, 32, v85
	v_cmp_eq_u32_e32 vcc_lo, 0, v162
	s_delay_alu instid0(VALU_DEP_2) | instskip(SKIP_1) | instid1(VALU_DEP_2)
	v_subrev_nc_u32_e32 v151, 28, v85
	v_sub_nc_u32_e32 v85, 29, v85
	v_lshlrev_b32_e32 v151, v151, v21
	s_delay_alu instid0(VALU_DEP_1) | instskip(NEXT) | instid1(VALU_DEP_1)
	v_and_b32_e32 v151, 7, v151
	v_dual_cndmask_b32 v82, v82, v151 :: v_dual_lshlrev_b32 v165, 24, v21
	s_delay_alu instid0(VALU_DEP_4) | instskip(NEXT) | instid1(VALU_DEP_2)
	v_cndmask_b32_e32 v85, v162, v85, vcc_lo
	v_and_b32_e32 v151, 0x80000000, v165
	s_delay_alu instid0(VALU_DEP_3) | instskip(NEXT) | instid1(VALU_DEP_3)
	v_lshlrev_b32_e32 v82, 20, v82
	v_lshl_add_u32 v85, v85, 23, 0x3b800000
	s_delay_alu instid0(VALU_DEP_1)
	v_or3_b32 v82, v151, v85, v82
.LBB4_9129:                             ;   in Loop: Header=BB4_8714 Depth=3
	s_or_b32 exec_lo, exec_lo, s31
	s_delay_alu instid0(VALU_DEP_1) | instskip(SKIP_2) | instid1(VALU_DEP_1)
	v_max_f32_e32 v82, v82, v82
	v_max_f32_e32 v70, v70, v70
	s_mov_b32 s13, 0
	v_max_f32_e32 v70, v70, v82
	s_branch .LBB4_9131
.LBB4_9130:                             ;   in Loop: Header=BB4_8714 Depth=3
	s_mov_b32 s13, -1
                                        ; implicit-def: $vgpr70
.LBB4_9131:                             ;   in Loop: Header=BB4_8714 Depth=3
	s_delay_alu instid0(SALU_CYCLE_1)
	s_and_b32 vcc_lo, exec_lo, s13
	s_cbranch_vccz .LBB4_9141
; %bb.9132:                             ;   in Loop: Header=BB4_8714 Depth=3
	v_and_b32_e32 v82, 0xff, v22
	s_mov_b32 s13, 0
	s_mov_b32 s34, exec_lo
                                        ; implicit-def: $sgpr31
	s_delay_alu instid0(VALU_DEP_1)
	v_cmpx_lt_i16_e32 0x7f, v82
	s_xor_b32 s34, exec_lo, s34
	s_cbranch_execnz .LBB4_9408
; %bb.9133:                             ;   in Loop: Header=BB4_8714 Depth=3
	s_or_saveexec_b32 s34, s34
	v_mov_b32_e32 v70, s31
	s_xor_b32 exec_lo, exec_lo, s34
	s_cbranch_execnz .LBB4_9411
.LBB4_9134:                             ;   in Loop: Header=BB4_8714 Depth=3
	s_or_b32 exec_lo, exec_lo, s34
	s_and_saveexec_b32 s31, s13
	s_cbranch_execz .LBB4_9136
.LBB4_9135:                             ;   in Loop: Header=BB4_8714 Depth=3
	v_and_b32_e32 v70, 7, v22
	v_lshrrev_b16 v151, 3, v22
	s_delay_alu instid0(VALU_DEP_2) | instskip(NEXT) | instid1(VALU_DEP_1)
	v_clz_i32_u32_e32 v82, v70
	v_min_u32_e32 v82, 32, v82
	s_delay_alu instid0(VALU_DEP_1) | instskip(SKIP_1) | instid1(VALU_DEP_2)
	v_subrev_nc_u32_e32 v85, 28, v82
	v_sub_nc_u32_e32 v82, 29, v82
	v_lshlrev_b32_e32 v85, v85, v22
	v_lshlrev_b32_e32 v22, 24, v22
	s_delay_alu instid0(VALU_DEP_2) | instskip(SKIP_1) | instid1(VALU_DEP_3)
	v_and_b32_e32 v85, 7, v85
	v_and_b32_e32 v151, 15, v151
	v_and_b32_e32 v22, 0x80000000, v22
	s_delay_alu instid0(VALU_DEP_2) | instskip(NEXT) | instid1(VALU_DEP_4)
	v_cmp_eq_u32_e32 vcc_lo, 0, v151
	v_cndmask_b32_e32 v70, v70, v85, vcc_lo
	v_cndmask_b32_e32 v82, v151, v82, vcc_lo
	s_delay_alu instid0(VALU_DEP_2) | instskip(NEXT) | instid1(VALU_DEP_2)
	v_lshlrev_b32_e32 v70, 20, v70
	v_lshl_add_u32 v82, v82, 23, 0x3b800000
	s_delay_alu instid0(VALU_DEP_1)
	v_or3_b32 v70, v22, v82, v70
.LBB4_9136:                             ;   in Loop: Header=BB4_8714 Depth=3
	s_or_b32 exec_lo, exec_lo, s31
	s_waitcnt vmcnt(1) lgkmcnt(1)
	v_and_b32_e32 v82, 0xff, v21
	s_mov_b32 s13, 0
	s_mov_b32 s34, exec_lo
                                        ; implicit-def: $sgpr31
	s_delay_alu instid0(VALU_DEP_1)
	v_cmpx_lt_i16_e32 0x7f, v82
	s_xor_b32 s34, exec_lo, s34
	s_cbranch_execnz .LBB4_9412
; %bb.9137:                             ;   in Loop: Header=BB4_8714 Depth=3
	s_or_saveexec_b32 s34, s34
	v_mov_b32_e32 v22, s31
	s_xor_b32 exec_lo, exec_lo, s34
	s_cbranch_execnz .LBB4_9415
.LBB4_9138:                             ;   in Loop: Header=BB4_8714 Depth=3
	s_or_b32 exec_lo, exec_lo, s34
	s_and_saveexec_b32 s31, s13
	s_cbranch_execz .LBB4_9140
.LBB4_9139:                             ;   in Loop: Header=BB4_8714 Depth=3
	v_and_b32_e32 v22, 7, v21
	v_lshrrev_b16 v151, 3, v21
	s_delay_alu instid0(VALU_DEP_2) | instskip(NEXT) | instid1(VALU_DEP_2)
	v_clz_i32_u32_e32 v82, v22
	v_and_b32_e32 v151, 15, v151
	s_delay_alu instid0(VALU_DEP_2) | instskip(NEXT) | instid1(VALU_DEP_2)
	v_min_u32_e32 v82, 32, v82
	v_cmp_eq_u32_e32 vcc_lo, 0, v151
	s_delay_alu instid0(VALU_DEP_2) | instskip(SKIP_1) | instid1(VALU_DEP_1)
	v_subrev_nc_u32_e32 v85, 28, v82
	v_sub_nc_u32_e32 v82, 29, v82
	v_dual_cndmask_b32 v82, v151, v82 :: v_dual_lshlrev_b32 v85, v85, v21
	v_lshlrev_b32_e32 v21, 24, v21
	s_delay_alu instid0(VALU_DEP_2) | instskip(NEXT) | instid1(VALU_DEP_3)
	v_and_b32_e32 v85, 7, v85
	v_lshl_add_u32 v82, v82, 23, 0x3b800000
	s_delay_alu instid0(VALU_DEP_3) | instskip(NEXT) | instid1(VALU_DEP_3)
	v_and_b32_e32 v21, 0x80000000, v21
	v_cndmask_b32_e32 v22, v22, v85, vcc_lo
	s_delay_alu instid0(VALU_DEP_1) | instskip(NEXT) | instid1(VALU_DEP_1)
	v_lshlrev_b32_e32 v22, 20, v22
	v_or3_b32 v22, v21, v82, v22
.LBB4_9140:                             ;   in Loop: Header=BB4_8714 Depth=3
	s_or_b32 exec_lo, exec_lo, s31
	s_delay_alu instid0(VALU_DEP_1) | instskip(SKIP_1) | instid1(VALU_DEP_1)
	v_max_f32_e32 v21, v22, v22
	v_max_f32_e32 v22, v70, v70
	v_min_f32_e32 v70, v22, v21
.LBB4_9141:                             ;   in Loop: Header=BB4_8714 Depth=3
	s_waitcnt vmcnt(1) lgkmcnt(1)
	s_delay_alu instid0(VALU_DEP_1) | instskip(NEXT) | instid1(VALU_DEP_1)
	v_and_b32_e32 v21, 0x7f800000, v70
	v_cmp_ne_u32_e32 vcc_lo, 0x7f800000, v21
	v_mov_b32_e32 v21, 0x80
	s_and_saveexec_b32 s31, vcc_lo
	s_cbranch_execz .LBB4_9149
; %bb.9142:                             ;   in Loop: Header=BB4_8714 Depth=3
	v_mov_b32_e32 v21, 0
	s_mov_b32 s34, exec_lo
	v_cmpx_ne_u32_e32 0, v70
	s_cbranch_execz .LBB4_9148
; %bb.9143:                             ;   in Loop: Header=BB4_8714 Depth=3
	v_bfe_u32 v21, v70, 23, 8
	v_and_b32_e32 v22, 0x7fffff, v70
	s_delay_alu instid0(VALU_DEP_2) | instskip(SKIP_1) | instid1(VALU_DEP_3)
	v_sub_nc_u32_e32 v82, 0x78, v21
	v_cmp_gt_u32_e32 vcc_lo, 0x79, v21
	v_or_b32_e32 v85, 0x800000, v22
	s_delay_alu instid0(VALU_DEP_3) | instskip(SKIP_2) | instid1(VALU_DEP_3)
	v_cndmask_b32_e32 v82, 0, v82, vcc_lo
	v_cmp_eq_u32_e32 vcc_lo, 0, v21
	v_add_nc_u32_e32 v21, 0xffffff89, v21
	v_cndmask_b32_e64 v82, v82, 0x77, vcc_lo
	v_cndmask_b32_e32 v22, v85, v22, vcc_lo
	s_delay_alu instid0(VALU_DEP_3) | instskip(NEXT) | instid1(VALU_DEP_3)
	v_cndmask_b32_e64 v21, v21, 0xffffff8a, vcc_lo
	v_lshl_add_u32 v85, 0x100000, v82, -1
	s_delay_alu instid0(VALU_DEP_3) | instskip(SKIP_1) | instid1(VALU_DEP_4)
	v_lshrrev_b32_e32 v151, v82, v22
	v_lshlrev_b32_e64 v165, v82, 0x80000
	v_add_nc_u32_e32 v82, v82, v21
	s_delay_alu instid0(VALU_DEP_4) | instskip(NEXT) | instid1(VALU_DEP_4)
	v_and_b32_e32 v22, v85, v22
	v_bfe_u32 v162, v151, 20, 1
	s_delay_alu instid0(VALU_DEP_2) | instskip(NEXT) | instid1(VALU_DEP_2)
	v_cmp_eq_u32_e64 s13, v22, v165
	v_add_nc_u32_e32 v85, -1, v162
	s_delay_alu instid0(VALU_DEP_1) | instskip(SKIP_2) | instid1(VALU_DEP_2)
	v_cndmask_b32_e64 v22, 0, v85, s13
	v_lshrrev_b32_e32 v85, 23, v151
	s_mov_b32 s13, exec_lo
	v_add_nc_u32_e32 v22, v22, v151
	s_delay_alu instid0(VALU_DEP_2) | instskip(NEXT) | instid1(VALU_DEP_2)
	v_xor_b32_e32 v85, 1, v85
	v_and_b32_e32 v21, 0xfffff, v22
	s_delay_alu instid0(VALU_DEP_1) | instskip(NEXT) | instid1(VALU_DEP_3)
	v_add_nc_u32_e32 v22, v21, v151
                                        ; implicit-def: $vgpr21
	v_cmpx_ne_u32_e64 v82, v85
	s_xor_b32 s13, exec_lo, s13
; %bb.9144:                             ;   in Loop: Header=BB4_8714 Depth=3
	s_delay_alu instid0(VALU_DEP_2) | instskip(SKIP_2) | instid1(VALU_DEP_2)
	v_cmp_lt_u32_e32 vcc_lo, 0xffffff, v22
	v_sub_nc_u32_e32 v21, v82, v85
	v_cndmask_b32_e64 v82, 0, 1, vcc_lo
	v_add_co_ci_u32_e32 v21, vcc_lo, 0, v21, vcc_lo
	s_delay_alu instid0(VALU_DEP_2)
	v_lshrrev_b32_e32 v22, v82, v22
; %bb.9145:                             ;   in Loop: Header=BB4_8714 Depth=3
	s_and_not1_saveexec_b32 s13, s13
; %bb.9146:                             ;   in Loop: Header=BB4_8714 Depth=3
	s_delay_alu instid0(VALU_DEP_1)
	v_bfe_u32 v21, v22, 23, 1
; %bb.9147:                             ;   in Loop: Header=BB4_8714 Depth=3
	s_or_b32 exec_lo, exec_lo, s13
	v_lshrrev_b32_e32 v22, 20, v22
	s_delay_alu instid0(VALU_DEP_2) | instskip(SKIP_2) | instid1(VALU_DEP_4)
	v_cmp_gt_i32_e32 vcc_lo, 16, v21
	v_lshrrev_b32_e32 v70, 24, v70
	v_min_i32_e32 v82, 15, v21
	v_cndmask_b32_e32 v22, 7, v22, vcc_lo
	s_delay_alu instid0(VALU_DEP_3) | instskip(NEXT) | instid1(VALU_DEP_3)
	v_and_b32_e32 v70, 0x80, v70
	v_lshlrev_b32_e32 v82, 3, v82
	s_delay_alu instid0(VALU_DEP_3) | instskip(SKIP_1) | instid1(VALU_DEP_2)
	v_and_b32_e32 v85, 7, v22
	v_or_b32_e32 v21, v21, v22
	v_or3_b32 v22, v82, v70, v85
	s_delay_alu instid0(VALU_DEP_2) | instskip(NEXT) | instid1(VALU_DEP_2)
	v_cmp_ne_u32_e32 vcc_lo, 0, v21
	v_cndmask_b32_e32 v21, 0, v22, vcc_lo
.LBB4_9148:                             ;   in Loop: Header=BB4_8714 Depth=3
	s_or_b32 exec_lo, exec_lo, s34
.LBB4_9149:                             ;   in Loop: Header=BB4_8714 Depth=3
	s_delay_alu instid0(SALU_CYCLE_1) | instskip(NEXT) | instid1(SALU_CYCLE_1)
	s_or_b32 exec_lo, exec_lo, s31
	s_and_not1_b32 vcc_lo, exec_lo, s16
	s_cbranch_vccnz .LBB4_9159
; %bb.9150:                             ;   in Loop: Header=BB4_8714 Depth=3
	v_and_b32_e32 v70, 0xff, v19
	s_mov_b32 s13, 0
	s_mov_b32 s34, exec_lo
                                        ; implicit-def: $sgpr31
	s_delay_alu instid0(VALU_DEP_1)
	v_cmpx_lt_i16_e32 0x7f, v70
	s_xor_b32 s34, exec_lo, s34
	s_cbranch_execnz .LBB4_9416
; %bb.9151:                             ;   in Loop: Header=BB4_8714 Depth=3
	s_or_saveexec_b32 s34, s34
	v_mov_b32_e32 v22, s31
	s_xor_b32 exec_lo, exec_lo, s34
	s_cbranch_execnz .LBB4_9419
.LBB4_9152:                             ;   in Loop: Header=BB4_8714 Depth=3
	s_or_b32 exec_lo, exec_lo, s34
	s_and_saveexec_b32 s31, s13
	s_cbranch_execz .LBB4_9154
.LBB4_9153:                             ;   in Loop: Header=BB4_8714 Depth=3
	v_and_b32_e32 v22, 7, v19
	v_lshrrev_b16 v85, 3, v19
	s_delay_alu instid0(VALU_DEP_2) | instskip(NEXT) | instid1(VALU_DEP_1)
	v_clz_i32_u32_e32 v70, v22
	v_min_u32_e32 v70, 32, v70
	s_delay_alu instid0(VALU_DEP_1) | instskip(SKIP_1) | instid1(VALU_DEP_2)
	v_subrev_nc_u32_e32 v82, 28, v70
	v_sub_nc_u32_e32 v70, 29, v70
	v_lshlrev_b32_e32 v82, v82, v19
	s_delay_alu instid0(VALU_DEP_1) | instskip(SKIP_1) | instid1(VALU_DEP_1)
	v_and_b32_e32 v82, 7, v82
	v_and_b32_e32 v85, 15, v85
	v_cmp_eq_u32_e32 vcc_lo, 0, v85
	s_delay_alu instid0(VALU_DEP_3) | instskip(SKIP_1) | instid1(VALU_DEP_2)
	v_dual_cndmask_b32 v22, v22, v82 :: v_dual_lshlrev_b32 v151, 24, v19
	v_cndmask_b32_e32 v70, v85, v70, vcc_lo
	v_lshlrev_b32_e32 v22, 20, v22
	s_delay_alu instid0(VALU_DEP_3) | instskip(NEXT) | instid1(VALU_DEP_3)
	v_and_b32_e32 v82, 0x80000000, v151
	v_lshl_add_u32 v70, v70, 23, 0x3b800000
	s_delay_alu instid0(VALU_DEP_1)
	v_or3_b32 v22, v82, v70, v22
.LBB4_9154:                             ;   in Loop: Header=BB4_8714 Depth=3
	s_or_b32 exec_lo, exec_lo, s31
	s_waitcnt vmcnt(0) lgkmcnt(0)
	v_and_b32_e32 v82, 0xff, v18
	s_mov_b32 s13, 0
	s_mov_b32 s34, exec_lo
                                        ; implicit-def: $sgpr31
	s_delay_alu instid0(VALU_DEP_1)
	v_cmpx_lt_i16_e32 0x7f, v82
	s_xor_b32 s34, exec_lo, s34
	s_cbranch_execnz .LBB4_9420
; %bb.9155:                             ;   in Loop: Header=BB4_8714 Depth=3
	s_or_saveexec_b32 s34, s34
	v_mov_b32_e32 v70, s31
	s_xor_b32 exec_lo, exec_lo, s34
	s_cbranch_execnz .LBB4_9423
.LBB4_9156:                             ;   in Loop: Header=BB4_8714 Depth=3
	s_or_b32 exec_lo, exec_lo, s34
	s_and_saveexec_b32 s31, s13
	s_cbranch_execz .LBB4_9158
.LBB4_9157:                             ;   in Loop: Header=BB4_8714 Depth=3
	v_and_b32_e32 v70, 7, v18
	v_lshrrev_b16 v151, 3, v18
	v_lshlrev_b32_e32 v162, 24, v18
	s_delay_alu instid0(VALU_DEP_3) | instskip(NEXT) | instid1(VALU_DEP_1)
	v_clz_i32_u32_e32 v82, v70
	v_min_u32_e32 v82, 32, v82
	s_delay_alu instid0(VALU_DEP_1) | instskip(SKIP_1) | instid1(VALU_DEP_2)
	v_subrev_nc_u32_e32 v85, 28, v82
	v_sub_nc_u32_e32 v82, 29, v82
	v_lshlrev_b32_e32 v85, v85, v18
	s_delay_alu instid0(VALU_DEP_1) | instskip(SKIP_1) | instid1(VALU_DEP_1)
	v_and_b32_e32 v85, 7, v85
	v_and_b32_e32 v151, 15, v151
	v_cmp_eq_u32_e32 vcc_lo, 0, v151
	s_delay_alu instid0(VALU_DEP_3) | instskip(SKIP_2) | instid1(VALU_DEP_3)
	v_cndmask_b32_e32 v70, v70, v85, vcc_lo
	v_cndmask_b32_e32 v82, v151, v82, vcc_lo
	v_and_b32_e32 v85, 0x80000000, v162
	v_lshlrev_b32_e32 v70, 20, v70
	s_delay_alu instid0(VALU_DEP_3) | instskip(NEXT) | instid1(VALU_DEP_1)
	v_lshl_add_u32 v82, v82, 23, 0x3b800000
	v_or3_b32 v70, v85, v82, v70
.LBB4_9158:                             ;   in Loop: Header=BB4_8714 Depth=3
	s_or_b32 exec_lo, exec_lo, s31
	s_delay_alu instid0(VALU_DEP_1) | instskip(SKIP_2) | instid1(VALU_DEP_1)
	v_max_f32_e32 v70, v70, v70
	v_max_f32_e32 v22, v22, v22
	s_mov_b32 s13, 0
	v_max_f32_e32 v22, v22, v70
	s_branch .LBB4_9160
.LBB4_9159:                             ;   in Loop: Header=BB4_8714 Depth=3
	s_mov_b32 s13, -1
                                        ; implicit-def: $vgpr22
.LBB4_9160:                             ;   in Loop: Header=BB4_8714 Depth=3
	s_delay_alu instid0(SALU_CYCLE_1)
	s_and_b32 vcc_lo, exec_lo, s13
	s_cbranch_vccz .LBB4_9170
; %bb.9161:                             ;   in Loop: Header=BB4_8714 Depth=3
	v_and_b32_e32 v70, 0xff, v19
	s_mov_b32 s13, 0
	s_mov_b32 s34, exec_lo
                                        ; implicit-def: $sgpr31
	s_delay_alu instid0(VALU_DEP_1)
	v_cmpx_lt_i16_e32 0x7f, v70
	s_xor_b32 s34, exec_lo, s34
	s_cbranch_execnz .LBB4_9424
; %bb.9162:                             ;   in Loop: Header=BB4_8714 Depth=3
	s_or_saveexec_b32 s34, s34
	v_mov_b32_e32 v22, s31
	s_xor_b32 exec_lo, exec_lo, s34
	s_cbranch_execnz .LBB4_9427
.LBB4_9163:                             ;   in Loop: Header=BB4_8714 Depth=3
	s_or_b32 exec_lo, exec_lo, s34
	s_and_saveexec_b32 s31, s13
	s_cbranch_execz .LBB4_9165
.LBB4_9164:                             ;   in Loop: Header=BB4_8714 Depth=3
	v_and_b32_e32 v22, 7, v19
	v_lshrrev_b16 v85, 3, v19
	s_delay_alu instid0(VALU_DEP_2) | instskip(NEXT) | instid1(VALU_DEP_1)
	v_clz_i32_u32_e32 v70, v22
	v_min_u32_e32 v70, 32, v70
	s_delay_alu instid0(VALU_DEP_1) | instskip(SKIP_1) | instid1(VALU_DEP_2)
	v_subrev_nc_u32_e32 v82, 28, v70
	v_sub_nc_u32_e32 v70, 29, v70
	v_lshlrev_b32_e32 v82, v82, v19
	s_delay_alu instid0(VALU_DEP_1) | instskip(SKIP_1) | instid1(VALU_DEP_1)
	v_and_b32_e32 v82, 7, v82
	v_and_b32_e32 v85, 15, v85
	v_cmp_eq_u32_e32 vcc_lo, 0, v85
	s_delay_alu instid0(VALU_DEP_3) | instskip(SKIP_1) | instid1(VALU_DEP_2)
	v_dual_cndmask_b32 v22, v22, v82 :: v_dual_lshlrev_b32 v19, 24, v19
	v_cndmask_b32_e32 v70, v85, v70, vcc_lo
	v_lshlrev_b32_e32 v22, 20, v22
	s_delay_alu instid0(VALU_DEP_3) | instskip(NEXT) | instid1(VALU_DEP_3)
	v_and_b32_e32 v19, 0x80000000, v19
	v_lshl_add_u32 v70, v70, 23, 0x3b800000
	s_delay_alu instid0(VALU_DEP_1)
	v_or3_b32 v22, v19, v70, v22
.LBB4_9165:                             ;   in Loop: Header=BB4_8714 Depth=3
	s_or_b32 exec_lo, exec_lo, s31
	s_waitcnt vmcnt(0) lgkmcnt(0)
	v_and_b32_e32 v70, 0xff, v18
	s_mov_b32 s13, 0
	s_mov_b32 s34, exec_lo
                                        ; implicit-def: $sgpr31
	s_delay_alu instid0(VALU_DEP_1)
	v_cmpx_lt_i16_e32 0x7f, v70
	s_xor_b32 s34, exec_lo, s34
	s_cbranch_execnz .LBB4_9428
; %bb.9166:                             ;   in Loop: Header=BB4_8714 Depth=3
	s_or_saveexec_b32 s34, s34
	v_mov_b32_e32 v19, s31
	s_xor_b32 exec_lo, exec_lo, s34
	s_cbranch_execnz .LBB4_9431
.LBB4_9167:                             ;   in Loop: Header=BB4_8714 Depth=3
	s_or_b32 exec_lo, exec_lo, s34
	s_and_saveexec_b32 s31, s13
	s_cbranch_execz .LBB4_9169
.LBB4_9168:                             ;   in Loop: Header=BB4_8714 Depth=3
	v_and_b32_e32 v19, 7, v18
	v_lshrrev_b16 v85, 3, v18
	s_delay_alu instid0(VALU_DEP_2) | instskip(NEXT) | instid1(VALU_DEP_2)
	v_clz_i32_u32_e32 v70, v19
	v_and_b32_e32 v85, 15, v85
	s_delay_alu instid0(VALU_DEP_2) | instskip(NEXT) | instid1(VALU_DEP_2)
	v_min_u32_e32 v70, 32, v70
	v_cmp_eq_u32_e32 vcc_lo, 0, v85
	s_delay_alu instid0(VALU_DEP_2) | instskip(SKIP_1) | instid1(VALU_DEP_2)
	v_subrev_nc_u32_e32 v82, 28, v70
	v_sub_nc_u32_e32 v70, 29, v70
	v_lshlrev_b32_e32 v82, v82, v18
	v_lshlrev_b32_e32 v18, 24, v18
	s_delay_alu instid0(VALU_DEP_2) | instskip(NEXT) | instid1(VALU_DEP_2)
	v_and_b32_e32 v82, 7, v82
	v_and_b32_e32 v18, 0x80000000, v18
	s_delay_alu instid0(VALU_DEP_2) | instskip(NEXT) | instid1(VALU_DEP_1)
	v_cndmask_b32_e32 v19, v19, v82, vcc_lo
	v_dual_cndmask_b32 v70, v85, v70 :: v_dual_lshlrev_b32 v19, 20, v19
	s_delay_alu instid0(VALU_DEP_1) | instskip(NEXT) | instid1(VALU_DEP_1)
	v_lshl_add_u32 v70, v70, 23, 0x3b800000
	v_or3_b32 v19, v18, v70, v19
.LBB4_9169:                             ;   in Loop: Header=BB4_8714 Depth=3
	s_or_b32 exec_lo, exec_lo, s31
	s_delay_alu instid0(VALU_DEP_1) | instskip(NEXT) | instid1(VALU_DEP_1)
	v_dual_max_f32 v18, v19, v19 :: v_dual_max_f32 v19, v22, v22
	v_min_f32_e32 v22, v19, v18
.LBB4_9170:                             ;   in Loop: Header=BB4_8714 Depth=3
	s_waitcnt vmcnt(0) lgkmcnt(0)
	s_delay_alu instid0(VALU_DEP_1) | instskip(NEXT) | instid1(VALU_DEP_1)
	v_and_b32_e32 v18, 0x7f800000, v22
	v_cmp_ne_u32_e32 vcc_lo, 0x7f800000, v18
	v_mov_b32_e32 v18, 0x80
	s_and_saveexec_b32 s31, vcc_lo
	s_cbranch_execz .LBB4_8713
; %bb.9171:                             ;   in Loop: Header=BB4_8714 Depth=3
	v_mov_b32_e32 v18, 0
	s_mov_b32 s34, exec_lo
	v_cmpx_ne_u32_e32 0, v22
	s_cbranch_execz .LBB4_8712
; %bb.9172:                             ;   in Loop: Header=BB4_8714 Depth=3
	v_bfe_u32 v18, v22, 23, 8
	v_and_b32_e32 v19, 0x7fffff, v22
	s_delay_alu instid0(VALU_DEP_2) | instskip(SKIP_1) | instid1(VALU_DEP_3)
	v_sub_nc_u32_e32 v70, 0x78, v18
	v_cmp_gt_u32_e32 vcc_lo, 0x79, v18
	v_or_b32_e32 v82, 0x800000, v19
	s_delay_alu instid0(VALU_DEP_3) | instskip(SKIP_1) | instid1(VALU_DEP_3)
	v_cndmask_b32_e32 v70, 0, v70, vcc_lo
	v_cmp_eq_u32_e32 vcc_lo, 0, v18
	v_dual_cndmask_b32 v19, v82, v19 :: v_dual_add_nc_u32 v18, 0xffffff89, v18
	s_delay_alu instid0(VALU_DEP_3) | instskip(NEXT) | instid1(VALU_DEP_2)
	v_cndmask_b32_e64 v70, v70, 0x77, vcc_lo
	v_cndmask_b32_e64 v18, v18, 0xffffff8a, vcc_lo
	s_delay_alu instid0(VALU_DEP_2) | instskip(SKIP_2) | instid1(VALU_DEP_4)
	v_lshrrev_b32_e32 v85, v70, v19
	v_lshl_add_u32 v82, 0x100000, v70, -1
	v_lshlrev_b32_e64 v162, v70, 0x80000
	v_add_nc_u32_e32 v70, v70, v18
	s_delay_alu instid0(VALU_DEP_4) | instskip(NEXT) | instid1(VALU_DEP_4)
	v_bfe_u32 v151, v85, 20, 1
	v_and_b32_e32 v19, v82, v19
	s_delay_alu instid0(VALU_DEP_2) | instskip(NEXT) | instid1(VALU_DEP_2)
	v_add_nc_u32_e32 v82, -1, v151
	v_cmp_eq_u32_e64 s13, v19, v162
	s_delay_alu instid0(VALU_DEP_1) | instskip(SKIP_2) | instid1(VALU_DEP_2)
	v_cndmask_b32_e64 v19, 0, v82, s13
	v_lshrrev_b32_e32 v82, 23, v85
	s_mov_b32 s13, exec_lo
	v_add_nc_u32_e32 v19, v19, v85
	s_delay_alu instid0(VALU_DEP_2) | instskip(NEXT) | instid1(VALU_DEP_2)
	v_xor_b32_e32 v82, 1, v82
	v_and_b32_e32 v18, 0xfffff, v19
	s_delay_alu instid0(VALU_DEP_1) | instskip(NEXT) | instid1(VALU_DEP_3)
	v_add_nc_u32_e32 v19, v18, v85
                                        ; implicit-def: $vgpr18
	v_cmpx_ne_u32_e64 v70, v82
	s_xor_b32 s13, exec_lo, s13
; %bb.9173:                             ;   in Loop: Header=BB4_8714 Depth=3
	s_delay_alu instid0(VALU_DEP_2) | instskip(SKIP_2) | instid1(VALU_DEP_2)
	v_cmp_lt_u32_e32 vcc_lo, 0xffffff, v19
	v_sub_nc_u32_e32 v18, v70, v82
	v_cndmask_b32_e64 v70, 0, 1, vcc_lo
	v_add_co_ci_u32_e32 v18, vcc_lo, 0, v18, vcc_lo
	s_delay_alu instid0(VALU_DEP_2)
	v_lshrrev_b32_e32 v19, v70, v19
; %bb.9174:                             ;   in Loop: Header=BB4_8714 Depth=3
	s_and_not1_saveexec_b32 s13, s13
	s_cbranch_execz .LBB4_8711
; %bb.9175:                             ;   in Loop: Header=BB4_8714 Depth=3
	s_delay_alu instid0(VALU_DEP_1)
	v_bfe_u32 v18, v19, 23, 1
	s_branch .LBB4_8711
.LBB4_9176:                             ;   in Loop: Header=BB4_8714 Depth=3
	s_mov_b32 s13, -1
	s_mov_b32 s35, exec_lo
                                        ; implicit-def: $sgpr31
	v_cmpx_eq_u16_e32 0x80, v40
; %bb.9177:                             ;   in Loop: Header=BB4_8714 Depth=3
	s_mov_b32 s31, 0x7f800001
	s_xor_b32 s13, exec_lo, -1
; %bb.9178:                             ;   in Loop: Header=BB4_8714 Depth=3
	s_or_b32 exec_lo, exec_lo, s35
	s_delay_alu instid0(SALU_CYCLE_1)
	s_and_b32 s13, s13, exec_lo
                                        ; implicit-def: $vgpr40
	s_or_saveexec_b32 s34, s34
	v_mov_b32_e32 v183, s31
	s_xor_b32 exec_lo, exec_lo, s34
	s_cbranch_execz .LBB4_8717
.LBB4_9179:                             ;   in Loop: Header=BB4_8714 Depth=3
	v_cmp_ne_u16_e32 vcc_lo, 0, v40
	v_mov_b32_e32 v183, 0
	s_and_not1_b32 s13, s13, exec_lo
	s_and_b32 vcc_lo, vcc_lo, exec_lo
	s_delay_alu instid0(SALU_CYCLE_1)
	s_or_b32 s13, s13, vcc_lo
	s_or_b32 exec_lo, exec_lo, s34
	s_and_saveexec_b32 s31, s13
	s_cbranch_execnz .LBB4_8718
	s_branch .LBB4_8719
.LBB4_9180:                             ;   in Loop: Header=BB4_8714 Depth=3
	s_mov_b32 s13, -1
	s_mov_b32 s35, exec_lo
                                        ; implicit-def: $sgpr31
	v_cmpx_eq_u16_e32 0x80, v41
; %bb.9181:                             ;   in Loop: Header=BB4_8714 Depth=3
	s_mov_b32 s31, 0x7f800001
	s_xor_b32 s13, exec_lo, -1
; %bb.9182:                             ;   in Loop: Header=BB4_8714 Depth=3
	s_or_b32 exec_lo, exec_lo, s35
	s_delay_alu instid0(SALU_CYCLE_1)
	s_and_b32 s13, s13, exec_lo
                                        ; implicit-def: $vgpr41
	s_or_saveexec_b32 s34, s34
	v_mov_b32_e32 v40, s31
	s_xor_b32 exec_lo, exec_lo, s34
	s_cbranch_execz .LBB4_8721
.LBB4_9183:                             ;   in Loop: Header=BB4_8714 Depth=3
	v_cmp_ne_u16_e32 vcc_lo, 0, v41
	v_mov_b32_e32 v40, 0
	s_and_not1_b32 s13, s13, exec_lo
	s_and_b32 vcc_lo, vcc_lo, exec_lo
	s_delay_alu instid0(SALU_CYCLE_1)
	s_or_b32 s13, s13, vcc_lo
	s_or_b32 exec_lo, exec_lo, s34
	s_and_saveexec_b32 s31, s13
	s_cbranch_execnz .LBB4_8722
	s_branch .LBB4_8723
.LBB4_9184:                             ;   in Loop: Header=BB4_8714 Depth=3
	s_mov_b32 s13, -1
	s_mov_b32 s35, exec_lo
                                        ; implicit-def: $sgpr31
	v_cmpx_eq_u16_e32 0x80, v40
; %bb.9185:                             ;   in Loop: Header=BB4_8714 Depth=3
	s_mov_b32 s31, 0x7f800001
	s_xor_b32 s13, exec_lo, -1
; %bb.9186:                             ;   in Loop: Header=BB4_8714 Depth=3
	s_or_b32 exec_lo, exec_lo, s35
	s_delay_alu instid0(SALU_CYCLE_1)
	s_and_b32 s13, s13, exec_lo
                                        ; implicit-def: $vgpr40
	s_or_saveexec_b32 s34, s34
	v_mov_b32_e32 v183, s31
	s_xor_b32 exec_lo, exec_lo, s34
	s_cbranch_execz .LBB4_8728
.LBB4_9187:                             ;   in Loop: Header=BB4_8714 Depth=3
	v_cmp_ne_u16_e32 vcc_lo, 0, v40
	v_mov_b32_e32 v183, 0
	s_and_not1_b32 s13, s13, exec_lo
	s_and_b32 vcc_lo, vcc_lo, exec_lo
	s_delay_alu instid0(SALU_CYCLE_1)
	s_or_b32 s13, s13, vcc_lo
	s_or_b32 exec_lo, exec_lo, s34
	s_and_saveexec_b32 s31, s13
	s_cbranch_execnz .LBB4_8729
	s_branch .LBB4_8730
.LBB4_9188:                             ;   in Loop: Header=BB4_8714 Depth=3
	s_mov_b32 s13, -1
	s_mov_b32 s35, exec_lo
                                        ; implicit-def: $sgpr31
	v_cmpx_eq_u16_e32 0x80, v40
; %bb.9189:                             ;   in Loop: Header=BB4_8714 Depth=3
	s_mov_b32 s31, 0x7f800001
	s_xor_b32 s13, exec_lo, -1
; %bb.9190:                             ;   in Loop: Header=BB4_8714 Depth=3
	s_or_b32 exec_lo, exec_lo, s35
	s_delay_alu instid0(SALU_CYCLE_1)
	s_and_b32 s13, s13, exec_lo
                                        ; implicit-def: $vgpr40
	s_or_saveexec_b32 s34, s34
	v_mov_b32_e32 v182, s31
	s_xor_b32 exec_lo, exec_lo, s34
	s_cbranch_execz .LBB4_8732
.LBB4_9191:                             ;   in Loop: Header=BB4_8714 Depth=3
	v_cmp_ne_u16_e32 vcc_lo, 0, v40
	v_mov_b32_e32 v182, 0
	s_and_not1_b32 s13, s13, exec_lo
	s_and_b32 vcc_lo, vcc_lo, exec_lo
	s_delay_alu instid0(SALU_CYCLE_1)
	s_or_b32 s13, s13, vcc_lo
	s_or_b32 exec_lo, exec_lo, s34
	s_and_saveexec_b32 s31, s13
	s_cbranch_execnz .LBB4_8733
	s_branch .LBB4_8734
.LBB4_9192:                             ;   in Loop: Header=BB4_8714 Depth=3
	s_mov_b32 s13, -1
	s_mov_b32 s35, exec_lo
                                        ; implicit-def: $sgpr31
	v_cmpx_eq_u16_e64 0x80, v183
; %bb.9193:                             ;   in Loop: Header=BB4_8714 Depth=3
	s_mov_b32 s31, 0x7f800001
	s_xor_b32 s13, exec_lo, -1
; %bb.9194:                             ;   in Loop: Header=BB4_8714 Depth=3
	s_or_b32 exec_lo, exec_lo, s35
	s_delay_alu instid0(SALU_CYCLE_1)
	s_and_b32 s13, s13, exec_lo
                                        ; implicit-def: $vgpr183
	s_or_saveexec_b32 s34, s34
	v_mov_b32_e32 v182, s31
	s_xor_b32 exec_lo, exec_lo, s34
	s_cbranch_execz .LBB4_8746
.LBB4_9195:                             ;   in Loop: Header=BB4_8714 Depth=3
	v_cmp_ne_u16_e64 vcc_lo, 0, v183
	v_mov_b32_e32 v182, 0
	s_and_not1_b32 s13, s13, exec_lo
	s_delay_alu instid0(VALU_DEP_2) | instskip(NEXT) | instid1(SALU_CYCLE_1)
	s_and_b32 vcc_lo, vcc_lo, exec_lo
	s_or_b32 s13, s13, vcc_lo
	s_or_b32 exec_lo, exec_lo, s34
	s_and_saveexec_b32 s31, s13
	s_cbranch_execnz .LBB4_8747
	s_branch .LBB4_8748
.LBB4_9196:                             ;   in Loop: Header=BB4_8714 Depth=3
	s_mov_b32 s13, -1
	s_mov_b32 s35, exec_lo
                                        ; implicit-def: $sgpr31
	v_cmpx_eq_u16_e32 0x80, v40
; %bb.9197:                             ;   in Loop: Header=BB4_8714 Depth=3
	s_mov_b32 s31, 0x7f800001
	s_xor_b32 s13, exec_lo, -1
; %bb.9198:                             ;   in Loop: Header=BB4_8714 Depth=3
	s_or_b32 exec_lo, exec_lo, s35
	s_delay_alu instid0(SALU_CYCLE_1)
	s_and_b32 s13, s13, exec_lo
                                        ; implicit-def: $vgpr40
	s_or_saveexec_b32 s34, s34
	v_mov_b32_e32 v183, s31
	s_xor_b32 exec_lo, exec_lo, s34
	s_cbranch_execz .LBB4_8750
.LBB4_9199:                             ;   in Loop: Header=BB4_8714 Depth=3
	v_cmp_ne_u16_e32 vcc_lo, 0, v40
	v_mov_b32_e32 v183, 0
	s_and_not1_b32 s13, s13, exec_lo
	s_and_b32 vcc_lo, vcc_lo, exec_lo
	s_delay_alu instid0(SALU_CYCLE_1)
	s_or_b32 s13, s13, vcc_lo
	s_or_b32 exec_lo, exec_lo, s34
	s_and_saveexec_b32 s31, s13
	s_cbranch_execnz .LBB4_8751
	s_branch .LBB4_8752
.LBB4_9200:                             ;   in Loop: Header=BB4_8714 Depth=3
	s_mov_b32 s13, -1
	s_mov_b32 s35, exec_lo
                                        ; implicit-def: $sgpr31
	v_cmpx_eq_u16_e64 0x80, v183
; %bb.9201:                             ;   in Loop: Header=BB4_8714 Depth=3
	s_mov_b32 s31, 0x7f800001
	s_xor_b32 s13, exec_lo, -1
; %bb.9202:                             ;   in Loop: Header=BB4_8714 Depth=3
	s_or_b32 exec_lo, exec_lo, s35
	s_delay_alu instid0(SALU_CYCLE_1)
	s_and_b32 s13, s13, exec_lo
                                        ; implicit-def: $vgpr183
	s_or_saveexec_b32 s34, s34
	v_mov_b32_e32 v182, s31
	s_xor_b32 exec_lo, exec_lo, s34
	s_cbranch_execz .LBB4_8757
.LBB4_9203:                             ;   in Loop: Header=BB4_8714 Depth=3
	v_cmp_ne_u16_e64 vcc_lo, 0, v183
	v_mov_b32_e32 v182, 0
	s_and_not1_b32 s13, s13, exec_lo
	s_delay_alu instid0(VALU_DEP_2) | instskip(NEXT) | instid1(SALU_CYCLE_1)
	s_and_b32 vcc_lo, vcc_lo, exec_lo
	s_or_b32 s13, s13, vcc_lo
	s_or_b32 exec_lo, exec_lo, s34
	s_and_saveexec_b32 s31, s13
	s_cbranch_execnz .LBB4_8758
	s_branch .LBB4_8759
.LBB4_9204:                             ;   in Loop: Header=BB4_8714 Depth=3
	s_mov_b32 s13, -1
	s_mov_b32 s35, exec_lo
                                        ; implicit-def: $sgpr31
	v_cmpx_eq_u16_e64 0x80, v183
; %bb.9205:                             ;   in Loop: Header=BB4_8714 Depth=3
	s_mov_b32 s31, 0x7f800001
	s_xor_b32 s13, exec_lo, -1
; %bb.9206:                             ;   in Loop: Header=BB4_8714 Depth=3
	s_or_b32 exec_lo, exec_lo, s35
	s_delay_alu instid0(SALU_CYCLE_1)
	s_and_b32 s13, s13, exec_lo
                                        ; implicit-def: $vgpr183
	s_or_saveexec_b32 s34, s34
	v_mov_b32_e32 v181, s31
	s_xor_b32 exec_lo, exec_lo, s34
	s_cbranch_execz .LBB4_8761
.LBB4_9207:                             ;   in Loop: Header=BB4_8714 Depth=3
	v_cmp_ne_u16_e64 vcc_lo, 0, v183
	v_mov_b32_e32 v181, 0
	s_and_not1_b32 s13, s13, exec_lo
	s_delay_alu instid0(VALU_DEP_2) | instskip(NEXT) | instid1(SALU_CYCLE_1)
	s_and_b32 vcc_lo, vcc_lo, exec_lo
	s_or_b32 s13, s13, vcc_lo
	s_or_b32 exec_lo, exec_lo, s34
	s_and_saveexec_b32 s31, s13
	s_cbranch_execnz .LBB4_8762
	s_branch .LBB4_8763
.LBB4_9208:                             ;   in Loop: Header=BB4_8714 Depth=3
	s_mov_b32 s13, -1
	s_mov_b32 s35, exec_lo
                                        ; implicit-def: $sgpr31
	v_cmpx_eq_u16_e64 0x80, v182
; %bb.9209:                             ;   in Loop: Header=BB4_8714 Depth=3
	s_mov_b32 s31, 0x7f800001
	s_xor_b32 s13, exec_lo, -1
; %bb.9210:                             ;   in Loop: Header=BB4_8714 Depth=3
	s_or_b32 exec_lo, exec_lo, s35
	s_delay_alu instid0(SALU_CYCLE_1)
	s_and_b32 s13, s13, exec_lo
                                        ; implicit-def: $vgpr182
	s_or_saveexec_b32 s34, s34
	v_mov_b32_e32 v181, s31
	s_xor_b32 exec_lo, exec_lo, s34
	s_cbranch_execz .LBB4_8775
.LBB4_9211:                             ;   in Loop: Header=BB4_8714 Depth=3
	v_cmp_ne_u16_e64 vcc_lo, 0, v182
	v_mov_b32_e32 v181, 0
	s_and_not1_b32 s13, s13, exec_lo
	s_delay_alu instid0(VALU_DEP_2) | instskip(NEXT) | instid1(SALU_CYCLE_1)
	s_and_b32 vcc_lo, vcc_lo, exec_lo
	s_or_b32 s13, s13, vcc_lo
	s_or_b32 exec_lo, exec_lo, s34
	s_and_saveexec_b32 s31, s13
	s_cbranch_execnz .LBB4_8776
	s_branch .LBB4_8777
.LBB4_9212:                             ;   in Loop: Header=BB4_8714 Depth=3
	s_mov_b32 s13, -1
	s_mov_b32 s35, exec_lo
                                        ; implicit-def: $sgpr31
	v_cmpx_eq_u16_e64 0x80, v183
; %bb.9213:                             ;   in Loop: Header=BB4_8714 Depth=3
	s_mov_b32 s31, 0x7f800001
	s_xor_b32 s13, exec_lo, -1
; %bb.9214:                             ;   in Loop: Header=BB4_8714 Depth=3
	s_or_b32 exec_lo, exec_lo, s35
	s_delay_alu instid0(SALU_CYCLE_1)
	s_and_b32 s13, s13, exec_lo
                                        ; implicit-def: $vgpr183
	s_or_saveexec_b32 s34, s34
	v_mov_b32_e32 v182, s31
	s_xor_b32 exec_lo, exec_lo, s34
	s_cbranch_execz .LBB4_8779
.LBB4_9215:                             ;   in Loop: Header=BB4_8714 Depth=3
	v_cmp_ne_u16_e64 vcc_lo, 0, v183
	v_mov_b32_e32 v182, 0
	s_and_not1_b32 s13, s13, exec_lo
	s_delay_alu instid0(VALU_DEP_2) | instskip(NEXT) | instid1(SALU_CYCLE_1)
	s_and_b32 vcc_lo, vcc_lo, exec_lo
	s_or_b32 s13, s13, vcc_lo
	s_or_b32 exec_lo, exec_lo, s34
	s_and_saveexec_b32 s31, s13
	s_cbranch_execnz .LBB4_8780
	s_branch .LBB4_8781
.LBB4_9216:                             ;   in Loop: Header=BB4_8714 Depth=3
	s_mov_b32 s13, -1
	s_mov_b32 s35, exec_lo
                                        ; implicit-def: $sgpr31
	v_cmpx_eq_u16_e64 0x80, v182
; %bb.9217:                             ;   in Loop: Header=BB4_8714 Depth=3
	s_mov_b32 s31, 0x7f800001
	s_xor_b32 s13, exec_lo, -1
; %bb.9218:                             ;   in Loop: Header=BB4_8714 Depth=3
	s_or_b32 exec_lo, exec_lo, s35
	s_delay_alu instid0(SALU_CYCLE_1)
	s_and_b32 s13, s13, exec_lo
                                        ; implicit-def: $vgpr182
	s_or_saveexec_b32 s34, s34
	v_mov_b32_e32 v181, s31
	s_xor_b32 exec_lo, exec_lo, s34
	s_cbranch_execz .LBB4_8786
.LBB4_9219:                             ;   in Loop: Header=BB4_8714 Depth=3
	v_cmp_ne_u16_e64 vcc_lo, 0, v182
	v_mov_b32_e32 v181, 0
	s_and_not1_b32 s13, s13, exec_lo
	s_delay_alu instid0(VALU_DEP_2) | instskip(NEXT) | instid1(SALU_CYCLE_1)
	s_and_b32 vcc_lo, vcc_lo, exec_lo
	s_or_b32 s13, s13, vcc_lo
	s_or_b32 exec_lo, exec_lo, s34
	s_and_saveexec_b32 s31, s13
	s_cbranch_execnz .LBB4_8787
	s_branch .LBB4_8788
.LBB4_9220:                             ;   in Loop: Header=BB4_8714 Depth=3
	s_mov_b32 s13, -1
	s_mov_b32 s35, exec_lo
                                        ; implicit-def: $sgpr31
	v_cmpx_eq_u16_e64 0x80, v182
; %bb.9221:                             ;   in Loop: Header=BB4_8714 Depth=3
	s_mov_b32 s31, 0x7f800001
	s_xor_b32 s13, exec_lo, -1
; %bb.9222:                             ;   in Loop: Header=BB4_8714 Depth=3
	s_or_b32 exec_lo, exec_lo, s35
	s_delay_alu instid0(SALU_CYCLE_1)
	s_and_b32 s13, s13, exec_lo
                                        ; implicit-def: $vgpr182
	s_or_saveexec_b32 s34, s34
	v_mov_b32_e32 v180, s31
	s_xor_b32 exec_lo, exec_lo, s34
	s_cbranch_execz .LBB4_8790
.LBB4_9223:                             ;   in Loop: Header=BB4_8714 Depth=3
	v_cmp_ne_u16_e64 vcc_lo, 0, v182
	v_mov_b32_e32 v180, 0
	s_and_not1_b32 s13, s13, exec_lo
	s_delay_alu instid0(VALU_DEP_2) | instskip(NEXT) | instid1(SALU_CYCLE_1)
	s_and_b32 vcc_lo, vcc_lo, exec_lo
	s_or_b32 s13, s13, vcc_lo
	s_or_b32 exec_lo, exec_lo, s34
	s_and_saveexec_b32 s31, s13
	s_cbranch_execnz .LBB4_8791
	s_branch .LBB4_8792
.LBB4_9224:                             ;   in Loop: Header=BB4_8714 Depth=3
	s_mov_b32 s13, -1
	s_mov_b32 s35, exec_lo
                                        ; implicit-def: $sgpr31
	v_cmpx_eq_u16_e64 0x80, v181
; %bb.9225:                             ;   in Loop: Header=BB4_8714 Depth=3
	s_mov_b32 s31, 0x7f800001
	s_xor_b32 s13, exec_lo, -1
; %bb.9226:                             ;   in Loop: Header=BB4_8714 Depth=3
	s_or_b32 exec_lo, exec_lo, s35
	s_delay_alu instid0(SALU_CYCLE_1)
	s_and_b32 s13, s13, exec_lo
                                        ; implicit-def: $vgpr181
	s_or_saveexec_b32 s34, s34
	v_mov_b32_e32 v180, s31
	s_xor_b32 exec_lo, exec_lo, s34
	s_cbranch_execz .LBB4_8804
.LBB4_9227:                             ;   in Loop: Header=BB4_8714 Depth=3
	v_cmp_ne_u16_e64 vcc_lo, 0, v181
	v_mov_b32_e32 v180, 0
	s_and_not1_b32 s13, s13, exec_lo
	s_delay_alu instid0(VALU_DEP_2) | instskip(NEXT) | instid1(SALU_CYCLE_1)
	s_and_b32 vcc_lo, vcc_lo, exec_lo
	s_or_b32 s13, s13, vcc_lo
	s_or_b32 exec_lo, exec_lo, s34
	s_and_saveexec_b32 s31, s13
	s_cbranch_execnz .LBB4_8805
	s_branch .LBB4_8806
.LBB4_9228:                             ;   in Loop: Header=BB4_8714 Depth=3
	s_mov_b32 s13, -1
	s_mov_b32 s35, exec_lo
                                        ; implicit-def: $sgpr31
	v_cmpx_eq_u16_e64 0x80, v182
; %bb.9229:                             ;   in Loop: Header=BB4_8714 Depth=3
	s_mov_b32 s31, 0x7f800001
	s_xor_b32 s13, exec_lo, -1
; %bb.9230:                             ;   in Loop: Header=BB4_8714 Depth=3
	s_or_b32 exec_lo, exec_lo, s35
	s_delay_alu instid0(SALU_CYCLE_1)
	s_and_b32 s13, s13, exec_lo
                                        ; implicit-def: $vgpr182
	s_or_saveexec_b32 s34, s34
	v_mov_b32_e32 v181, s31
	s_xor_b32 exec_lo, exec_lo, s34
	s_cbranch_execz .LBB4_8808
.LBB4_9231:                             ;   in Loop: Header=BB4_8714 Depth=3
	v_cmp_ne_u16_e64 vcc_lo, 0, v182
	v_mov_b32_e32 v181, 0
	s_and_not1_b32 s13, s13, exec_lo
	s_delay_alu instid0(VALU_DEP_2) | instskip(NEXT) | instid1(SALU_CYCLE_1)
	s_and_b32 vcc_lo, vcc_lo, exec_lo
	s_or_b32 s13, s13, vcc_lo
	s_or_b32 exec_lo, exec_lo, s34
	s_and_saveexec_b32 s31, s13
	s_cbranch_execnz .LBB4_8809
	s_branch .LBB4_8810
.LBB4_9232:                             ;   in Loop: Header=BB4_8714 Depth=3
	s_mov_b32 s13, -1
	s_mov_b32 s35, exec_lo
                                        ; implicit-def: $sgpr31
	v_cmpx_eq_u16_e64 0x80, v181
; %bb.9233:                             ;   in Loop: Header=BB4_8714 Depth=3
	s_mov_b32 s31, 0x7f800001
	s_xor_b32 s13, exec_lo, -1
; %bb.9234:                             ;   in Loop: Header=BB4_8714 Depth=3
	s_or_b32 exec_lo, exec_lo, s35
	s_delay_alu instid0(SALU_CYCLE_1)
	s_and_b32 s13, s13, exec_lo
                                        ; implicit-def: $vgpr181
	s_or_saveexec_b32 s34, s34
	v_mov_b32_e32 v180, s31
	s_xor_b32 exec_lo, exec_lo, s34
	s_cbranch_execz .LBB4_8815
.LBB4_9235:                             ;   in Loop: Header=BB4_8714 Depth=3
	v_cmp_ne_u16_e64 vcc_lo, 0, v181
	v_mov_b32_e32 v180, 0
	s_and_not1_b32 s13, s13, exec_lo
	s_delay_alu instid0(VALU_DEP_2) | instskip(NEXT) | instid1(SALU_CYCLE_1)
	s_and_b32 vcc_lo, vcc_lo, exec_lo
	s_or_b32 s13, s13, vcc_lo
	s_or_b32 exec_lo, exec_lo, s34
	s_and_saveexec_b32 s31, s13
	s_cbranch_execnz .LBB4_8816
	s_branch .LBB4_8817
.LBB4_9236:                             ;   in Loop: Header=BB4_8714 Depth=3
	s_mov_b32 s13, -1
	s_mov_b32 s35, exec_lo
                                        ; implicit-def: $sgpr31
	v_cmpx_eq_u16_e64 0x80, v181
; %bb.9237:                             ;   in Loop: Header=BB4_8714 Depth=3
	s_mov_b32 s31, 0x7f800001
	s_xor_b32 s13, exec_lo, -1
; %bb.9238:                             ;   in Loop: Header=BB4_8714 Depth=3
	s_or_b32 exec_lo, exec_lo, s35
	s_delay_alu instid0(SALU_CYCLE_1)
	s_and_b32 s13, s13, exec_lo
                                        ; implicit-def: $vgpr181
	s_or_saveexec_b32 s34, s34
	v_mov_b32_e32 v179, s31
	s_xor_b32 exec_lo, exec_lo, s34
	s_cbranch_execz .LBB4_8819
.LBB4_9239:                             ;   in Loop: Header=BB4_8714 Depth=3
	v_cmp_ne_u16_e64 vcc_lo, 0, v181
	v_mov_b32_e32 v179, 0
	s_and_not1_b32 s13, s13, exec_lo
	s_delay_alu instid0(VALU_DEP_2) | instskip(NEXT) | instid1(SALU_CYCLE_1)
	s_and_b32 vcc_lo, vcc_lo, exec_lo
	s_or_b32 s13, s13, vcc_lo
	s_or_b32 exec_lo, exec_lo, s34
	s_and_saveexec_b32 s31, s13
	s_cbranch_execnz .LBB4_8820
	s_branch .LBB4_8821
.LBB4_9240:                             ;   in Loop: Header=BB4_8714 Depth=3
	s_mov_b32 s13, -1
	s_mov_b32 s35, exec_lo
                                        ; implicit-def: $sgpr31
	v_cmpx_eq_u16_e64 0x80, v180
; %bb.9241:                             ;   in Loop: Header=BB4_8714 Depth=3
	s_mov_b32 s31, 0x7f800001
	s_xor_b32 s13, exec_lo, -1
; %bb.9242:                             ;   in Loop: Header=BB4_8714 Depth=3
	s_or_b32 exec_lo, exec_lo, s35
	s_delay_alu instid0(SALU_CYCLE_1)
	s_and_b32 s13, s13, exec_lo
                                        ; implicit-def: $vgpr180
	s_or_saveexec_b32 s34, s34
	v_mov_b32_e32 v179, s31
	s_xor_b32 exec_lo, exec_lo, s34
	s_cbranch_execz .LBB4_8833
.LBB4_9243:                             ;   in Loop: Header=BB4_8714 Depth=3
	v_cmp_ne_u16_e64 vcc_lo, 0, v180
	v_mov_b32_e32 v179, 0
	s_and_not1_b32 s13, s13, exec_lo
	s_delay_alu instid0(VALU_DEP_2) | instskip(NEXT) | instid1(SALU_CYCLE_1)
	s_and_b32 vcc_lo, vcc_lo, exec_lo
	s_or_b32 s13, s13, vcc_lo
	s_or_b32 exec_lo, exec_lo, s34
	s_and_saveexec_b32 s31, s13
	s_cbranch_execnz .LBB4_8834
	s_branch .LBB4_8835
.LBB4_9244:                             ;   in Loop: Header=BB4_8714 Depth=3
	s_mov_b32 s13, -1
	s_mov_b32 s35, exec_lo
                                        ; implicit-def: $sgpr31
	v_cmpx_eq_u16_e64 0x80, v181
; %bb.9245:                             ;   in Loop: Header=BB4_8714 Depth=3
	s_mov_b32 s31, 0x7f800001
	s_xor_b32 s13, exec_lo, -1
; %bb.9246:                             ;   in Loop: Header=BB4_8714 Depth=3
	s_or_b32 exec_lo, exec_lo, s35
	s_delay_alu instid0(SALU_CYCLE_1)
	s_and_b32 s13, s13, exec_lo
                                        ; implicit-def: $vgpr181
	s_or_saveexec_b32 s34, s34
	v_mov_b32_e32 v180, s31
	s_xor_b32 exec_lo, exec_lo, s34
	s_cbranch_execz .LBB4_8837
.LBB4_9247:                             ;   in Loop: Header=BB4_8714 Depth=3
	v_cmp_ne_u16_e64 vcc_lo, 0, v181
	v_mov_b32_e32 v180, 0
	s_and_not1_b32 s13, s13, exec_lo
	s_delay_alu instid0(VALU_DEP_2) | instskip(NEXT) | instid1(SALU_CYCLE_1)
	s_and_b32 vcc_lo, vcc_lo, exec_lo
	s_or_b32 s13, s13, vcc_lo
	s_or_b32 exec_lo, exec_lo, s34
	s_and_saveexec_b32 s31, s13
	s_cbranch_execnz .LBB4_8838
	s_branch .LBB4_8839
.LBB4_9248:                             ;   in Loop: Header=BB4_8714 Depth=3
	s_mov_b32 s13, -1
	s_mov_b32 s35, exec_lo
                                        ; implicit-def: $sgpr31
	v_cmpx_eq_u16_e64 0x80, v180
; %bb.9249:                             ;   in Loop: Header=BB4_8714 Depth=3
	s_mov_b32 s31, 0x7f800001
	s_xor_b32 s13, exec_lo, -1
; %bb.9250:                             ;   in Loop: Header=BB4_8714 Depth=3
	s_or_b32 exec_lo, exec_lo, s35
	s_delay_alu instid0(SALU_CYCLE_1)
	s_and_b32 s13, s13, exec_lo
                                        ; implicit-def: $vgpr180
	s_or_saveexec_b32 s34, s34
	v_mov_b32_e32 v179, s31
	s_xor_b32 exec_lo, exec_lo, s34
	s_cbranch_execz .LBB4_8844
.LBB4_9251:                             ;   in Loop: Header=BB4_8714 Depth=3
	v_cmp_ne_u16_e64 vcc_lo, 0, v180
	v_mov_b32_e32 v179, 0
	s_and_not1_b32 s13, s13, exec_lo
	s_delay_alu instid0(VALU_DEP_2) | instskip(NEXT) | instid1(SALU_CYCLE_1)
	s_and_b32 vcc_lo, vcc_lo, exec_lo
	s_or_b32 s13, s13, vcc_lo
	s_or_b32 exec_lo, exec_lo, s34
	s_and_saveexec_b32 s31, s13
	s_cbranch_execnz .LBB4_8845
	s_branch .LBB4_8846
.LBB4_9252:                             ;   in Loop: Header=BB4_8714 Depth=3
	s_mov_b32 s13, -1
	s_mov_b32 s35, exec_lo
                                        ; implicit-def: $sgpr31
	v_cmpx_eq_u16_e64 0x80, v180
; %bb.9253:                             ;   in Loop: Header=BB4_8714 Depth=3
	s_mov_b32 s31, 0x7f800001
	s_xor_b32 s13, exec_lo, -1
; %bb.9254:                             ;   in Loop: Header=BB4_8714 Depth=3
	s_or_b32 exec_lo, exec_lo, s35
	s_delay_alu instid0(SALU_CYCLE_1)
	s_and_b32 s13, s13, exec_lo
                                        ; implicit-def: $vgpr180
	s_or_saveexec_b32 s34, s34
	v_mov_b32_e32 v178, s31
	s_xor_b32 exec_lo, exec_lo, s34
	s_cbranch_execz .LBB4_8848
.LBB4_9255:                             ;   in Loop: Header=BB4_8714 Depth=3
	v_cmp_ne_u16_e64 vcc_lo, 0, v180
	v_mov_b32_e32 v178, 0
	s_and_not1_b32 s13, s13, exec_lo
	s_delay_alu instid0(VALU_DEP_2) | instskip(NEXT) | instid1(SALU_CYCLE_1)
	s_and_b32 vcc_lo, vcc_lo, exec_lo
	s_or_b32 s13, s13, vcc_lo
	s_or_b32 exec_lo, exec_lo, s34
	s_and_saveexec_b32 s31, s13
	s_cbranch_execnz .LBB4_8849
	s_branch .LBB4_8850
.LBB4_9256:                             ;   in Loop: Header=BB4_8714 Depth=3
	s_mov_b32 s13, -1
	s_mov_b32 s35, exec_lo
                                        ; implicit-def: $sgpr31
	v_cmpx_eq_u16_e64 0x80, v179
; %bb.9257:                             ;   in Loop: Header=BB4_8714 Depth=3
	s_mov_b32 s31, 0x7f800001
	s_xor_b32 s13, exec_lo, -1
; %bb.9258:                             ;   in Loop: Header=BB4_8714 Depth=3
	s_or_b32 exec_lo, exec_lo, s35
	s_delay_alu instid0(SALU_CYCLE_1)
	s_and_b32 s13, s13, exec_lo
                                        ; implicit-def: $vgpr179
	s_or_saveexec_b32 s34, s34
	v_mov_b32_e32 v178, s31
	s_xor_b32 exec_lo, exec_lo, s34
	s_cbranch_execz .LBB4_8862
.LBB4_9259:                             ;   in Loop: Header=BB4_8714 Depth=3
	v_cmp_ne_u16_e64 vcc_lo, 0, v179
	v_mov_b32_e32 v178, 0
	s_and_not1_b32 s13, s13, exec_lo
	s_delay_alu instid0(VALU_DEP_2) | instskip(NEXT) | instid1(SALU_CYCLE_1)
	s_and_b32 vcc_lo, vcc_lo, exec_lo
	s_or_b32 s13, s13, vcc_lo
	s_or_b32 exec_lo, exec_lo, s34
	s_and_saveexec_b32 s31, s13
	s_cbranch_execnz .LBB4_8863
	s_branch .LBB4_8864
.LBB4_9260:                             ;   in Loop: Header=BB4_8714 Depth=3
	s_mov_b32 s13, -1
	s_mov_b32 s35, exec_lo
                                        ; implicit-def: $sgpr31
	v_cmpx_eq_u16_e64 0x80, v180
; %bb.9261:                             ;   in Loop: Header=BB4_8714 Depth=3
	s_mov_b32 s31, 0x7f800001
	s_xor_b32 s13, exec_lo, -1
; %bb.9262:                             ;   in Loop: Header=BB4_8714 Depth=3
	s_or_b32 exec_lo, exec_lo, s35
	s_delay_alu instid0(SALU_CYCLE_1)
	s_and_b32 s13, s13, exec_lo
                                        ; implicit-def: $vgpr180
	s_or_saveexec_b32 s34, s34
	v_mov_b32_e32 v179, s31
	s_xor_b32 exec_lo, exec_lo, s34
	s_cbranch_execz .LBB4_8866
.LBB4_9263:                             ;   in Loop: Header=BB4_8714 Depth=3
	v_cmp_ne_u16_e64 vcc_lo, 0, v180
	v_mov_b32_e32 v179, 0
	s_and_not1_b32 s13, s13, exec_lo
	s_delay_alu instid0(VALU_DEP_2) | instskip(NEXT) | instid1(SALU_CYCLE_1)
	s_and_b32 vcc_lo, vcc_lo, exec_lo
	s_or_b32 s13, s13, vcc_lo
	s_or_b32 exec_lo, exec_lo, s34
	s_and_saveexec_b32 s31, s13
	s_cbranch_execnz .LBB4_8867
	s_branch .LBB4_8868
.LBB4_9264:                             ;   in Loop: Header=BB4_8714 Depth=3
	s_mov_b32 s13, -1
	s_mov_b32 s35, exec_lo
                                        ; implicit-def: $sgpr31
	v_cmpx_eq_u16_e64 0x80, v179
; %bb.9265:                             ;   in Loop: Header=BB4_8714 Depth=3
	s_mov_b32 s31, 0x7f800001
	s_xor_b32 s13, exec_lo, -1
; %bb.9266:                             ;   in Loop: Header=BB4_8714 Depth=3
	s_or_b32 exec_lo, exec_lo, s35
	s_delay_alu instid0(SALU_CYCLE_1)
	s_and_b32 s13, s13, exec_lo
                                        ; implicit-def: $vgpr179
	s_or_saveexec_b32 s34, s34
	v_mov_b32_e32 v178, s31
	s_xor_b32 exec_lo, exec_lo, s34
	s_cbranch_execz .LBB4_8873
.LBB4_9267:                             ;   in Loop: Header=BB4_8714 Depth=3
	v_cmp_ne_u16_e64 vcc_lo, 0, v179
	v_mov_b32_e32 v178, 0
	s_and_not1_b32 s13, s13, exec_lo
	s_delay_alu instid0(VALU_DEP_2) | instskip(NEXT) | instid1(SALU_CYCLE_1)
	s_and_b32 vcc_lo, vcc_lo, exec_lo
	s_or_b32 s13, s13, vcc_lo
	s_or_b32 exec_lo, exec_lo, s34
	s_and_saveexec_b32 s31, s13
	s_cbranch_execnz .LBB4_8874
	s_branch .LBB4_8875
.LBB4_9268:                             ;   in Loop: Header=BB4_8714 Depth=3
	s_mov_b32 s13, -1
	s_mov_b32 s35, exec_lo
                                        ; implicit-def: $sgpr31
	v_cmpx_eq_u16_e64 0x80, v179
; %bb.9269:                             ;   in Loop: Header=BB4_8714 Depth=3
	s_mov_b32 s31, 0x7f800001
	s_xor_b32 s13, exec_lo, -1
; %bb.9270:                             ;   in Loop: Header=BB4_8714 Depth=3
	s_or_b32 exec_lo, exec_lo, s35
	s_delay_alu instid0(SALU_CYCLE_1)
	s_and_b32 s13, s13, exec_lo
                                        ; implicit-def: $vgpr179
	s_or_saveexec_b32 s34, s34
	v_mov_b32_e32 v177, s31
	s_xor_b32 exec_lo, exec_lo, s34
	s_cbranch_execz .LBB4_8877
.LBB4_9271:                             ;   in Loop: Header=BB4_8714 Depth=3
	v_cmp_ne_u16_e64 vcc_lo, 0, v179
	v_mov_b32_e32 v177, 0
	s_and_not1_b32 s13, s13, exec_lo
	s_delay_alu instid0(VALU_DEP_2) | instskip(NEXT) | instid1(SALU_CYCLE_1)
	s_and_b32 vcc_lo, vcc_lo, exec_lo
	s_or_b32 s13, s13, vcc_lo
	s_or_b32 exec_lo, exec_lo, s34
	s_and_saveexec_b32 s31, s13
	s_cbranch_execnz .LBB4_8878
	s_branch .LBB4_8879
.LBB4_9272:                             ;   in Loop: Header=BB4_8714 Depth=3
	s_mov_b32 s13, -1
	s_mov_b32 s35, exec_lo
                                        ; implicit-def: $sgpr31
	v_cmpx_eq_u16_e64 0x80, v178
; %bb.9273:                             ;   in Loop: Header=BB4_8714 Depth=3
	s_mov_b32 s31, 0x7f800001
	s_xor_b32 s13, exec_lo, -1
; %bb.9274:                             ;   in Loop: Header=BB4_8714 Depth=3
	s_or_b32 exec_lo, exec_lo, s35
	s_delay_alu instid0(SALU_CYCLE_1)
	s_and_b32 s13, s13, exec_lo
                                        ; implicit-def: $vgpr178
	s_or_saveexec_b32 s34, s34
	v_mov_b32_e32 v177, s31
	s_xor_b32 exec_lo, exec_lo, s34
	s_cbranch_execz .LBB4_8891
.LBB4_9275:                             ;   in Loop: Header=BB4_8714 Depth=3
	v_cmp_ne_u16_e64 vcc_lo, 0, v178
	v_mov_b32_e32 v177, 0
	s_and_not1_b32 s13, s13, exec_lo
	s_delay_alu instid0(VALU_DEP_2) | instskip(NEXT) | instid1(SALU_CYCLE_1)
	s_and_b32 vcc_lo, vcc_lo, exec_lo
	s_or_b32 s13, s13, vcc_lo
	s_or_b32 exec_lo, exec_lo, s34
	s_and_saveexec_b32 s31, s13
	s_cbranch_execnz .LBB4_8892
	s_branch .LBB4_8893
.LBB4_9276:                             ;   in Loop: Header=BB4_8714 Depth=3
	s_mov_b32 s13, -1
	s_mov_b32 s35, exec_lo
                                        ; implicit-def: $sgpr31
	v_cmpx_eq_u16_e64 0x80, v179
; %bb.9277:                             ;   in Loop: Header=BB4_8714 Depth=3
	s_mov_b32 s31, 0x7f800001
	s_xor_b32 s13, exec_lo, -1
; %bb.9278:                             ;   in Loop: Header=BB4_8714 Depth=3
	s_or_b32 exec_lo, exec_lo, s35
	s_delay_alu instid0(SALU_CYCLE_1)
	s_and_b32 s13, s13, exec_lo
                                        ; implicit-def: $vgpr179
	s_or_saveexec_b32 s34, s34
	v_mov_b32_e32 v178, s31
	s_xor_b32 exec_lo, exec_lo, s34
	s_cbranch_execz .LBB4_8895
.LBB4_9279:                             ;   in Loop: Header=BB4_8714 Depth=3
	v_cmp_ne_u16_e64 vcc_lo, 0, v179
	v_mov_b32_e32 v178, 0
	s_and_not1_b32 s13, s13, exec_lo
	s_delay_alu instid0(VALU_DEP_2) | instskip(NEXT) | instid1(SALU_CYCLE_1)
	s_and_b32 vcc_lo, vcc_lo, exec_lo
	s_or_b32 s13, s13, vcc_lo
	s_or_b32 exec_lo, exec_lo, s34
	s_and_saveexec_b32 s31, s13
	s_cbranch_execnz .LBB4_8896
	s_branch .LBB4_8897
.LBB4_9280:                             ;   in Loop: Header=BB4_8714 Depth=3
	s_mov_b32 s13, -1
	s_mov_b32 s35, exec_lo
                                        ; implicit-def: $sgpr31
	v_cmpx_eq_u16_e64 0x80, v178
; %bb.9281:                             ;   in Loop: Header=BB4_8714 Depth=3
	s_mov_b32 s31, 0x7f800001
	s_xor_b32 s13, exec_lo, -1
; %bb.9282:                             ;   in Loop: Header=BB4_8714 Depth=3
	s_or_b32 exec_lo, exec_lo, s35
	s_delay_alu instid0(SALU_CYCLE_1)
	s_and_b32 s13, s13, exec_lo
                                        ; implicit-def: $vgpr178
	s_or_saveexec_b32 s34, s34
	v_mov_b32_e32 v177, s31
	s_xor_b32 exec_lo, exec_lo, s34
	s_cbranch_execz .LBB4_8902
.LBB4_9283:                             ;   in Loop: Header=BB4_8714 Depth=3
	v_cmp_ne_u16_e64 vcc_lo, 0, v178
	v_mov_b32_e32 v177, 0
	s_and_not1_b32 s13, s13, exec_lo
	s_delay_alu instid0(VALU_DEP_2) | instskip(NEXT) | instid1(SALU_CYCLE_1)
	s_and_b32 vcc_lo, vcc_lo, exec_lo
	s_or_b32 s13, s13, vcc_lo
	s_or_b32 exec_lo, exec_lo, s34
	s_and_saveexec_b32 s31, s13
	s_cbranch_execnz .LBB4_8903
	s_branch .LBB4_8904
.LBB4_9284:                             ;   in Loop: Header=BB4_8714 Depth=3
	s_mov_b32 s13, -1
	s_mov_b32 s35, exec_lo
                                        ; implicit-def: $sgpr31
	v_cmpx_eq_u16_e64 0x80, v178
; %bb.9285:                             ;   in Loop: Header=BB4_8714 Depth=3
	s_mov_b32 s31, 0x7f800001
	s_xor_b32 s13, exec_lo, -1
; %bb.9286:                             ;   in Loop: Header=BB4_8714 Depth=3
	s_or_b32 exec_lo, exec_lo, s35
	s_delay_alu instid0(SALU_CYCLE_1)
	s_and_b32 s13, s13, exec_lo
                                        ; implicit-def: $vgpr178
	s_or_saveexec_b32 s34, s34
	v_mov_b32_e32 v176, s31
	s_xor_b32 exec_lo, exec_lo, s34
	s_cbranch_execz .LBB4_8906
.LBB4_9287:                             ;   in Loop: Header=BB4_8714 Depth=3
	v_cmp_ne_u16_e64 vcc_lo, 0, v178
	v_mov_b32_e32 v176, 0
	s_and_not1_b32 s13, s13, exec_lo
	s_delay_alu instid0(VALU_DEP_2) | instskip(NEXT) | instid1(SALU_CYCLE_1)
	s_and_b32 vcc_lo, vcc_lo, exec_lo
	s_or_b32 s13, s13, vcc_lo
	s_or_b32 exec_lo, exec_lo, s34
	s_and_saveexec_b32 s31, s13
	s_cbranch_execnz .LBB4_8907
	s_branch .LBB4_8908
.LBB4_9288:                             ;   in Loop: Header=BB4_8714 Depth=3
	s_mov_b32 s13, -1
	s_mov_b32 s35, exec_lo
                                        ; implicit-def: $sgpr31
	v_cmpx_eq_u16_e64 0x80, v177
; %bb.9289:                             ;   in Loop: Header=BB4_8714 Depth=3
	s_mov_b32 s31, 0x7f800001
	s_xor_b32 s13, exec_lo, -1
; %bb.9290:                             ;   in Loop: Header=BB4_8714 Depth=3
	s_or_b32 exec_lo, exec_lo, s35
	s_delay_alu instid0(SALU_CYCLE_1)
	s_and_b32 s13, s13, exec_lo
                                        ; implicit-def: $vgpr177
	s_or_saveexec_b32 s34, s34
	v_mov_b32_e32 v176, s31
	s_xor_b32 exec_lo, exec_lo, s34
	s_cbranch_execz .LBB4_8920
.LBB4_9291:                             ;   in Loop: Header=BB4_8714 Depth=3
	v_cmp_ne_u16_e64 vcc_lo, 0, v177
	v_mov_b32_e32 v176, 0
	s_and_not1_b32 s13, s13, exec_lo
	s_delay_alu instid0(VALU_DEP_2) | instskip(NEXT) | instid1(SALU_CYCLE_1)
	s_and_b32 vcc_lo, vcc_lo, exec_lo
	s_or_b32 s13, s13, vcc_lo
	s_or_b32 exec_lo, exec_lo, s34
	s_and_saveexec_b32 s31, s13
	s_cbranch_execnz .LBB4_8921
	s_branch .LBB4_8922
.LBB4_9292:                             ;   in Loop: Header=BB4_8714 Depth=3
	s_mov_b32 s13, -1
	s_mov_b32 s35, exec_lo
                                        ; implicit-def: $sgpr31
	v_cmpx_eq_u16_e64 0x80, v178
; %bb.9293:                             ;   in Loop: Header=BB4_8714 Depth=3
	s_mov_b32 s31, 0x7f800001
	s_xor_b32 s13, exec_lo, -1
; %bb.9294:                             ;   in Loop: Header=BB4_8714 Depth=3
	s_or_b32 exec_lo, exec_lo, s35
	s_delay_alu instid0(SALU_CYCLE_1)
	s_and_b32 s13, s13, exec_lo
                                        ; implicit-def: $vgpr178
	s_or_saveexec_b32 s34, s34
	v_mov_b32_e32 v177, s31
	s_xor_b32 exec_lo, exec_lo, s34
	s_cbranch_execz .LBB4_8924
.LBB4_9295:                             ;   in Loop: Header=BB4_8714 Depth=3
	v_cmp_ne_u16_e64 vcc_lo, 0, v178
	v_mov_b32_e32 v177, 0
	s_and_not1_b32 s13, s13, exec_lo
	s_delay_alu instid0(VALU_DEP_2) | instskip(NEXT) | instid1(SALU_CYCLE_1)
	s_and_b32 vcc_lo, vcc_lo, exec_lo
	s_or_b32 s13, s13, vcc_lo
	s_or_b32 exec_lo, exec_lo, s34
	s_and_saveexec_b32 s31, s13
	s_cbranch_execnz .LBB4_8925
	s_branch .LBB4_8926
.LBB4_9296:                             ;   in Loop: Header=BB4_8714 Depth=3
	s_mov_b32 s13, -1
	s_mov_b32 s35, exec_lo
                                        ; implicit-def: $sgpr31
	v_cmpx_eq_u16_e64 0x80, v177
; %bb.9297:                             ;   in Loop: Header=BB4_8714 Depth=3
	s_mov_b32 s31, 0x7f800001
	s_xor_b32 s13, exec_lo, -1
; %bb.9298:                             ;   in Loop: Header=BB4_8714 Depth=3
	s_or_b32 exec_lo, exec_lo, s35
	s_delay_alu instid0(SALU_CYCLE_1)
	s_and_b32 s13, s13, exec_lo
                                        ; implicit-def: $vgpr177
	s_or_saveexec_b32 s34, s34
	v_mov_b32_e32 v176, s31
	s_xor_b32 exec_lo, exec_lo, s34
	s_cbranch_execz .LBB4_8931
.LBB4_9299:                             ;   in Loop: Header=BB4_8714 Depth=3
	v_cmp_ne_u16_e64 vcc_lo, 0, v177
	v_mov_b32_e32 v176, 0
	s_and_not1_b32 s13, s13, exec_lo
	s_delay_alu instid0(VALU_DEP_2) | instskip(NEXT) | instid1(SALU_CYCLE_1)
	s_and_b32 vcc_lo, vcc_lo, exec_lo
	s_or_b32 s13, s13, vcc_lo
	s_or_b32 exec_lo, exec_lo, s34
	s_and_saveexec_b32 s31, s13
	s_cbranch_execnz .LBB4_8932
	s_branch .LBB4_8933
.LBB4_9300:                             ;   in Loop: Header=BB4_8714 Depth=3
	s_mov_b32 s13, -1
	s_mov_b32 s35, exec_lo
                                        ; implicit-def: $sgpr31
	v_cmpx_eq_u16_e64 0x80, v177
; %bb.9301:                             ;   in Loop: Header=BB4_8714 Depth=3
	s_mov_b32 s31, 0x7f800001
	s_xor_b32 s13, exec_lo, -1
; %bb.9302:                             ;   in Loop: Header=BB4_8714 Depth=3
	s_or_b32 exec_lo, exec_lo, s35
	s_delay_alu instid0(SALU_CYCLE_1)
	s_and_b32 s13, s13, exec_lo
                                        ; implicit-def: $vgpr177
	s_or_saveexec_b32 s34, s34
	v_mov_b32_e32 v167, s31
	s_xor_b32 exec_lo, exec_lo, s34
	s_cbranch_execz .LBB4_8935
.LBB4_9303:                             ;   in Loop: Header=BB4_8714 Depth=3
	v_cmp_ne_u16_e64 vcc_lo, 0, v177
	v_mov_b32_e32 v167, 0
	s_and_not1_b32 s13, s13, exec_lo
	s_delay_alu instid0(VALU_DEP_2) | instskip(NEXT) | instid1(SALU_CYCLE_1)
	s_and_b32 vcc_lo, vcc_lo, exec_lo
	s_or_b32 s13, s13, vcc_lo
	s_or_b32 exec_lo, exec_lo, s34
	s_and_saveexec_b32 s31, s13
	s_cbranch_execnz .LBB4_8936
	s_branch .LBB4_8937
.LBB4_9304:                             ;   in Loop: Header=BB4_8714 Depth=3
	s_mov_b32 s13, -1
	s_mov_b32 s35, exec_lo
                                        ; implicit-def: $sgpr31
	v_cmpx_eq_u16_e64 0x80, v176
; %bb.9305:                             ;   in Loop: Header=BB4_8714 Depth=3
	s_mov_b32 s31, 0x7f800001
	s_xor_b32 s13, exec_lo, -1
; %bb.9306:                             ;   in Loop: Header=BB4_8714 Depth=3
	s_or_b32 exec_lo, exec_lo, s35
	s_delay_alu instid0(SALU_CYCLE_1)
	s_and_b32 s13, s13, exec_lo
                                        ; implicit-def: $vgpr176
	s_or_saveexec_b32 s34, s34
	v_mov_b32_e32 v167, s31
	s_xor_b32 exec_lo, exec_lo, s34
	s_cbranch_execz .LBB4_8949
.LBB4_9307:                             ;   in Loop: Header=BB4_8714 Depth=3
	v_cmp_ne_u16_e64 vcc_lo, 0, v176
	v_mov_b32_e32 v167, 0
	s_and_not1_b32 s13, s13, exec_lo
	s_delay_alu instid0(VALU_DEP_2) | instskip(NEXT) | instid1(SALU_CYCLE_1)
	s_and_b32 vcc_lo, vcc_lo, exec_lo
	s_or_b32 s13, s13, vcc_lo
	s_or_b32 exec_lo, exec_lo, s34
	s_and_saveexec_b32 s31, s13
	s_cbranch_execnz .LBB4_8950
	s_branch .LBB4_8951
.LBB4_9308:                             ;   in Loop: Header=BB4_8714 Depth=3
	s_mov_b32 s13, -1
	s_mov_b32 s35, exec_lo
                                        ; implicit-def: $sgpr31
	v_cmpx_eq_u16_e64 0x80, v177
; %bb.9309:                             ;   in Loop: Header=BB4_8714 Depth=3
	s_mov_b32 s31, 0x7f800001
	s_xor_b32 s13, exec_lo, -1
; %bb.9310:                             ;   in Loop: Header=BB4_8714 Depth=3
	s_or_b32 exec_lo, exec_lo, s35
	s_delay_alu instid0(SALU_CYCLE_1)
	s_and_b32 s13, s13, exec_lo
                                        ; implicit-def: $vgpr177
	s_or_saveexec_b32 s34, s34
	v_mov_b32_e32 v176, s31
	s_xor_b32 exec_lo, exec_lo, s34
	s_cbranch_execz .LBB4_8953
.LBB4_9311:                             ;   in Loop: Header=BB4_8714 Depth=3
	v_cmp_ne_u16_e64 vcc_lo, 0, v177
	v_mov_b32_e32 v176, 0
	s_and_not1_b32 s13, s13, exec_lo
	s_delay_alu instid0(VALU_DEP_2) | instskip(NEXT) | instid1(SALU_CYCLE_1)
	s_and_b32 vcc_lo, vcc_lo, exec_lo
	s_or_b32 s13, s13, vcc_lo
	s_or_b32 exec_lo, exec_lo, s34
	s_and_saveexec_b32 s31, s13
	s_cbranch_execnz .LBB4_8954
	s_branch .LBB4_8955
.LBB4_9312:                             ;   in Loop: Header=BB4_8714 Depth=3
	s_mov_b32 s13, -1
	s_mov_b32 s35, exec_lo
                                        ; implicit-def: $sgpr31
	v_cmpx_eq_u16_e64 0x80, v176
; %bb.9313:                             ;   in Loop: Header=BB4_8714 Depth=3
	s_mov_b32 s31, 0x7f800001
	s_xor_b32 s13, exec_lo, -1
; %bb.9314:                             ;   in Loop: Header=BB4_8714 Depth=3
	s_or_b32 exec_lo, exec_lo, s35
	s_delay_alu instid0(SALU_CYCLE_1)
	s_and_b32 s13, s13, exec_lo
                                        ; implicit-def: $vgpr176
	s_or_saveexec_b32 s34, s34
	v_mov_b32_e32 v167, s31
	s_xor_b32 exec_lo, exec_lo, s34
	s_cbranch_execz .LBB4_8960
.LBB4_9315:                             ;   in Loop: Header=BB4_8714 Depth=3
	v_cmp_ne_u16_e64 vcc_lo, 0, v176
	v_mov_b32_e32 v167, 0
	s_and_not1_b32 s13, s13, exec_lo
	s_delay_alu instid0(VALU_DEP_2) | instskip(NEXT) | instid1(SALU_CYCLE_1)
	s_and_b32 vcc_lo, vcc_lo, exec_lo
	s_or_b32 s13, s13, vcc_lo
	s_or_b32 exec_lo, exec_lo, s34
	s_and_saveexec_b32 s31, s13
	s_cbranch_execnz .LBB4_8961
	s_branch .LBB4_8962
.LBB4_9316:                             ;   in Loop: Header=BB4_8714 Depth=3
	s_mov_b32 s13, -1
	s_mov_b32 s35, exec_lo
                                        ; implicit-def: $sgpr31
	v_cmpx_eq_u16_e64 0x80, v176
; %bb.9317:                             ;   in Loop: Header=BB4_8714 Depth=3
	s_mov_b32 s31, 0x7f800001
	s_xor_b32 s13, exec_lo, -1
; %bb.9318:                             ;   in Loop: Header=BB4_8714 Depth=3
	s_or_b32 exec_lo, exec_lo, s35
	s_delay_alu instid0(SALU_CYCLE_1)
	s_and_b32 s13, s13, exec_lo
                                        ; implicit-def: $vgpr176
	s_or_saveexec_b32 s34, s34
	v_mov_b32_e32 v165, s31
	s_xor_b32 exec_lo, exec_lo, s34
	s_cbranch_execz .LBB4_8964
.LBB4_9319:                             ;   in Loop: Header=BB4_8714 Depth=3
	v_cmp_ne_u16_e64 vcc_lo, 0, v176
	v_mov_b32_e32 v165, 0
	s_and_not1_b32 s13, s13, exec_lo
	s_delay_alu instid0(VALU_DEP_2) | instskip(NEXT) | instid1(SALU_CYCLE_1)
	s_and_b32 vcc_lo, vcc_lo, exec_lo
	s_or_b32 s13, s13, vcc_lo
	s_or_b32 exec_lo, exec_lo, s34
	s_and_saveexec_b32 s31, s13
	s_cbranch_execnz .LBB4_8965
	s_branch .LBB4_8966
.LBB4_9320:                             ;   in Loop: Header=BB4_8714 Depth=3
	s_mov_b32 s13, -1
	s_mov_b32 s35, exec_lo
                                        ; implicit-def: $sgpr31
	v_cmpx_eq_u16_e64 0x80, v167
; %bb.9321:                             ;   in Loop: Header=BB4_8714 Depth=3
	s_mov_b32 s31, 0x7f800001
	s_xor_b32 s13, exec_lo, -1
; %bb.9322:                             ;   in Loop: Header=BB4_8714 Depth=3
	s_or_b32 exec_lo, exec_lo, s35
	s_delay_alu instid0(SALU_CYCLE_1)
	s_and_b32 s13, s13, exec_lo
                                        ; implicit-def: $vgpr167
	s_or_saveexec_b32 s34, s34
	v_mov_b32_e32 v165, s31
	s_xor_b32 exec_lo, exec_lo, s34
	s_cbranch_execz .LBB4_8978
.LBB4_9323:                             ;   in Loop: Header=BB4_8714 Depth=3
	v_cmp_ne_u16_e64 vcc_lo, 0, v167
	v_mov_b32_e32 v165, 0
	s_and_not1_b32 s13, s13, exec_lo
	s_delay_alu instid0(VALU_DEP_2) | instskip(NEXT) | instid1(SALU_CYCLE_1)
	s_and_b32 vcc_lo, vcc_lo, exec_lo
	s_or_b32 s13, s13, vcc_lo
	s_or_b32 exec_lo, exec_lo, s34
	s_and_saveexec_b32 s31, s13
	s_cbranch_execnz .LBB4_8979
	s_branch .LBB4_8980
.LBB4_9324:                             ;   in Loop: Header=BB4_8714 Depth=3
	s_mov_b32 s13, -1
	s_mov_b32 s35, exec_lo
                                        ; implicit-def: $sgpr31
	v_cmpx_eq_u16_e64 0x80, v176
; %bb.9325:                             ;   in Loop: Header=BB4_8714 Depth=3
	s_mov_b32 s31, 0x7f800001
	s_xor_b32 s13, exec_lo, -1
; %bb.9326:                             ;   in Loop: Header=BB4_8714 Depth=3
	s_or_b32 exec_lo, exec_lo, s35
	s_delay_alu instid0(SALU_CYCLE_1)
	s_and_b32 s13, s13, exec_lo
                                        ; implicit-def: $vgpr176
	s_or_saveexec_b32 s34, s34
	v_mov_b32_e32 v167, s31
	s_xor_b32 exec_lo, exec_lo, s34
	s_cbranch_execz .LBB4_8982
.LBB4_9327:                             ;   in Loop: Header=BB4_8714 Depth=3
	v_cmp_ne_u16_e64 vcc_lo, 0, v176
	v_mov_b32_e32 v167, 0
	s_and_not1_b32 s13, s13, exec_lo
	s_delay_alu instid0(VALU_DEP_2) | instskip(NEXT) | instid1(SALU_CYCLE_1)
	s_and_b32 vcc_lo, vcc_lo, exec_lo
	s_or_b32 s13, s13, vcc_lo
	s_or_b32 exec_lo, exec_lo, s34
	s_and_saveexec_b32 s31, s13
	s_cbranch_execnz .LBB4_8983
	s_branch .LBB4_8984
.LBB4_9328:                             ;   in Loop: Header=BB4_8714 Depth=3
	s_mov_b32 s13, -1
	s_mov_b32 s35, exec_lo
                                        ; implicit-def: $sgpr31
	v_cmpx_eq_u16_e64 0x80, v167
; %bb.9329:                             ;   in Loop: Header=BB4_8714 Depth=3
	s_mov_b32 s31, 0x7f800001
	s_xor_b32 s13, exec_lo, -1
; %bb.9330:                             ;   in Loop: Header=BB4_8714 Depth=3
	s_or_b32 exec_lo, exec_lo, s35
	s_delay_alu instid0(SALU_CYCLE_1)
	s_and_b32 s13, s13, exec_lo
                                        ; implicit-def: $vgpr167
	s_or_saveexec_b32 s34, s34
	v_mov_b32_e32 v165, s31
	s_xor_b32 exec_lo, exec_lo, s34
	s_cbranch_execz .LBB4_8989
.LBB4_9331:                             ;   in Loop: Header=BB4_8714 Depth=3
	v_cmp_ne_u16_e64 vcc_lo, 0, v167
	v_mov_b32_e32 v165, 0
	s_and_not1_b32 s13, s13, exec_lo
	s_delay_alu instid0(VALU_DEP_2) | instskip(NEXT) | instid1(SALU_CYCLE_1)
	s_and_b32 vcc_lo, vcc_lo, exec_lo
	s_or_b32 s13, s13, vcc_lo
	s_or_b32 exec_lo, exec_lo, s34
	s_and_saveexec_b32 s31, s13
	s_cbranch_execnz .LBB4_8990
	s_branch .LBB4_8991
.LBB4_9332:                             ;   in Loop: Header=BB4_8714 Depth=3
	s_mov_b32 s13, -1
	s_mov_b32 s35, exec_lo
                                        ; implicit-def: $sgpr31
	v_cmpx_eq_u16_e64 0x80, v167
; %bb.9333:                             ;   in Loop: Header=BB4_8714 Depth=3
	s_mov_b32 s31, 0x7f800001
	s_xor_b32 s13, exec_lo, -1
; %bb.9334:                             ;   in Loop: Header=BB4_8714 Depth=3
	s_or_b32 exec_lo, exec_lo, s35
	s_delay_alu instid0(SALU_CYCLE_1)
	s_and_b32 s13, s13, exec_lo
                                        ; implicit-def: $vgpr167
	s_or_saveexec_b32 s34, s34
	v_mov_b32_e32 v162, s31
	s_xor_b32 exec_lo, exec_lo, s34
	s_cbranch_execz .LBB4_8993
.LBB4_9335:                             ;   in Loop: Header=BB4_8714 Depth=3
	v_cmp_ne_u16_e64 vcc_lo, 0, v167
	v_mov_b32_e32 v162, 0
	s_and_not1_b32 s13, s13, exec_lo
	s_delay_alu instid0(VALU_DEP_2) | instskip(NEXT) | instid1(SALU_CYCLE_1)
	s_and_b32 vcc_lo, vcc_lo, exec_lo
	s_or_b32 s13, s13, vcc_lo
	s_or_b32 exec_lo, exec_lo, s34
	s_and_saveexec_b32 s31, s13
	s_cbranch_execnz .LBB4_8994
	s_branch .LBB4_8995
.LBB4_9336:                             ;   in Loop: Header=BB4_8714 Depth=3
	s_mov_b32 s13, -1
	s_mov_b32 s35, exec_lo
                                        ; implicit-def: $sgpr31
	v_cmpx_eq_u16_e64 0x80, v165
; %bb.9337:                             ;   in Loop: Header=BB4_8714 Depth=3
	s_mov_b32 s31, 0x7f800001
	s_xor_b32 s13, exec_lo, -1
; %bb.9338:                             ;   in Loop: Header=BB4_8714 Depth=3
	s_or_b32 exec_lo, exec_lo, s35
	s_delay_alu instid0(SALU_CYCLE_1)
	s_and_b32 s13, s13, exec_lo
                                        ; implicit-def: $vgpr165
	s_or_saveexec_b32 s34, s34
	v_mov_b32_e32 v162, s31
	s_xor_b32 exec_lo, exec_lo, s34
	s_cbranch_execz .LBB4_9007
.LBB4_9339:                             ;   in Loop: Header=BB4_8714 Depth=3
	v_cmp_ne_u16_e64 vcc_lo, 0, v165
	v_mov_b32_e32 v162, 0
	s_and_not1_b32 s13, s13, exec_lo
	s_delay_alu instid0(VALU_DEP_2) | instskip(NEXT) | instid1(SALU_CYCLE_1)
	s_and_b32 vcc_lo, vcc_lo, exec_lo
	s_or_b32 s13, s13, vcc_lo
	s_or_b32 exec_lo, exec_lo, s34
	s_and_saveexec_b32 s31, s13
	s_cbranch_execnz .LBB4_9008
	s_branch .LBB4_9009
.LBB4_9340:                             ;   in Loop: Header=BB4_8714 Depth=3
	s_mov_b32 s13, -1
	s_mov_b32 s35, exec_lo
                                        ; implicit-def: $sgpr31
	v_cmpx_eq_u16_e64 0x80, v167
; %bb.9341:                             ;   in Loop: Header=BB4_8714 Depth=3
	s_mov_b32 s31, 0x7f800001
	s_xor_b32 s13, exec_lo, -1
; %bb.9342:                             ;   in Loop: Header=BB4_8714 Depth=3
	s_or_b32 exec_lo, exec_lo, s35
	s_delay_alu instid0(SALU_CYCLE_1)
	s_and_b32 s13, s13, exec_lo
                                        ; implicit-def: $vgpr167
	s_or_saveexec_b32 s34, s34
	v_mov_b32_e32 v165, s31
	s_xor_b32 exec_lo, exec_lo, s34
	s_cbranch_execz .LBB4_9011
.LBB4_9343:                             ;   in Loop: Header=BB4_8714 Depth=3
	v_cmp_ne_u16_e64 vcc_lo, 0, v167
	v_mov_b32_e32 v165, 0
	s_and_not1_b32 s13, s13, exec_lo
	s_delay_alu instid0(VALU_DEP_2) | instskip(NEXT) | instid1(SALU_CYCLE_1)
	s_and_b32 vcc_lo, vcc_lo, exec_lo
	s_or_b32 s13, s13, vcc_lo
	s_or_b32 exec_lo, exec_lo, s34
	s_and_saveexec_b32 s31, s13
	s_cbranch_execnz .LBB4_9012
	s_branch .LBB4_9013
.LBB4_9344:                             ;   in Loop: Header=BB4_8714 Depth=3
	s_mov_b32 s13, -1
	s_mov_b32 s35, exec_lo
                                        ; implicit-def: $sgpr31
	v_cmpx_eq_u16_e64 0x80, v165
; %bb.9345:                             ;   in Loop: Header=BB4_8714 Depth=3
	s_mov_b32 s31, 0x7f800001
	s_xor_b32 s13, exec_lo, -1
; %bb.9346:                             ;   in Loop: Header=BB4_8714 Depth=3
	s_or_b32 exec_lo, exec_lo, s35
	s_delay_alu instid0(SALU_CYCLE_1)
	s_and_b32 s13, s13, exec_lo
                                        ; implicit-def: $vgpr165
	s_or_saveexec_b32 s34, s34
	v_mov_b32_e32 v162, s31
	s_xor_b32 exec_lo, exec_lo, s34
	s_cbranch_execz .LBB4_9018
.LBB4_9347:                             ;   in Loop: Header=BB4_8714 Depth=3
	v_cmp_ne_u16_e64 vcc_lo, 0, v165
	v_mov_b32_e32 v162, 0
	s_and_not1_b32 s13, s13, exec_lo
	s_delay_alu instid0(VALU_DEP_2) | instskip(NEXT) | instid1(SALU_CYCLE_1)
	s_and_b32 vcc_lo, vcc_lo, exec_lo
	s_or_b32 s13, s13, vcc_lo
	s_or_b32 exec_lo, exec_lo, s34
	s_and_saveexec_b32 s31, s13
	s_cbranch_execnz .LBB4_9019
	s_branch .LBB4_9020
.LBB4_9348:                             ;   in Loop: Header=BB4_8714 Depth=3
	s_mov_b32 s13, -1
	s_mov_b32 s35, exec_lo
                                        ; implicit-def: $sgpr31
	v_cmpx_eq_u16_e64 0x80, v165
; %bb.9349:                             ;   in Loop: Header=BB4_8714 Depth=3
	s_mov_b32 s31, 0x7f800001
	s_xor_b32 s13, exec_lo, -1
; %bb.9350:                             ;   in Loop: Header=BB4_8714 Depth=3
	s_or_b32 exec_lo, exec_lo, s35
	s_delay_alu instid0(SALU_CYCLE_1)
	s_and_b32 s13, s13, exec_lo
                                        ; implicit-def: $vgpr165
	s_or_saveexec_b32 s34, s34
	v_mov_b32_e32 v151, s31
	s_xor_b32 exec_lo, exec_lo, s34
	s_cbranch_execz .LBB4_9022
.LBB4_9351:                             ;   in Loop: Header=BB4_8714 Depth=3
	v_cmp_ne_u16_e64 vcc_lo, 0, v165
	v_mov_b32_e32 v151, 0
	s_and_not1_b32 s13, s13, exec_lo
	s_delay_alu instid0(VALU_DEP_2) | instskip(NEXT) | instid1(SALU_CYCLE_1)
	s_and_b32 vcc_lo, vcc_lo, exec_lo
	s_or_b32 s13, s13, vcc_lo
	s_or_b32 exec_lo, exec_lo, s34
	s_and_saveexec_b32 s31, s13
	s_cbranch_execnz .LBB4_9023
	s_branch .LBB4_9024
.LBB4_9352:                             ;   in Loop: Header=BB4_8714 Depth=3
	s_mov_b32 s13, -1
	s_mov_b32 s35, exec_lo
                                        ; implicit-def: $sgpr31
	v_cmpx_eq_u16_e64 0x80, v162
; %bb.9353:                             ;   in Loop: Header=BB4_8714 Depth=3
	s_mov_b32 s31, 0x7f800001
	s_xor_b32 s13, exec_lo, -1
; %bb.9354:                             ;   in Loop: Header=BB4_8714 Depth=3
	s_or_b32 exec_lo, exec_lo, s35
	s_delay_alu instid0(SALU_CYCLE_1)
	s_and_b32 s13, s13, exec_lo
                                        ; implicit-def: $vgpr162
	s_or_saveexec_b32 s34, s34
	v_mov_b32_e32 v151, s31
	s_xor_b32 exec_lo, exec_lo, s34
	s_cbranch_execz .LBB4_9036
.LBB4_9355:                             ;   in Loop: Header=BB4_8714 Depth=3
	v_cmp_ne_u16_e64 vcc_lo, 0, v162
	v_mov_b32_e32 v151, 0
	s_and_not1_b32 s13, s13, exec_lo
	s_delay_alu instid0(VALU_DEP_2) | instskip(NEXT) | instid1(SALU_CYCLE_1)
	s_and_b32 vcc_lo, vcc_lo, exec_lo
	s_or_b32 s13, s13, vcc_lo
	s_or_b32 exec_lo, exec_lo, s34
	s_and_saveexec_b32 s31, s13
	s_cbranch_execnz .LBB4_9037
	s_branch .LBB4_9038
.LBB4_9356:                             ;   in Loop: Header=BB4_8714 Depth=3
	s_mov_b32 s13, -1
	s_mov_b32 s35, exec_lo
                                        ; implicit-def: $sgpr31
	v_cmpx_eq_u16_e64 0x80, v165
; %bb.9357:                             ;   in Loop: Header=BB4_8714 Depth=3
	s_mov_b32 s31, 0x7f800001
	s_xor_b32 s13, exec_lo, -1
; %bb.9358:                             ;   in Loop: Header=BB4_8714 Depth=3
	s_or_b32 exec_lo, exec_lo, s35
	s_delay_alu instid0(SALU_CYCLE_1)
	s_and_b32 s13, s13, exec_lo
                                        ; implicit-def: $vgpr165
	s_or_saveexec_b32 s34, s34
	v_mov_b32_e32 v162, s31
	s_xor_b32 exec_lo, exec_lo, s34
	s_cbranch_execz .LBB4_9040
.LBB4_9359:                             ;   in Loop: Header=BB4_8714 Depth=3
	v_cmp_ne_u16_e64 vcc_lo, 0, v165
	v_mov_b32_e32 v162, 0
	s_and_not1_b32 s13, s13, exec_lo
	s_delay_alu instid0(VALU_DEP_2) | instskip(NEXT) | instid1(SALU_CYCLE_1)
	s_and_b32 vcc_lo, vcc_lo, exec_lo
	s_or_b32 s13, s13, vcc_lo
	s_or_b32 exec_lo, exec_lo, s34
	s_and_saveexec_b32 s31, s13
	s_cbranch_execnz .LBB4_9041
	s_branch .LBB4_9042
.LBB4_9360:                             ;   in Loop: Header=BB4_8714 Depth=3
	s_mov_b32 s13, -1
	s_mov_b32 s35, exec_lo
                                        ; implicit-def: $sgpr31
	v_cmpx_eq_u16_e64 0x80, v162
; %bb.9361:                             ;   in Loop: Header=BB4_8714 Depth=3
	s_mov_b32 s31, 0x7f800001
	s_xor_b32 s13, exec_lo, -1
; %bb.9362:                             ;   in Loop: Header=BB4_8714 Depth=3
	s_or_b32 exec_lo, exec_lo, s35
	s_delay_alu instid0(SALU_CYCLE_1)
	s_and_b32 s13, s13, exec_lo
                                        ; implicit-def: $vgpr162
	s_or_saveexec_b32 s34, s34
	v_mov_b32_e32 v151, s31
	s_xor_b32 exec_lo, exec_lo, s34
	s_cbranch_execz .LBB4_9047
.LBB4_9363:                             ;   in Loop: Header=BB4_8714 Depth=3
	v_cmp_ne_u16_e64 vcc_lo, 0, v162
	v_mov_b32_e32 v151, 0
	s_and_not1_b32 s13, s13, exec_lo
	s_delay_alu instid0(VALU_DEP_2) | instskip(NEXT) | instid1(SALU_CYCLE_1)
	s_and_b32 vcc_lo, vcc_lo, exec_lo
	s_or_b32 s13, s13, vcc_lo
	s_or_b32 exec_lo, exec_lo, s34
	s_and_saveexec_b32 s31, s13
	s_cbranch_execnz .LBB4_9048
	s_branch .LBB4_9049
.LBB4_9364:                             ;   in Loop: Header=BB4_8714 Depth=3
	s_mov_b32 s13, -1
	s_mov_b32 s35, exec_lo
                                        ; implicit-def: $sgpr31
	v_cmpx_eq_u16_e64 0x80, v162
; %bb.9365:                             ;   in Loop: Header=BB4_8714 Depth=3
	s_mov_b32 s31, 0x7f800001
	s_xor_b32 s13, exec_lo, -1
; %bb.9366:                             ;   in Loop: Header=BB4_8714 Depth=3
	s_or_b32 exec_lo, exec_lo, s35
	s_delay_alu instid0(SALU_CYCLE_1)
	s_and_b32 s13, s13, exec_lo
                                        ; implicit-def: $vgpr162
	s_or_saveexec_b32 s34, s34
	v_mov_b32_e32 v85, s31
	s_xor_b32 exec_lo, exec_lo, s34
	s_cbranch_execz .LBB4_9051
.LBB4_9367:                             ;   in Loop: Header=BB4_8714 Depth=3
	v_cmp_ne_u16_e64 vcc_lo, 0, v162
	v_mov_b32_e32 v85, 0
	s_and_not1_b32 s13, s13, exec_lo
	s_delay_alu instid0(VALU_DEP_2) | instskip(NEXT) | instid1(SALU_CYCLE_1)
	s_and_b32 vcc_lo, vcc_lo, exec_lo
	s_or_b32 s13, s13, vcc_lo
	s_or_b32 exec_lo, exec_lo, s34
	s_and_saveexec_b32 s31, s13
	s_cbranch_execnz .LBB4_9052
	s_branch .LBB4_9053
.LBB4_9368:                             ;   in Loop: Header=BB4_8714 Depth=3
	s_mov_b32 s13, -1
	s_mov_b32 s35, exec_lo
                                        ; implicit-def: $sgpr31
	v_cmpx_eq_u16_e64 0x80, v151
; %bb.9369:                             ;   in Loop: Header=BB4_8714 Depth=3
	s_mov_b32 s31, 0x7f800001
	s_xor_b32 s13, exec_lo, -1
; %bb.9370:                             ;   in Loop: Header=BB4_8714 Depth=3
	s_or_b32 exec_lo, exec_lo, s35
	s_delay_alu instid0(SALU_CYCLE_1)
	s_and_b32 s13, s13, exec_lo
                                        ; implicit-def: $vgpr151
	s_or_saveexec_b32 s34, s34
	v_mov_b32_e32 v85, s31
	s_xor_b32 exec_lo, exec_lo, s34
	s_cbranch_execz .LBB4_9065
.LBB4_9371:                             ;   in Loop: Header=BB4_8714 Depth=3
	v_cmp_ne_u16_e64 vcc_lo, 0, v151
	v_mov_b32_e32 v85, 0
	s_and_not1_b32 s13, s13, exec_lo
	s_delay_alu instid0(VALU_DEP_2) | instskip(NEXT) | instid1(SALU_CYCLE_1)
	s_and_b32 vcc_lo, vcc_lo, exec_lo
	s_or_b32 s13, s13, vcc_lo
	s_or_b32 exec_lo, exec_lo, s34
	s_and_saveexec_b32 s31, s13
	s_cbranch_execnz .LBB4_9066
	s_branch .LBB4_9067
.LBB4_9372:                             ;   in Loop: Header=BB4_8714 Depth=3
	s_mov_b32 s13, -1
	s_mov_b32 s35, exec_lo
                                        ; implicit-def: $sgpr31
	v_cmpx_eq_u16_e64 0x80, v162
; %bb.9373:                             ;   in Loop: Header=BB4_8714 Depth=3
	s_mov_b32 s31, 0x7f800001
	s_xor_b32 s13, exec_lo, -1
; %bb.9374:                             ;   in Loop: Header=BB4_8714 Depth=3
	s_or_b32 exec_lo, exec_lo, s35
	s_delay_alu instid0(SALU_CYCLE_1)
	s_and_b32 s13, s13, exec_lo
                                        ; implicit-def: $vgpr162
	s_or_saveexec_b32 s34, s34
	v_mov_b32_e32 v151, s31
	s_xor_b32 exec_lo, exec_lo, s34
	s_cbranch_execz .LBB4_9069
.LBB4_9375:                             ;   in Loop: Header=BB4_8714 Depth=3
	v_cmp_ne_u16_e64 vcc_lo, 0, v162
	v_mov_b32_e32 v151, 0
	s_and_not1_b32 s13, s13, exec_lo
	s_delay_alu instid0(VALU_DEP_2) | instskip(NEXT) | instid1(SALU_CYCLE_1)
	s_and_b32 vcc_lo, vcc_lo, exec_lo
	s_or_b32 s13, s13, vcc_lo
	s_or_b32 exec_lo, exec_lo, s34
	s_and_saveexec_b32 s31, s13
	s_cbranch_execnz .LBB4_9070
	s_branch .LBB4_9071
.LBB4_9376:                             ;   in Loop: Header=BB4_8714 Depth=3
	s_mov_b32 s13, -1
	s_mov_b32 s35, exec_lo
                                        ; implicit-def: $sgpr31
	v_cmpx_eq_u16_e64 0x80, v151
; %bb.9377:                             ;   in Loop: Header=BB4_8714 Depth=3
	s_mov_b32 s31, 0x7f800001
	s_xor_b32 s13, exec_lo, -1
; %bb.9378:                             ;   in Loop: Header=BB4_8714 Depth=3
	s_or_b32 exec_lo, exec_lo, s35
	s_delay_alu instid0(SALU_CYCLE_1)
	s_and_b32 s13, s13, exec_lo
                                        ; implicit-def: $vgpr151
	s_or_saveexec_b32 s34, s34
	v_mov_b32_e32 v85, s31
	s_xor_b32 exec_lo, exec_lo, s34
	s_cbranch_execz .LBB4_9076
.LBB4_9379:                             ;   in Loop: Header=BB4_8714 Depth=3
	v_cmp_ne_u16_e64 vcc_lo, 0, v151
	v_mov_b32_e32 v85, 0
	s_and_not1_b32 s13, s13, exec_lo
	s_delay_alu instid0(VALU_DEP_2) | instskip(NEXT) | instid1(SALU_CYCLE_1)
	s_and_b32 vcc_lo, vcc_lo, exec_lo
	s_or_b32 s13, s13, vcc_lo
	s_or_b32 exec_lo, exec_lo, s34
	s_and_saveexec_b32 s31, s13
	s_cbranch_execnz .LBB4_9077
	s_branch .LBB4_9078
.LBB4_9380:                             ;   in Loop: Header=BB4_8714 Depth=3
	s_mov_b32 s13, -1
	s_mov_b32 s35, exec_lo
                                        ; implicit-def: $sgpr31
	v_cmpx_eq_u16_e64 0x80, v151
; %bb.9381:                             ;   in Loop: Header=BB4_8714 Depth=3
	s_mov_b32 s31, 0x7f800001
	s_xor_b32 s13, exec_lo, -1
; %bb.9382:                             ;   in Loop: Header=BB4_8714 Depth=3
	s_or_b32 exec_lo, exec_lo, s35
	s_delay_alu instid0(SALU_CYCLE_1)
	s_and_b32 s13, s13, exec_lo
                                        ; implicit-def: $vgpr151
	s_or_saveexec_b32 s34, s34
	v_mov_b32_e32 v82, s31
	s_xor_b32 exec_lo, exec_lo, s34
	s_cbranch_execz .LBB4_9080
.LBB4_9383:                             ;   in Loop: Header=BB4_8714 Depth=3
	v_cmp_ne_u16_e64 vcc_lo, 0, v151
	v_mov_b32_e32 v82, 0
	s_and_not1_b32 s13, s13, exec_lo
	s_delay_alu instid0(VALU_DEP_2) | instskip(NEXT) | instid1(SALU_CYCLE_1)
	s_and_b32 vcc_lo, vcc_lo, exec_lo
	s_or_b32 s13, s13, vcc_lo
	s_or_b32 exec_lo, exec_lo, s34
	s_and_saveexec_b32 s31, s13
	s_cbranch_execnz .LBB4_9081
	s_branch .LBB4_9082
.LBB4_9384:                             ;   in Loop: Header=BB4_8714 Depth=3
	s_mov_b32 s13, -1
	s_mov_b32 s35, exec_lo
                                        ; implicit-def: $sgpr31
	v_cmpx_eq_u16_e32 0x80, v85
; %bb.9385:                             ;   in Loop: Header=BB4_8714 Depth=3
	s_mov_b32 s31, 0x7f800001
	s_xor_b32 s13, exec_lo, -1
; %bb.9386:                             ;   in Loop: Header=BB4_8714 Depth=3
	s_or_b32 exec_lo, exec_lo, s35
	s_delay_alu instid0(SALU_CYCLE_1)
	s_and_b32 s13, s13, exec_lo
                                        ; implicit-def: $vgpr85
	s_or_saveexec_b32 s34, s34
	v_mov_b32_e32 v82, s31
	s_xor_b32 exec_lo, exec_lo, s34
	s_cbranch_execz .LBB4_9094
.LBB4_9387:                             ;   in Loop: Header=BB4_8714 Depth=3
	v_cmp_ne_u16_e32 vcc_lo, 0, v85
	v_mov_b32_e32 v82, 0
	s_and_not1_b32 s13, s13, exec_lo
	s_and_b32 vcc_lo, vcc_lo, exec_lo
	s_delay_alu instid0(SALU_CYCLE_1)
	s_or_b32 s13, s13, vcc_lo
	s_or_b32 exec_lo, exec_lo, s34
	s_and_saveexec_b32 s31, s13
	s_cbranch_execnz .LBB4_9095
	s_branch .LBB4_9096
.LBB4_9388:                             ;   in Loop: Header=BB4_8714 Depth=3
	s_mov_b32 s13, -1
	s_mov_b32 s35, exec_lo
                                        ; implicit-def: $sgpr31
	v_cmpx_eq_u16_e64 0x80, v151
; %bb.9389:                             ;   in Loop: Header=BB4_8714 Depth=3
	s_mov_b32 s31, 0x7f800001
	s_xor_b32 s13, exec_lo, -1
; %bb.9390:                             ;   in Loop: Header=BB4_8714 Depth=3
	s_or_b32 exec_lo, exec_lo, s35
	s_delay_alu instid0(SALU_CYCLE_1)
	s_and_b32 s13, s13, exec_lo
                                        ; implicit-def: $vgpr151
	s_or_saveexec_b32 s34, s34
	v_mov_b32_e32 v85, s31
	s_xor_b32 exec_lo, exec_lo, s34
	s_cbranch_execz .LBB4_9098
.LBB4_9391:                             ;   in Loop: Header=BB4_8714 Depth=3
	v_cmp_ne_u16_e64 vcc_lo, 0, v151
	v_mov_b32_e32 v85, 0
	s_and_not1_b32 s13, s13, exec_lo
	s_delay_alu instid0(VALU_DEP_2) | instskip(NEXT) | instid1(SALU_CYCLE_1)
	s_and_b32 vcc_lo, vcc_lo, exec_lo
	s_or_b32 s13, s13, vcc_lo
	s_or_b32 exec_lo, exec_lo, s34
	s_and_saveexec_b32 s31, s13
	s_cbranch_execnz .LBB4_9099
	s_branch .LBB4_9100
.LBB4_9392:                             ;   in Loop: Header=BB4_8714 Depth=3
	s_mov_b32 s13, -1
	s_mov_b32 s35, exec_lo
                                        ; implicit-def: $sgpr31
	v_cmpx_eq_u16_e32 0x80, v85
; %bb.9393:                             ;   in Loop: Header=BB4_8714 Depth=3
	s_mov_b32 s31, 0x7f800001
	s_xor_b32 s13, exec_lo, -1
; %bb.9394:                             ;   in Loop: Header=BB4_8714 Depth=3
	s_or_b32 exec_lo, exec_lo, s35
	s_delay_alu instid0(SALU_CYCLE_1)
	s_and_b32 s13, s13, exec_lo
                                        ; implicit-def: $vgpr85
	s_or_saveexec_b32 s34, s34
	v_mov_b32_e32 v82, s31
	s_xor_b32 exec_lo, exec_lo, s34
	s_cbranch_execz .LBB4_9105
.LBB4_9395:                             ;   in Loop: Header=BB4_8714 Depth=3
	v_cmp_ne_u16_e32 vcc_lo, 0, v85
	v_mov_b32_e32 v82, 0
	s_and_not1_b32 s13, s13, exec_lo
	s_and_b32 vcc_lo, vcc_lo, exec_lo
	s_delay_alu instid0(SALU_CYCLE_1)
	s_or_b32 s13, s13, vcc_lo
	s_or_b32 exec_lo, exec_lo, s34
	s_and_saveexec_b32 s31, s13
	s_cbranch_execnz .LBB4_9106
	s_branch .LBB4_9107
.LBB4_9396:                             ;   in Loop: Header=BB4_8714 Depth=3
	s_mov_b32 s13, -1
	s_mov_b32 s35, exec_lo
                                        ; implicit-def: $sgpr31
	v_cmpx_eq_u16_e32 0x80, v85
; %bb.9397:                             ;   in Loop: Header=BB4_8714 Depth=3
	s_mov_b32 s31, 0x7f800001
	s_xor_b32 s13, exec_lo, -1
; %bb.9398:                             ;   in Loop: Header=BB4_8714 Depth=3
	s_or_b32 exec_lo, exec_lo, s35
	s_delay_alu instid0(SALU_CYCLE_1)
	s_and_b32 s13, s13, exec_lo
                                        ; implicit-def: $vgpr85
	s_or_saveexec_b32 s34, s34
	v_mov_b32_e32 v70, s31
	s_xor_b32 exec_lo, exec_lo, s34
	s_cbranch_execz .LBB4_9109
.LBB4_9399:                             ;   in Loop: Header=BB4_8714 Depth=3
	v_cmp_ne_u16_e32 vcc_lo, 0, v85
	v_mov_b32_e32 v70, 0
	s_and_not1_b32 s13, s13, exec_lo
	s_and_b32 vcc_lo, vcc_lo, exec_lo
	s_delay_alu instid0(SALU_CYCLE_1)
	s_or_b32 s13, s13, vcc_lo
	s_or_b32 exec_lo, exec_lo, s34
	s_and_saveexec_b32 s31, s13
	s_cbranch_execnz .LBB4_9110
	s_branch .LBB4_9111
.LBB4_9400:                             ;   in Loop: Header=BB4_8714 Depth=3
	s_mov_b32 s13, -1
	s_mov_b32 s35, exec_lo
                                        ; implicit-def: $sgpr31
	v_cmpx_eq_u16_e32 0x80, v82
; %bb.9401:                             ;   in Loop: Header=BB4_8714 Depth=3
	s_mov_b32 s31, 0x7f800001
	s_xor_b32 s13, exec_lo, -1
; %bb.9402:                             ;   in Loop: Header=BB4_8714 Depth=3
	s_or_b32 exec_lo, exec_lo, s35
	s_delay_alu instid0(SALU_CYCLE_1)
	s_and_b32 s13, s13, exec_lo
                                        ; implicit-def: $vgpr82
	s_or_saveexec_b32 s34, s34
	v_mov_b32_e32 v70, s31
	s_xor_b32 exec_lo, exec_lo, s34
	s_cbranch_execz .LBB4_9123
.LBB4_9403:                             ;   in Loop: Header=BB4_8714 Depth=3
	v_cmp_ne_u16_e32 vcc_lo, 0, v82
	v_mov_b32_e32 v70, 0
	s_and_not1_b32 s13, s13, exec_lo
	s_and_b32 vcc_lo, vcc_lo, exec_lo
	s_delay_alu instid0(SALU_CYCLE_1)
	s_or_b32 s13, s13, vcc_lo
	s_or_b32 exec_lo, exec_lo, s34
	s_and_saveexec_b32 s31, s13
	s_cbranch_execnz .LBB4_9124
	s_branch .LBB4_9125
.LBB4_9404:                             ;   in Loop: Header=BB4_8714 Depth=3
	s_mov_b32 s13, -1
	s_mov_b32 s35, exec_lo
                                        ; implicit-def: $sgpr31
	v_cmpx_eq_u16_e32 0x80, v85
; %bb.9405:                             ;   in Loop: Header=BB4_8714 Depth=3
	s_mov_b32 s31, 0x7f800001
	s_xor_b32 s13, exec_lo, -1
; %bb.9406:                             ;   in Loop: Header=BB4_8714 Depth=3
	s_or_b32 exec_lo, exec_lo, s35
	s_delay_alu instid0(SALU_CYCLE_1)
	s_and_b32 s13, s13, exec_lo
                                        ; implicit-def: $vgpr85
	s_or_saveexec_b32 s34, s34
	v_mov_b32_e32 v82, s31
	s_xor_b32 exec_lo, exec_lo, s34
	s_cbranch_execz .LBB4_9127
.LBB4_9407:                             ;   in Loop: Header=BB4_8714 Depth=3
	v_cmp_ne_u16_e32 vcc_lo, 0, v85
	v_mov_b32_e32 v82, 0
	s_and_not1_b32 s13, s13, exec_lo
	s_and_b32 vcc_lo, vcc_lo, exec_lo
	s_delay_alu instid0(SALU_CYCLE_1)
	s_or_b32 s13, s13, vcc_lo
	s_or_b32 exec_lo, exec_lo, s34
	s_and_saveexec_b32 s31, s13
	s_cbranch_execnz .LBB4_9128
	s_branch .LBB4_9129
.LBB4_9408:                             ;   in Loop: Header=BB4_8714 Depth=3
	s_mov_b32 s13, -1
	s_mov_b32 s35, exec_lo
                                        ; implicit-def: $sgpr31
	v_cmpx_eq_u16_e32 0x80, v82
; %bb.9409:                             ;   in Loop: Header=BB4_8714 Depth=3
	s_mov_b32 s31, 0x7f800001
	s_xor_b32 s13, exec_lo, -1
; %bb.9410:                             ;   in Loop: Header=BB4_8714 Depth=3
	s_or_b32 exec_lo, exec_lo, s35
	s_delay_alu instid0(SALU_CYCLE_1)
	s_and_b32 s13, s13, exec_lo
                                        ; implicit-def: $vgpr82
	s_or_saveexec_b32 s34, s34
	v_mov_b32_e32 v70, s31
	s_xor_b32 exec_lo, exec_lo, s34
	s_cbranch_execz .LBB4_9134
.LBB4_9411:                             ;   in Loop: Header=BB4_8714 Depth=3
	v_cmp_ne_u16_e32 vcc_lo, 0, v82
	v_mov_b32_e32 v70, 0
	s_and_not1_b32 s13, s13, exec_lo
	s_and_b32 vcc_lo, vcc_lo, exec_lo
	s_delay_alu instid0(SALU_CYCLE_1)
	s_or_b32 s13, s13, vcc_lo
	s_or_b32 exec_lo, exec_lo, s34
	s_and_saveexec_b32 s31, s13
	s_cbranch_execnz .LBB4_9135
	s_branch .LBB4_9136
.LBB4_9412:                             ;   in Loop: Header=BB4_8714 Depth=3
	s_mov_b32 s13, -1
	s_mov_b32 s35, exec_lo
                                        ; implicit-def: $sgpr31
	v_cmpx_eq_u16_e32 0x80, v82
; %bb.9413:                             ;   in Loop: Header=BB4_8714 Depth=3
	s_mov_b32 s31, 0x7f800001
	s_xor_b32 s13, exec_lo, -1
; %bb.9414:                             ;   in Loop: Header=BB4_8714 Depth=3
	s_or_b32 exec_lo, exec_lo, s35
	s_delay_alu instid0(SALU_CYCLE_1)
	s_and_b32 s13, s13, exec_lo
                                        ; implicit-def: $vgpr82
	s_or_saveexec_b32 s34, s34
	v_mov_b32_e32 v22, s31
	s_xor_b32 exec_lo, exec_lo, s34
	s_cbranch_execz .LBB4_9138
.LBB4_9415:                             ;   in Loop: Header=BB4_8714 Depth=3
	v_cmp_ne_u16_e32 vcc_lo, 0, v82
	v_mov_b32_e32 v22, 0
	s_and_not1_b32 s13, s13, exec_lo
	s_and_b32 vcc_lo, vcc_lo, exec_lo
	s_delay_alu instid0(SALU_CYCLE_1)
	s_or_b32 s13, s13, vcc_lo
	s_or_b32 exec_lo, exec_lo, s34
	s_and_saveexec_b32 s31, s13
	s_cbranch_execnz .LBB4_9139
	s_branch .LBB4_9140
.LBB4_9416:                             ;   in Loop: Header=BB4_8714 Depth=3
	s_mov_b32 s13, -1
	s_mov_b32 s35, exec_lo
                                        ; implicit-def: $sgpr31
	v_cmpx_eq_u16_e32 0x80, v70
; %bb.9417:                             ;   in Loop: Header=BB4_8714 Depth=3
	s_mov_b32 s31, 0x7f800001
	s_xor_b32 s13, exec_lo, -1
; %bb.9418:                             ;   in Loop: Header=BB4_8714 Depth=3
	s_or_b32 exec_lo, exec_lo, s35
	s_delay_alu instid0(SALU_CYCLE_1)
	s_and_b32 s13, s13, exec_lo
                                        ; implicit-def: $vgpr70
	s_or_saveexec_b32 s34, s34
	v_mov_b32_e32 v22, s31
	s_xor_b32 exec_lo, exec_lo, s34
	s_cbranch_execz .LBB4_9152
.LBB4_9419:                             ;   in Loop: Header=BB4_8714 Depth=3
	v_cmp_ne_u16_e32 vcc_lo, 0, v70
	v_mov_b32_e32 v22, 0
	s_and_not1_b32 s13, s13, exec_lo
	s_and_b32 vcc_lo, vcc_lo, exec_lo
	s_delay_alu instid0(SALU_CYCLE_1)
	s_or_b32 s13, s13, vcc_lo
	s_or_b32 exec_lo, exec_lo, s34
	s_and_saveexec_b32 s31, s13
	s_cbranch_execnz .LBB4_9153
	s_branch .LBB4_9154
.LBB4_9420:                             ;   in Loop: Header=BB4_8714 Depth=3
	s_mov_b32 s13, -1
	s_mov_b32 s35, exec_lo
                                        ; implicit-def: $sgpr31
	v_cmpx_eq_u16_e32 0x80, v82
; %bb.9421:                             ;   in Loop: Header=BB4_8714 Depth=3
	s_mov_b32 s31, 0x7f800001
	s_xor_b32 s13, exec_lo, -1
; %bb.9422:                             ;   in Loop: Header=BB4_8714 Depth=3
	s_or_b32 exec_lo, exec_lo, s35
	s_delay_alu instid0(SALU_CYCLE_1)
	s_and_b32 s13, s13, exec_lo
                                        ; implicit-def: $vgpr82
	s_or_saveexec_b32 s34, s34
	v_mov_b32_e32 v70, s31
	s_xor_b32 exec_lo, exec_lo, s34
	s_cbranch_execz .LBB4_9156
.LBB4_9423:                             ;   in Loop: Header=BB4_8714 Depth=3
	v_cmp_ne_u16_e32 vcc_lo, 0, v82
	v_mov_b32_e32 v70, 0
	s_and_not1_b32 s13, s13, exec_lo
	s_and_b32 vcc_lo, vcc_lo, exec_lo
	s_delay_alu instid0(SALU_CYCLE_1)
	s_or_b32 s13, s13, vcc_lo
	s_or_b32 exec_lo, exec_lo, s34
	s_and_saveexec_b32 s31, s13
	s_cbranch_execnz .LBB4_9157
	s_branch .LBB4_9158
.LBB4_9424:                             ;   in Loop: Header=BB4_8714 Depth=3
	s_mov_b32 s13, -1
	s_mov_b32 s35, exec_lo
                                        ; implicit-def: $sgpr31
	v_cmpx_eq_u16_e32 0x80, v70
; %bb.9425:                             ;   in Loop: Header=BB4_8714 Depth=3
	s_mov_b32 s31, 0x7f800001
	s_xor_b32 s13, exec_lo, -1
; %bb.9426:                             ;   in Loop: Header=BB4_8714 Depth=3
	s_or_b32 exec_lo, exec_lo, s35
	s_delay_alu instid0(SALU_CYCLE_1)
	s_and_b32 s13, s13, exec_lo
                                        ; implicit-def: $vgpr70
	s_or_saveexec_b32 s34, s34
	v_mov_b32_e32 v22, s31
	s_xor_b32 exec_lo, exec_lo, s34
	s_cbranch_execz .LBB4_9163
.LBB4_9427:                             ;   in Loop: Header=BB4_8714 Depth=3
	v_cmp_ne_u16_e32 vcc_lo, 0, v70
	v_mov_b32_e32 v22, 0
	s_and_not1_b32 s13, s13, exec_lo
	s_and_b32 vcc_lo, vcc_lo, exec_lo
	s_delay_alu instid0(SALU_CYCLE_1)
	s_or_b32 s13, s13, vcc_lo
	s_or_b32 exec_lo, exec_lo, s34
	s_and_saveexec_b32 s31, s13
	s_cbranch_execnz .LBB4_9164
	s_branch .LBB4_9165
.LBB4_9428:                             ;   in Loop: Header=BB4_8714 Depth=3
	s_mov_b32 s13, -1
	s_mov_b32 s35, exec_lo
                                        ; implicit-def: $sgpr31
	v_cmpx_eq_u16_e32 0x80, v70
; %bb.9429:                             ;   in Loop: Header=BB4_8714 Depth=3
	s_mov_b32 s31, 0x7f800001
	s_xor_b32 s13, exec_lo, -1
; %bb.9430:                             ;   in Loop: Header=BB4_8714 Depth=3
	s_or_b32 exec_lo, exec_lo, s35
	s_delay_alu instid0(SALU_CYCLE_1)
	s_and_b32 s13, s13, exec_lo
                                        ; implicit-def: $vgpr70
	s_or_saveexec_b32 s34, s34
	v_mov_b32_e32 v19, s31
	s_xor_b32 exec_lo, exec_lo, s34
	s_cbranch_execz .LBB4_9167
.LBB4_9431:                             ;   in Loop: Header=BB4_8714 Depth=3
	v_cmp_ne_u16_e32 vcc_lo, 0, v70
	v_mov_b32_e32 v19, 0
	s_and_not1_b32 s13, s13, exec_lo
	s_and_b32 vcc_lo, vcc_lo, exec_lo
	s_delay_alu instid0(SALU_CYCLE_1)
	s_or_b32 s13, s13, vcc_lo
	s_or_b32 exec_lo, exec_lo, s34
	s_and_saveexec_b32 s31, s13
	s_cbranch_execnz .LBB4_9168
	s_branch .LBB4_9169
.LBB4_9432:                             ;   in Loop: Header=BB4_3484 Depth=2
	s_or_b32 exec_lo, exec_lo, s17
.LBB4_9433:                             ;   in Loop: Header=BB4_3484 Depth=2
	s_delay_alu instid0(SALU_CYCLE_1) | instskip(SKIP_2) | instid1(VALU_DEP_1)
	s_or_b32 exec_lo, exec_lo, s15
	v_lshlrev_b32_e32 v8, 9, v17
	s_mov_b32 s15, exec_lo
	v_cmpx_ne_u32_e64 v15, v8
	s_cbranch_execz .LBB4_9483
; %bb.9434:                             ;   in Loop: Header=BB4_3484 Depth=2
	v_ashrrev_i32_e32 v9, 31, v16
	v_lshlrev_b32_e32 v2, 5, v2
	s_delay_alu instid0(VALU_DEP_2) | instskip(NEXT) | instid1(VALU_DEP_1)
	v_lshrrev_b32_e32 v9, 27, v9
	v_add_nc_u32_e32 v9, v16, v9
	s_delay_alu instid0(VALU_DEP_1) | instskip(NEXT) | instid1(VALU_DEP_1)
	v_and_b32_e32 v9, 0xffffffe0, v9
	v_sub_nc_u32_e32 v9, v16, v9
	s_delay_alu instid0(VALU_DEP_1) | instskip(NEXT) | instid1(VALU_DEP_1)
	v_sub_nc_u32_e32 v2, v9, v2
	v_add_nc_u32_e32 v8, v8, v2
	s_delay_alu instid0(VALU_DEP_1) | instskip(NEXT) | instid1(VALU_DEP_1)
	v_sub_nc_u32_e32 v2, v15, v8
	v_cmp_lt_i32_e32 vcc_lo, 0, v2
	s_and_b32 exec_lo, exec_lo, vcc_lo
	s_cbranch_execz .LBB4_9483
; %bb.9435:                             ;   in Loop: Header=BB4_3484 Depth=2
	s_cbranch_execnz .LBB4_10608
; %bb.9436:                             ;   in Loop: Header=BB4_3484 Depth=2
	ds_load_b128 v[9:12], v0
	ds_load_b64 v[15:16], v0
	v_add_nc_u32_e32 v13, v8, v14
	s_bitcmp1_b32 s30, 0
	s_mov_b32 s16, 0
	s_cselect_b32 s17, -1, 0
	s_delay_alu instid0(VALU_DEP_1) | instskip(SKIP_2) | instid1(VALU_DEP_2)
	v_ashrrev_i32_e32 v14, 31, v13
	s_waitcnt lgkmcnt(1)
	v_add_co_u32 v8, vcc_lo, v9, v13
	v_add_co_ci_u32_e32 v9, vcc_lo, v10, v14, vcc_lo
	v_add_co_u32 v10, vcc_lo, v11, v13
	v_add_co_ci_u32_e32 v11, vcc_lo, v12, v14, vcc_lo
	s_waitcnt lgkmcnt(0)
	v_add_co_u32 v12, vcc_lo, v15, v13
	v_add_co_ci_u32_e32 v13, vcc_lo, v16, v14, vcc_lo
	s_branch .LBB4_9440
.LBB4_9437:                             ;   in Loop: Header=BB4_9440 Depth=3
	s_or_b32 exec_lo, exec_lo, s13
	s_delay_alu instid0(VALU_DEP_1) | instskip(NEXT) | instid1(VALU_DEP_2)
	v_lshrrev_b32_e32 v15, 20, v15
	v_cmp_gt_i32_e32 vcc_lo, 16, v14
	v_lshrrev_b32_e32 v16, 24, v18
	v_min_i32_e32 v17, 15, v14
	s_delay_alu instid0(VALU_DEP_2) | instskip(NEXT) | instid1(VALU_DEP_1)
	v_dual_cndmask_b32 v15, 7, v15 :: v_dual_and_b32 v16, 0x80, v16
	v_or_b32_e32 v14, v14, v15
	v_and_b32_e32 v18, 7, v15
	s_delay_alu instid0(VALU_DEP_2) | instskip(SKIP_1) | instid1(VALU_DEP_1)
	v_cmp_ne_u32_e32 vcc_lo, 0, v14
	v_lshlrev_b32_e32 v17, 3, v17
	v_or3_b32 v15, v17, v16, v18
	s_delay_alu instid0(VALU_DEP_1)
	v_cndmask_b32_e32 v14, 0, v15, vcc_lo
.LBB4_9438:                             ;   in Loop: Header=BB4_9440 Depth=3
	s_or_b32 exec_lo, exec_lo, s31
.LBB4_9439:                             ;   in Loop: Header=BB4_9440 Depth=3
	s_delay_alu instid0(SALU_CYCLE_1)
	s_or_b32 exec_lo, exec_lo, s30
	v_add_co_u32 v8, vcc_lo, v8, v128
	v_sub_nc_u32_e32 v2, v2, v98
	v_add_co_ci_u32_e32 v9, vcc_lo, v9, v129, vcc_lo
	v_add_co_u32 v10, vcc_lo, v10, v128
	v_add_co_ci_u32_e32 v11, vcc_lo, v11, v129, vcc_lo
	flat_store_b8 v[12:13], v14 glc slc dlc
	v_cmp_gt_i32_e32 vcc_lo, 1, v2
	v_add_co_u32 v12, s13, v12, v128
	s_delay_alu instid0(VALU_DEP_1) | instskip(SKIP_1) | instid1(SALU_CYCLE_1)
	v_add_co_ci_u32_e64 v13, s13, v13, v129, s13
	s_or_b32 s16, vcc_lo, s16
	s_and_not1_b32 exec_lo, exec_lo, s16
	s_cbranch_execz .LBB4_9483
.LBB4_9440:                             ;   Parent Loop BB4_51 Depth=1
                                        ;     Parent Loop BB4_3484 Depth=2
                                        ; =>    This Inner Loop Header: Depth=3
	flat_load_u8 v15, v[10:11] slc dlc
	flat_load_u8 v16, v[8:9] slc dlc
	s_waitcnt vmcnt(1) lgkmcnt(1)
	v_bfe_u32 v19, v15, 3, 4
	v_lshlrev_b32_e32 v20, 24, v15
	s_delay_alu instid0(VALU_DEP_2) | instskip(SKIP_1) | instid1(VALU_DEP_1)
	v_cmp_eq_u32_e32 vcc_lo, 0, v19
	v_and_b32_e32 v14, 7, v15
	v_clz_i32_u32_e32 v17, v14
	s_delay_alu instid0(VALU_DEP_1) | instskip(NEXT) | instid1(VALU_DEP_1)
	v_min_u32_e32 v17, 32, v17
	v_subrev_nc_u32_e32 v18, 28, v17
	v_sub_nc_u32_e32 v17, 29, v17
	s_delay_alu instid0(VALU_DEP_1) | instskip(NEXT) | instid1(VALU_DEP_1)
	v_dual_cndmask_b32 v17, v19, v17 :: v_dual_lshlrev_b32 v18, v18, v15
	v_and_b32_e32 v18, 7, v18
	s_delay_alu instid0(VALU_DEP_2) | instskip(SKIP_1) | instid1(VALU_DEP_2)
	v_lshl_add_u32 v19, v17, 23, 0x3b800000
	s_waitcnt vmcnt(0) lgkmcnt(0)
	v_dual_cndmask_b32 v14, v14, v18 :: v_dual_and_b32 v17, 0xff, v16
	v_and_b32_e32 v18, 0x80000000, v20
	s_and_b32 vcc_lo, exec_lo, s17
	s_delay_alu instid0(VALU_DEP_2) | instskip(NEXT) | instid1(VALU_DEP_3)
	v_cmp_lt_i16_e64 s13, 0x7f, v17
	v_lshlrev_b32_e32 v14, 20, v14
	s_delay_alu instid0(VALU_DEP_1)
	v_or3_b32 v14, v18, v19, v14
	s_cbranch_vccz .LBB4_9450
; %bb.9441:                             ;   in Loop: Header=BB4_9440 Depth=3
	s_mov_b32 s30, 0
                                        ; implicit-def: $sgpr31
	s_and_saveexec_b32 vcc_lo, s13
	s_delay_alu instid0(SALU_CYCLE_1)
	s_xor_b32 s13, exec_lo, vcc_lo
	s_cbranch_execnz .LBB4_9467
; %bb.9442:                             ;   in Loop: Header=BB4_9440 Depth=3
	s_or_saveexec_b32 s13, s13
	v_mov_b32_e32 v18, s31
	s_xor_b32 exec_lo, exec_lo, s13
	s_cbranch_execnz .LBB4_9470
.LBB4_9443:                             ;   in Loop: Header=BB4_9440 Depth=3
	s_or_b32 exec_lo, exec_lo, s13
	s_and_saveexec_b32 s13, s30
	s_cbranch_execz .LBB4_9445
.LBB4_9444:                             ;   in Loop: Header=BB4_9440 Depth=3
	v_lshrrev_b16 v21, 3, v16
	v_lshlrev_b32_e32 v22, 24, v16
	s_delay_alu instid0(VALU_DEP_2) | instskip(NEXT) | instid1(VALU_DEP_1)
	v_and_b32_e32 v21, 15, v21
	v_cmp_eq_u32_e32 vcc_lo, 0, v21
	v_and_b32_e32 v18, 7, v16
	s_delay_alu instid0(VALU_DEP_1) | instskip(NEXT) | instid1(VALU_DEP_1)
	v_clz_i32_u32_e32 v19, v18
	v_min_u32_e32 v19, 32, v19
	s_delay_alu instid0(VALU_DEP_1) | instskip(SKIP_1) | instid1(VALU_DEP_1)
	v_subrev_nc_u32_e32 v20, 28, v19
	v_sub_nc_u32_e32 v19, 29, v19
	v_dual_cndmask_b32 v19, v21, v19 :: v_dual_lshlrev_b32 v20, v20, v16
	s_delay_alu instid0(VALU_DEP_1) | instskip(NEXT) | instid1(VALU_DEP_2)
	v_and_b32_e32 v20, 7, v20
	v_lshl_add_u32 v19, v19, 23, 0x3b800000
	s_delay_alu instid0(VALU_DEP_2) | instskip(SKIP_1) | instid1(VALU_DEP_2)
	v_cndmask_b32_e32 v18, v18, v20, vcc_lo
	v_and_b32_e32 v20, 0x80000000, v22
	v_lshlrev_b32_e32 v18, 20, v18
	s_delay_alu instid0(VALU_DEP_1)
	v_or3_b32 v18, v20, v19, v18
.LBB4_9445:                             ;   in Loop: Header=BB4_9440 Depth=3
	s_or_b32 exec_lo, exec_lo, s13
	v_and_b32_e32 v19, 0xff, v15
	s_mov_b32 s13, 0
	s_mov_b32 s31, exec_lo
                                        ; implicit-def: $sgpr30
	s_delay_alu instid0(VALU_DEP_1)
	v_cmpx_lt_i16_e32 0x7f, v19
	s_xor_b32 s31, exec_lo, s31
	s_cbranch_execnz .LBB4_9471
; %bb.9446:                             ;   in Loop: Header=BB4_9440 Depth=3
	s_or_saveexec_b32 s31, s31
	v_mov_b32_e32 v20, s30
	s_xor_b32 exec_lo, exec_lo, s31
	s_cbranch_execnz .LBB4_9474
.LBB4_9447:                             ;   in Loop: Header=BB4_9440 Depth=3
	s_or_b32 exec_lo, exec_lo, s31
	s_and_saveexec_b32 vcc_lo, s13
.LBB4_9448:                             ;   in Loop: Header=BB4_9440 Depth=3
	v_mov_b32_e32 v20, v14
.LBB4_9449:                             ;   in Loop: Header=BB4_9440 Depth=3
	s_or_b32 exec_lo, exec_lo, vcc_lo
	s_delay_alu instid0(VALU_DEP_1) | instskip(SKIP_1) | instid1(VALU_DEP_1)
	v_dual_max_f32 v19, v20, v20 :: v_dual_max_f32 v18, v18, v18
	s_mov_b32 s13, 0
	v_max_f32_e32 v18, v18, v19
	s_branch .LBB4_9451
.LBB4_9450:                             ;   in Loop: Header=BB4_9440 Depth=3
	s_mov_b32 s13, -1
                                        ; implicit-def: $vgpr18
.LBB4_9451:                             ;   in Loop: Header=BB4_9440 Depth=3
	s_delay_alu instid0(SALU_CYCLE_1)
	s_and_b32 vcc_lo, exec_lo, s13
	s_cbranch_vccz .LBB4_9461
; %bb.9452:                             ;   in Loop: Header=BB4_9440 Depth=3
	s_mov_b32 s13, 0
	s_mov_b32 s31, exec_lo
                                        ; implicit-def: $sgpr30
	v_cmpx_lt_i16_e32 0x7f, v17
	s_xor_b32 s31, exec_lo, s31
	s_cbranch_execnz .LBB4_9475
; %bb.9453:                             ;   in Loop: Header=BB4_9440 Depth=3
	s_or_saveexec_b32 s31, s31
	v_mov_b32_e32 v18, s30
	s_xor_b32 exec_lo, exec_lo, s31
	s_cbranch_execnz .LBB4_9478
.LBB4_9454:                             ;   in Loop: Header=BB4_9440 Depth=3
	s_or_b32 exec_lo, exec_lo, s31
	s_and_saveexec_b32 s30, s13
	s_cbranch_execz .LBB4_9456
.LBB4_9455:                             ;   in Loop: Header=BB4_9440 Depth=3
	v_lshrrev_b16 v20, 3, v16
	s_delay_alu instid0(VALU_DEP_1) | instskip(NEXT) | instid1(VALU_DEP_1)
	v_and_b32_e32 v20, 15, v20
	v_cmp_eq_u32_e32 vcc_lo, 0, v20
	v_and_b32_e32 v17, 7, v16
	s_delay_alu instid0(VALU_DEP_1) | instskip(NEXT) | instid1(VALU_DEP_1)
	v_clz_i32_u32_e32 v18, v17
	v_min_u32_e32 v18, 32, v18
	s_delay_alu instid0(VALU_DEP_1) | instskip(SKIP_1) | instid1(VALU_DEP_1)
	v_subrev_nc_u32_e32 v19, 28, v18
	v_sub_nc_u32_e32 v18, 29, v18
	v_dual_cndmask_b32 v18, v20, v18 :: v_dual_lshlrev_b32 v19, v19, v16
	v_lshlrev_b32_e32 v16, 24, v16
	s_delay_alu instid0(VALU_DEP_2) | instskip(NEXT) | instid1(VALU_DEP_3)
	v_and_b32_e32 v19, 7, v19
	v_lshl_add_u32 v18, v18, 23, 0x3b800000
	s_delay_alu instid0(VALU_DEP_2) | instskip(NEXT) | instid1(VALU_DEP_1)
	v_dual_cndmask_b32 v17, v17, v19 :: v_dual_and_b32 v16, 0x80000000, v16
	v_lshlrev_b32_e32 v17, 20, v17
	s_delay_alu instid0(VALU_DEP_1)
	v_or3_b32 v18, v16, v18, v17
.LBB4_9456:                             ;   in Loop: Header=BB4_9440 Depth=3
	s_or_b32 exec_lo, exec_lo, s30
	v_and_b32_e32 v15, 0xff, v15
	s_mov_b32 s13, 0
	s_mov_b32 s31, exec_lo
                                        ; implicit-def: $sgpr30
	s_delay_alu instid0(VALU_DEP_1)
	v_cmpx_lt_i16_e32 0x7f, v15
	s_xor_b32 s31, exec_lo, s31
	s_cbranch_execnz .LBB4_9479
; %bb.9457:                             ;   in Loop: Header=BB4_9440 Depth=3
	s_or_saveexec_b32 s31, s31
	v_mov_b32_e32 v16, s30
	s_xor_b32 exec_lo, exec_lo, s31
	s_cbranch_execnz .LBB4_9482
.LBB4_9458:                             ;   in Loop: Header=BB4_9440 Depth=3
	s_or_b32 exec_lo, exec_lo, s31
	s_and_saveexec_b32 vcc_lo, s13
.LBB4_9459:                             ;   in Loop: Header=BB4_9440 Depth=3
	v_mov_b32_e32 v16, v14
.LBB4_9460:                             ;   in Loop: Header=BB4_9440 Depth=3
	s_or_b32 exec_lo, exec_lo, vcc_lo
	s_delay_alu instid0(VALU_DEP_1) | instskip(NEXT) | instid1(VALU_DEP_1)
	v_dual_max_f32 v14, v16, v16 :: v_dual_max_f32 v15, v18, v18
	v_min_f32_e32 v18, v15, v14
.LBB4_9461:                             ;   in Loop: Header=BB4_9440 Depth=3
	s_delay_alu instid0(VALU_DEP_1) | instskip(NEXT) | instid1(VALU_DEP_1)
	v_and_b32_e32 v14, 0x7f800000, v18
	v_cmp_ne_u32_e32 vcc_lo, 0x7f800000, v14
	v_mov_b32_e32 v14, 0x80
	s_and_saveexec_b32 s30, vcc_lo
	s_cbranch_execz .LBB4_9439
; %bb.9462:                             ;   in Loop: Header=BB4_9440 Depth=3
	v_mov_b32_e32 v14, 0
	s_mov_b32 s31, exec_lo
	v_cmpx_ne_u32_e32 0, v18
	s_cbranch_execz .LBB4_9438
; %bb.9463:                             ;   in Loop: Header=BB4_9440 Depth=3
	v_bfe_u32 v14, v18, 23, 8
	s_delay_alu instid0(VALU_DEP_1) | instskip(SKIP_1) | instid1(VALU_DEP_2)
	v_sub_nc_u32_e32 v16, 0x78, v14
	v_cmp_gt_u32_e32 vcc_lo, 0x79, v14
	v_dual_cndmask_b32 v16, 0, v16 :: v_dual_and_b32 v15, 0x7fffff, v18
	s_delay_alu instid0(VALU_DEP_1) | instskip(SKIP_2) | instid1(VALU_DEP_4)
	v_or_b32_e32 v17, 0x800000, v15
	v_cmp_eq_u32_e32 vcc_lo, 0, v14
	v_add_nc_u32_e32 v14, 0xffffff89, v14
	v_cndmask_b32_e64 v16, v16, 0x77, vcc_lo
	s_delay_alu instid0(VALU_DEP_4) | instskip(NEXT) | instid1(VALU_DEP_3)
	v_cndmask_b32_e32 v15, v17, v15, vcc_lo
	v_cndmask_b32_e64 v14, v14, 0xffffff8a, vcc_lo
	s_delay_alu instid0(VALU_DEP_3) | instskip(NEXT) | instid1(VALU_DEP_3)
	v_lshl_add_u32 v17, 0x100000, v16, -1
	v_lshrrev_b32_e32 v19, v16, v15
	v_lshlrev_b32_e64 v21, v16, 0x80000
	s_delay_alu instid0(VALU_DEP_4) | instskip(NEXT) | instid1(VALU_DEP_4)
	v_add_nc_u32_e32 v16, v16, v14
	v_and_b32_e32 v15, v17, v15
	s_delay_alu instid0(VALU_DEP_4) | instskip(NEXT) | instid1(VALU_DEP_2)
	v_bfe_u32 v20, v19, 20, 1
	v_cmp_eq_u32_e64 s13, v15, v21
	s_delay_alu instid0(VALU_DEP_2) | instskip(NEXT) | instid1(VALU_DEP_1)
	v_add_nc_u32_e32 v17, -1, v20
	v_cndmask_b32_e64 v15, 0, v17, s13
	v_lshrrev_b32_e32 v17, 23, v19
	s_mov_b32 s13, exec_lo
	s_delay_alu instid0(VALU_DEP_2) | instskip(NEXT) | instid1(VALU_DEP_2)
	v_add_nc_u32_e32 v15, v15, v19
	v_xor_b32_e32 v17, 1, v17
	s_delay_alu instid0(VALU_DEP_2) | instskip(NEXT) | instid1(VALU_DEP_1)
	v_and_b32_e32 v14, 0xfffff, v15
	v_add_nc_u32_e32 v15, v14, v19
                                        ; implicit-def: $vgpr14
	s_delay_alu instid0(VALU_DEP_3)
	v_cmpx_ne_u32_e64 v16, v17
	s_xor_b32 s13, exec_lo, s13
; %bb.9464:                             ;   in Loop: Header=BB4_9440 Depth=3
	s_delay_alu instid0(VALU_DEP_2) | instskip(SKIP_2) | instid1(VALU_DEP_2)
	v_cmp_lt_u32_e32 vcc_lo, 0xffffff, v15
	v_sub_nc_u32_e32 v14, v16, v17
	v_cndmask_b32_e64 v16, 0, 1, vcc_lo
	v_add_co_ci_u32_e32 v14, vcc_lo, 0, v14, vcc_lo
	s_delay_alu instid0(VALU_DEP_2)
	v_lshrrev_b32_e32 v15, v16, v15
; %bb.9465:                             ;   in Loop: Header=BB4_9440 Depth=3
	s_and_not1_saveexec_b32 s13, s13
	s_cbranch_execz .LBB4_9437
; %bb.9466:                             ;   in Loop: Header=BB4_9440 Depth=3
	s_delay_alu instid0(VALU_DEP_1)
	v_bfe_u32 v14, v15, 23, 1
	s_branch .LBB4_9437
.LBB4_9467:                             ;   in Loop: Header=BB4_9440 Depth=3
	s_mov_b32 s30, -1
	s_mov_b32 s34, exec_lo
                                        ; implicit-def: $sgpr31
	v_cmpx_eq_u16_e32 0x80, v17
; %bb.9468:                             ;   in Loop: Header=BB4_9440 Depth=3
	s_mov_b32 s31, 0x7f800001
	s_xor_b32 s30, exec_lo, -1
; %bb.9469:                             ;   in Loop: Header=BB4_9440 Depth=3
	s_or_b32 exec_lo, exec_lo, s34
	s_delay_alu instid0(SALU_CYCLE_1)
	s_and_b32 s30, s30, exec_lo
	s_or_saveexec_b32 s13, s13
	v_mov_b32_e32 v18, s31
	s_xor_b32 exec_lo, exec_lo, s13
	s_cbranch_execz .LBB4_9443
.LBB4_9470:                             ;   in Loop: Header=BB4_9440 Depth=3
	v_cmp_ne_u16_e32 vcc_lo, 0, v17
	v_mov_b32_e32 v18, 0
	s_and_not1_b32 s30, s30, exec_lo
	s_and_b32 vcc_lo, vcc_lo, exec_lo
	s_delay_alu instid0(SALU_CYCLE_1)
	s_or_b32 s30, s30, vcc_lo
	s_or_b32 exec_lo, exec_lo, s13
	s_and_saveexec_b32 s13, s30
	s_cbranch_execnz .LBB4_9444
	s_branch .LBB4_9445
.LBB4_9471:                             ;   in Loop: Header=BB4_9440 Depth=3
	s_mov_b32 s13, -1
	s_mov_b32 s34, exec_lo
                                        ; implicit-def: $sgpr30
	v_cmpx_eq_u16_e32 0x80, v19
; %bb.9472:                             ;   in Loop: Header=BB4_9440 Depth=3
	s_mov_b32 s30, 0x7f800001
	s_xor_b32 s13, exec_lo, -1
; %bb.9473:                             ;   in Loop: Header=BB4_9440 Depth=3
	s_or_b32 exec_lo, exec_lo, s34
	s_delay_alu instid0(SALU_CYCLE_1)
	s_and_b32 s13, s13, exec_lo
                                        ; implicit-def: $vgpr19
	s_or_saveexec_b32 s31, s31
	v_mov_b32_e32 v20, s30
	s_xor_b32 exec_lo, exec_lo, s31
	s_cbranch_execz .LBB4_9447
.LBB4_9474:                             ;   in Loop: Header=BB4_9440 Depth=3
	v_cmp_ne_u16_e32 vcc_lo, 0, v19
	v_mov_b32_e32 v20, 0
	s_and_not1_b32 s13, s13, exec_lo
	s_and_b32 vcc_lo, vcc_lo, exec_lo
	s_delay_alu instid0(SALU_CYCLE_1)
	s_or_b32 s13, s13, vcc_lo
	s_or_b32 exec_lo, exec_lo, s31
	s_and_saveexec_b32 vcc_lo, s13
	s_cbranch_execnz .LBB4_9448
	s_branch .LBB4_9449
.LBB4_9475:                             ;   in Loop: Header=BB4_9440 Depth=3
	s_mov_b32 s13, -1
	s_mov_b32 s34, exec_lo
                                        ; implicit-def: $sgpr30
	v_cmpx_eq_u16_e32 0x80, v17
; %bb.9476:                             ;   in Loop: Header=BB4_9440 Depth=3
	s_mov_b32 s30, 0x7f800001
	s_xor_b32 s13, exec_lo, -1
; %bb.9477:                             ;   in Loop: Header=BB4_9440 Depth=3
	s_or_b32 exec_lo, exec_lo, s34
	s_delay_alu instid0(SALU_CYCLE_1)
	s_and_b32 s13, s13, exec_lo
                                        ; implicit-def: $vgpr17
	s_or_saveexec_b32 s31, s31
	v_mov_b32_e32 v18, s30
	s_xor_b32 exec_lo, exec_lo, s31
	s_cbranch_execz .LBB4_9454
.LBB4_9478:                             ;   in Loop: Header=BB4_9440 Depth=3
	v_cmp_ne_u16_e32 vcc_lo, 0, v17
	v_mov_b32_e32 v18, 0
	s_and_not1_b32 s13, s13, exec_lo
	s_and_b32 vcc_lo, vcc_lo, exec_lo
	s_delay_alu instid0(SALU_CYCLE_1)
	s_or_b32 s13, s13, vcc_lo
	s_or_b32 exec_lo, exec_lo, s31
	s_and_saveexec_b32 s30, s13
	s_cbranch_execnz .LBB4_9455
	s_branch .LBB4_9456
.LBB4_9479:                             ;   in Loop: Header=BB4_9440 Depth=3
	s_mov_b32 s13, -1
	s_mov_b32 s34, exec_lo
                                        ; implicit-def: $sgpr30
	v_cmpx_eq_u16_e32 0x80, v15
; %bb.9480:                             ;   in Loop: Header=BB4_9440 Depth=3
	s_mov_b32 s30, 0x7f800001
	s_xor_b32 s13, exec_lo, -1
; %bb.9481:                             ;   in Loop: Header=BB4_9440 Depth=3
	s_or_b32 exec_lo, exec_lo, s34
	s_delay_alu instid0(SALU_CYCLE_1)
	s_and_b32 s13, s13, exec_lo
                                        ; implicit-def: $vgpr15
	s_or_saveexec_b32 s31, s31
	v_mov_b32_e32 v16, s30
	s_xor_b32 exec_lo, exec_lo, s31
	s_cbranch_execz .LBB4_9458
.LBB4_9482:                             ;   in Loop: Header=BB4_9440 Depth=3
	v_cmp_ne_u16_e32 vcc_lo, 0, v15
	v_mov_b32_e32 v16, 0
	s_and_not1_b32 s13, s13, exec_lo
	s_and_b32 vcc_lo, vcc_lo, exec_lo
	s_delay_alu instid0(SALU_CYCLE_1)
	s_or_b32 s13, s13, vcc_lo
	s_or_b32 exec_lo, exec_lo, s31
	s_and_saveexec_b32 vcc_lo, s13
	s_cbranch_execnz .LBB4_9459
	s_branch .LBB4_9460
.LBB4_9483:                             ;   in Loop: Header=BB4_3484 Depth=2
	s_or_b32 exec_lo, exec_lo, s15
.LBB4_9484:                             ;   in Loop: Header=BB4_3484 Depth=2
	s_delay_alu instid0(SALU_CYCLE_1)
	s_or_b32 exec_lo, exec_lo, s14
.LBB4_9485:                             ;   in Loop: Header=BB4_3484 Depth=2
	s_and_saveexec_b32 s13, s3
	s_cbranch_execz .LBB4_9507
; %bb.9486:                             ;   in Loop: Header=BB4_3484 Depth=2
	s_and_saveexec_b32 s14, s4
	s_delay_alu instid0(SALU_CYCLE_1)
	s_xor_b32 s14, exec_lo, s14
	s_cbranch_execz .LBB4_9504
; %bb.9487:                             ;   in Loop: Header=BB4_3484 Depth=2
	s_and_saveexec_b32 s15, s1
	s_cbranch_execz .LBB4_9503
; %bb.9488:                             ;   in Loop: Header=BB4_3484 Depth=2
	s_mov_b32 s17, exec_lo
	s_mov_b32 s16, exec_lo
	v_mbcnt_lo_u32_b32 v2, s17, 0
	s_waitcnt vmcnt(0) lgkmcnt(0)
	s_waitcnt_vscnt null, 0x0
	buffer_gl1_inv
	buffer_gl0_inv
	v_cmpx_eq_u32_e32 0, v2
	s_cbranch_execz .LBB4_9490
; %bb.9489:                             ;   in Loop: Header=BB4_3484 Depth=2
	s_bcnt1_i32_b32 s17, s17
	s_delay_alu instid0(SALU_CYCLE_1)
	v_mov_b32_e32 v2, s17
	ds_add_u64 v0, v[2:3]
	s_cbranch_execnz .LBB4_10508
.LBB4_9490:                             ;   in Loop: Header=BB4_3484 Depth=2
	s_or_b32 exec_lo, exec_lo, s16
	s_cbranch_execnz .LBB4_10478
; %bb.9491:                             ;   in Loop: Header=BB4_3484 Depth=2
	ds_load_b64 v[8:9], v0
	v_add_co_u32 v48, vcc_lo, v48, v97
	v_add_co_ci_u32_e32 v49, vcc_lo, 0, v49, vcc_lo
	s_mov_b32 s16, exec_lo
	s_waitcnt lgkmcnt(0)
	s_delay_alu instid0(VALU_DEP_1)
	v_cmpx_lt_u64_e64 v[8:9], v[48:49]
	s_cbranch_execz .LBB4_9502
; %bb.9492:                             ;   in Loop: Header=BB4_3484 Depth=2
	s_mov_b32 s17, 0
	s_mov_b32 s34, 0
                                        ; implicit-def: $sgpr30
                                        ; implicit-def: $sgpr31
	s_branch .LBB4_9494
.LBB4_9493:                             ;   in Loop: Header=BB4_9494 Depth=3
	s_or_b32 exec_lo, exec_lo, s36
	s_delay_alu instid0(SALU_CYCLE_1) | instskip(NEXT) | instid1(SALU_CYCLE_1)
	s_and_b32 vcc_lo, exec_lo, vcc_lo
	s_or_b32 s17, vcc_lo, s17
	s_and_not1_b32 vcc_lo, s30, exec_lo
	s_and_b32 s30, s31, exec_lo
	s_delay_alu instid0(SALU_CYCLE_1)
	s_or_b32 s30, vcc_lo, s30
	s_and_not1_b32 exec_lo, exec_lo, s17
	s_cbranch_execz .LBB4_9500
.LBB4_9494:                             ;   Parent Loop BB4_51 Depth=1
                                        ;     Parent Loop BB4_3484 Depth=2
                                        ; =>    This Inner Loop Header: Depth=3
	s_add_i32 s34, s34, 1
                                        ; implicit-def: $sgpr36
	s_delay_alu instid0(SALU_CYCLE_1) | instskip(SKIP_1) | instid1(SALU_CYCLE_1)
	s_cmpk_lg_i32 s34, 0x2710
	s_cselect_b32 s35, -1, 0
	s_and_b32 vcc_lo, exec_lo, s35
	s_cbranch_vccz .LBB4_9498
.LBB4_9495:                             ;   in Loop: Header=BB4_9494 Depth=3
	s_and_not1_b32 s31, s31, exec_lo
	s_and_b32 s36, s36, exec_lo
	s_mov_b32 vcc_lo, -1
	s_or_b32 s31, s31, s36
	s_and_saveexec_b32 s36, s35
	s_cbranch_execz .LBB4_9493
; %bb.9496:                             ;   in Loop: Header=BB4_9494 Depth=3
	s_sleep 1
	s_cbranch_execnz .LBB4_10562
; %bb.9497:                             ;   in Loop: Header=BB4_9494 Depth=3
	ds_load_b64 v[8:9], v0
	s_and_not1_b32 s31, s31, exec_lo
	s_waitcnt lgkmcnt(0)
	v_cmp_ge_u64_e32 vcc_lo, v[8:9], v[48:49]
	s_or_not1_b32 vcc_lo, vcc_lo, exec_lo
	s_branch .LBB4_9493
.LBB4_9498:                             ;   in Loop: Header=BB4_9494 Depth=3
	s_cbranch_execnz .LBB4_10582
; %bb.9499:                             ;   in Loop: Header=BB4_9494 Depth=3
	ds_load_b64 v[8:9], v0
	s_and_not1_b32 s35, s35, exec_lo
	s_mov_b32 s34, 0
	s_mov_b32 s36, -1
	s_waitcnt lgkmcnt(0)
	flat_load_b32 v2, v[8:9] glc
	s_waitcnt vmcnt(0) lgkmcnt(0)
	buffer_gl1_inv
	buffer_gl0_inv
	v_cmp_eq_u32_e32 vcc_lo, 0, v2
	s_and_b32 vcc_lo, vcc_lo, exec_lo
	s_delay_alu instid0(SALU_CYCLE_1)
	s_or_b32 s35, s35, vcc_lo
	s_branch .LBB4_9495
.LBB4_9500:                             ;   in Loop: Header=BB4_3484 Depth=2
	s_or_b32 exec_lo, exec_lo, s17
	s_and_saveexec_b32 s17, s30
	s_delay_alu instid0(SALU_CYCLE_1)
	s_xor_b32 s17, exec_lo, s17
	s_cbranch_execz .LBB4_9502
; %bb.9501:                             ;   in Loop: Header=BB4_3484 Depth=2
	ds_store_b32 v0, v134
	s_cbranch_execnz .LBB4_10688
.LBB4_9502:                             ;   in Loop: Header=BB4_3484 Depth=2
	s_or_b32 exec_lo, exec_lo, s16
	;;#ASMSTART
	s_wakeup
	;;#ASMEND
.LBB4_9503:                             ;   in Loop: Header=BB4_3484 Depth=2
	s_or_b32 exec_lo, exec_lo, s15
.LBB4_9504:                             ;   in Loop: Header=BB4_3484 Depth=2
	s_and_not1_saveexec_b32 s14, s14
	s_cbranch_execz .LBB4_9506
; %bb.9505:                             ;   in Loop: Header=BB4_3484 Depth=2
	s_waitcnt vmcnt(0) lgkmcnt(0)
	s_waitcnt_vscnt null, 0x0
	buffer_gl1_inv
	buffer_gl0_inv
	s_barrier
.LBB4_9506:                             ;   in Loop: Header=BB4_3484 Depth=2
	s_or_b32 exec_lo, exec_lo, s14
.LBB4_9507:                             ;   in Loop: Header=BB4_3484 Depth=2
	s_delay_alu instid0(SALU_CYCLE_1) | instskip(SKIP_1) | instid1(SALU_CYCLE_1)
	s_or_b32 exec_lo, exec_lo, s13
                                        ; implicit-def: $vgpr2
	s_and_saveexec_b32 s13, s7
	s_xor_b32 s14, exec_lo, s13
	s_cbranch_execz .LBB4_9511
; %bb.9508:                             ;   in Loop: Header=BB4_3484 Depth=2
	v_and_b32_e32 v2, 16, v30
	v_cmp_lt_i32_e32 vcc_lo, 0, v148
	s_delay_alu instid0(VALU_DEP_2) | instskip(SKIP_1) | instid1(VALU_DEP_2)
	v_cmp_ne_u32_e64 s13, 0, v2
	v_and_b32_e32 v2, 16, v30
	s_and_b32 s15, s13, vcc_lo
	s_delay_alu instid0(SALU_CYCLE_1)
	s_and_saveexec_b32 s13, s15
	s_cbranch_execz .LBB4_9510
; %bb.9509:                             ;   in Loop: Header=BB4_3484 Depth=2
	v_mov_b32_e32 v2, 1
	s_waitcnt vmcnt(0) lgkmcnt(0)
	s_waitcnt_vscnt null, 0x0
	buffer_gl1_inv
	buffer_gl0_inv
.LBB4_9510:                             ;   in Loop: Header=BB4_3484 Depth=2
	s_or_b32 exec_lo, exec_lo, s13
.LBB4_9511:                             ;   in Loop: Header=BB4_3484 Depth=2
	s_and_not1_saveexec_b32 s13, s14
	s_cbranch_execz .LBB4_9533
; %bb.9512:                             ;   in Loop: Header=BB4_3484 Depth=2
	s_and_saveexec_b32 s14, s4
	s_delay_alu instid0(SALU_CYCLE_1)
	s_xor_b32 s14, exec_lo, s14
	s_cbranch_execz .LBB4_9530
; %bb.9513:                             ;   in Loop: Header=BB4_3484 Depth=2
	s_and_saveexec_b32 s15, s1
	s_cbranch_execz .LBB4_9529
; %bb.9514:                             ;   in Loop: Header=BB4_3484 Depth=2
	s_mov_b32 s17, exec_lo
	s_mov_b32 s16, exec_lo
	v_mbcnt_lo_u32_b32 v2, s17, 0
	;;#ASMSTART
	s_waitcnt lgkmcnt(0) vmcnt(0)
	;;#ASMEND
	s_delay_alu instid0(VALU_DEP_1)
	v_cmpx_eq_u32_e32 0, v2
	s_cbranch_execz .LBB4_9516
; %bb.9515:                             ;   in Loop: Header=BB4_3484 Depth=2
	s_bcnt1_i32_b32 s17, s17
	s_delay_alu instid0(SALU_CYCLE_1)
	v_mov_b32_e32 v2, s17
	ds_add_u64 v0, v[2:3]
	s_cbranch_execnz .LBB4_10512
.LBB4_9516:                             ;   in Loop: Header=BB4_3484 Depth=2
	s_or_b32 exec_lo, exec_lo, s16
	s_cbranch_execnz .LBB4_10488
; %bb.9517:                             ;   in Loop: Header=BB4_3484 Depth=2
	ds_load_b64 v[8:9], v0
	v_add_co_u32 v48, vcc_lo, v48, v97
	v_add_co_ci_u32_e32 v49, vcc_lo, 0, v49, vcc_lo
	s_mov_b32 s16, exec_lo
	s_waitcnt lgkmcnt(0)
	s_delay_alu instid0(VALU_DEP_1)
	v_cmpx_lt_u64_e64 v[8:9], v[48:49]
	s_cbranch_execz .LBB4_9528
; %bb.9518:                             ;   in Loop: Header=BB4_3484 Depth=2
	s_mov_b32 s17, 0
	s_mov_b32 s34, 0
                                        ; implicit-def: $sgpr30
                                        ; implicit-def: $sgpr31
	s_branch .LBB4_9520
.LBB4_9519:                             ;   in Loop: Header=BB4_9520 Depth=3
	s_or_b32 exec_lo, exec_lo, s36
	s_delay_alu instid0(SALU_CYCLE_1) | instskip(NEXT) | instid1(SALU_CYCLE_1)
	s_and_b32 vcc_lo, exec_lo, vcc_lo
	s_or_b32 s17, vcc_lo, s17
	s_and_not1_b32 vcc_lo, s30, exec_lo
	s_and_b32 s30, s31, exec_lo
	s_delay_alu instid0(SALU_CYCLE_1)
	s_or_b32 s30, vcc_lo, s30
	s_and_not1_b32 exec_lo, exec_lo, s17
	s_cbranch_execz .LBB4_9526
.LBB4_9520:                             ;   Parent Loop BB4_51 Depth=1
                                        ;     Parent Loop BB4_3484 Depth=2
                                        ; =>    This Inner Loop Header: Depth=3
	s_add_i32 s34, s34, 1
                                        ; implicit-def: $sgpr36
	s_delay_alu instid0(SALU_CYCLE_1) | instskip(SKIP_1) | instid1(SALU_CYCLE_1)
	s_cmpk_lg_i32 s34, 0x2710
	s_cselect_b32 s35, -1, 0
	s_and_b32 vcc_lo, exec_lo, s35
	s_cbranch_vccz .LBB4_9524
.LBB4_9521:                             ;   in Loop: Header=BB4_9520 Depth=3
	s_and_not1_b32 s31, s31, exec_lo
	s_and_b32 s36, s36, exec_lo
	s_mov_b32 vcc_lo, -1
	s_or_b32 s31, s31, s36
	s_and_saveexec_b32 s36, s35
	s_cbranch_execz .LBB4_9519
; %bb.9522:                             ;   in Loop: Header=BB4_9520 Depth=3
	s_sleep 1
	s_cbranch_execnz .LBB4_10574
; %bb.9523:                             ;   in Loop: Header=BB4_9520 Depth=3
	ds_load_b64 v[8:9], v0
	s_and_not1_b32 s31, s31, exec_lo
	s_waitcnt lgkmcnt(0)
	v_cmp_ge_u64_e32 vcc_lo, v[8:9], v[48:49]
	s_or_not1_b32 vcc_lo, vcc_lo, exec_lo
	s_branch .LBB4_9519
.LBB4_9524:                             ;   in Loop: Header=BB4_9520 Depth=3
	s_cbranch_execnz .LBB4_10590
; %bb.9525:                             ;   in Loop: Header=BB4_9520 Depth=3
	ds_load_b64 v[8:9], v0
	s_and_not1_b32 s35, s35, exec_lo
	s_mov_b32 s34, 0
	s_mov_b32 s36, -1
	s_waitcnt vmcnt(0) lgkmcnt(0)
	s_waitcnt_vscnt null, 0x0
	flat_load_b32 v2, v[8:9] glc
	s_waitcnt vmcnt(0) lgkmcnt(0)
	buffer_gl1_inv
	buffer_gl0_inv
	v_cmp_eq_u32_e32 vcc_lo, 0, v2
	s_and_b32 vcc_lo, vcc_lo, exec_lo
	s_delay_alu instid0(SALU_CYCLE_1)
	s_or_b32 s35, s35, vcc_lo
	s_branch .LBB4_9521
.LBB4_9526:                             ;   in Loop: Header=BB4_3484 Depth=2
	s_or_b32 exec_lo, exec_lo, s17
	s_and_saveexec_b32 s17, s30
	s_delay_alu instid0(SALU_CYCLE_1)
	s_xor_b32 s17, exec_lo, s17
	s_cbranch_execz .LBB4_9528
; %bb.9527:                             ;   in Loop: Header=BB4_3484 Depth=2
	ds_store_b32 v0, v134
	s_cbranch_execnz .LBB4_10692
.LBB4_9528:                             ;   in Loop: Header=BB4_3484 Depth=2
	s_or_b32 exec_lo, exec_lo, s16
	;;#ASMSTART
	s_wakeup
	;;#ASMEND
.LBB4_9529:                             ;   in Loop: Header=BB4_3484 Depth=2
	s_or_b32 exec_lo, exec_lo, s15
.LBB4_9530:                             ;   in Loop: Header=BB4_3484 Depth=2
	s_and_not1_saveexec_b32 s14, s14
	s_cbranch_execz .LBB4_9532
; %bb.9531:                             ;   in Loop: Header=BB4_3484 Depth=2
	;;#ASMSTART
	s_waitcnt lgkmcnt(0) vmcnt(0)
	;;#ASMEND
	s_waitcnt vmcnt(0) lgkmcnt(0)
	s_waitcnt_vscnt null, 0x0
	s_barrier
.LBB4_9532:                             ;   in Loop: Header=BB4_3484 Depth=2
	s_or_b32 exec_lo, exec_lo, s14
	v_and_b32_e32 v2, 16, v30
.LBB4_9533:                             ;   in Loop: Header=BB4_3484 Depth=2
	s_or_b32 exec_lo, exec_lo, s13
	s_delay_alu instid0(VALU_DEP_1) | instskip(SKIP_1) | instid1(SALU_CYCLE_1)
	v_cmp_ne_u32_e32 vcc_lo, 0, v2
	s_xor_b32 s13, s10, -1
	s_and_b32 s14, vcc_lo, s13
	s_delay_alu instid0(SALU_CYCLE_1)
	s_and_saveexec_b32 s13, s14
	s_cbranch_execz .LBB4_9535
; %bb.9534:                             ;   in Loop: Header=BB4_3484 Depth=2
	s_waitcnt vmcnt(0) lgkmcnt(0)
	s_waitcnt_vscnt null, 0x0
	flat_store_b32 v[38:39], v134
.LBB4_9535:                             ;   in Loop: Header=BB4_3484 Depth=2
	s_or_b32 exec_lo, exec_lo, s13
	v_and_b32_e32 v2, 48, v30
	s_mov_b32 s13, exec_lo
	s_delay_alu instid0(VALU_DEP_1)
	v_cmpx_ne_u32_e32 0, v2
	s_cbranch_execz .LBB4_9537
; %bb.9536:                             ;   in Loop: Header=BB4_3484 Depth=2
	v_add_co_u32 v34, vcc_lo, v34, 2
	v_add_co_ci_u32_e32 v35, vcc_lo, 0, v35, vcc_lo
	s_waitcnt vmcnt(0) lgkmcnt(0)
	s_waitcnt_vscnt null, 0x0
	flat_store_b64 v[32:33], v[34:35]
.LBB4_9537:                             ;   in Loop: Header=BB4_3484 Depth=2
	s_or_b32 exec_lo, exec_lo, s13
	v_add_nc_u32_e32 v145, v68, v145
	v_readlane_b32 s13, v56, 1
	v_readlane_b32 s37, v56, 3
	;; [unrolled: 1-line block ×4, first 2 shown]
	v_cmp_ge_i32_e32 vcc_lo, v145, v71
	s_xor_b32 s13, s13, -1
	v_readlane_b32 s31, v56, 6
	v_readlane_b32 s30, v56, 8
	;; [unrolled: 1-line block ×3, first 2 shown]
	s_or_b32 s13, s13, vcc_lo
	s_mov_b32 s15, 0
	s_and_b32 s14, exec_lo, s13
	v_readlane_b32 s13, v56, 2
	s_or_b32 s37, s14, s37
	s_mov_b32 s16, 2
	s_delay_alu instid0(VALU_DEP_1)
	v_mov_b32_e32 v2, s13
	s_and_not1_b32 exec_lo, exec_lo, s37
	s_cbranch_execz .LBB4_9538
; %bb.10968:                            ;   in Loop: Header=BB4_3484 Depth=2
	s_getpc_b64 s[48:49]
.Lpost_getpc261:
	s_add_u32 s48, s48, (.LBB4_3484-.Lpost_getpc261)&4294967295
	s_addc_u32 s49, s49, (.LBB4_3484-.Lpost_getpc261)>>32
	s_setpc_b64 s[48:49]
.LBB4_9538:                             ;   in Loop: Header=BB4_51 Depth=1
	s_or_b32 exec_lo, exec_lo, s37
	v_readlane_b32 s13, v56, 0
.LBB4_9539:                             ;   in Loop: Header=BB4_51 Depth=1
	s_delay_alu instid0(VALU_DEP_1) | instskip(NEXT) | instid1(SALU_CYCLE_1)
	s_or_b32 exec_lo, exec_lo, s13
	s_mov_b32 s14, exec_lo
	v_cmpx_gt_i32_e32 2, v2
	s_cbranch_execz .LBB4_9623
; %bb.9540:                             ;   in Loop: Header=BB4_51 Depth=1
	v_cmp_eq_u32_e64 s13, 0, v2
	s_mov_b32 s15, 0
.LBB4_9541:                             ;   Parent Loop BB4_51 Depth=1
                                        ; =>  This Loop Header: Depth=2
                                        ;       Child Loop BB4_9547 Depth 3
                                        ;       Child Loop BB4_9577 Depth 3
	;; [unrolled: 1-line block ×3, first 2 shown]
	v_and_b32_e32 v2, 12, v30
	s_mov_b32 s17, -1
	s_mov_b32 s16, exec_lo
	s_delay_alu instid0(VALU_DEP_1)
	v_cmpx_ne_u32_e32 0, v2
	s_cbranch_execz .LBB4_9555
; %bb.9542:                             ;   in Loop: Header=BB4_9541 Depth=2
	v_and_b32_e32 v2, 8, v30
	s_delay_alu instid0(VALU_DEP_1) | instskip(SKIP_3) | instid1(VALU_DEP_1)
	v_add_co_u32 v10, vcc_lo, v50, v2
	v_add_co_ci_u32_e32 v11, vcc_lo, 0, v51, vcc_lo
	v_add_co_u32 v8, vcc_lo, v34, 2
	v_add_co_ci_u32_e32 v9, vcc_lo, 0, v35, vcc_lo
	v_cmp_lt_u64_e32 vcc_lo, v[10:11], v[8:9]
	v_mov_b32_e32 v10, 1
	s_and_saveexec_b32 s17, vcc_lo
	s_cbranch_execz .LBB4_9554
; %bb.9543:                             ;   in Loop: Header=BB4_9541 Depth=2
	v_mov_b32_e32 v10, 0
	s_mov_b32 s37, 0
                                        ; implicit-def: $sgpr38
	s_branch .LBB4_9547
.LBB4_9544:                             ;   in Loop: Header=BB4_9547 Depth=3
	s_or_b32 exec_lo, exec_lo, s42
	v_mov_b32_e32 v11, 0
	s_or_not1_b32 s41, s41, exec_lo
.LBB4_9545:                             ;   in Loop: Header=BB4_9547 Depth=3
	s_or_b32 exec_lo, exec_lo, s40
	s_delay_alu instid0(VALU_DEP_1) | instskip(SKIP_2) | instid1(SALU_CYCLE_1)
	v_mov_b32_e32 v10, v11
	s_and_not1_b32 vcc_lo, s38, exec_lo
	s_and_b32 s38, s41, exec_lo
	s_or_b32 s38, vcc_lo, s38
.LBB4_9546:                             ;   in Loop: Header=BB4_9547 Depth=3
	s_or_b32 exec_lo, exec_lo, s39
	s_waitcnt vmcnt(0) lgkmcnt(0)
	v_add_co_u32 v11, vcc_lo, v50, v2
	v_add_co_ci_u32_e32 v12, vcc_lo, 0, v51, vcc_lo
	s_xor_b32 s39, s38, -1
	s_delay_alu instid0(VALU_DEP_1) | instskip(SKIP_1) | instid1(SALU_CYCLE_1)
	v_cmp_ge_u64_e32 vcc_lo, v[11:12], v[8:9]
	s_or_b32 vcc_lo, s39, vcc_lo
	s_and_b32 vcc_lo, exec_lo, vcc_lo
	s_delay_alu instid0(SALU_CYCLE_1) | instskip(NEXT) | instid1(SALU_CYCLE_1)
	s_or_b32 s37, vcc_lo, s37
	s_and_not1_b32 exec_lo, exec_lo, s37
	s_cbranch_execz .LBB4_9553
.LBB4_9547:                             ;   Parent Loop BB4_51 Depth=1
                                        ;     Parent Loop BB4_9541 Depth=2
                                        ; =>    This Inner Loop Header: Depth=3
	s_sleep 1
	flat_load_b64 v[50:51], v[32:33] glc
	v_and_b32_e32 v11, 64, v30
	s_and_not1_b32 s38, s38, exec_lo
	s_mov_b32 s39, exec_lo
	s_delay_alu instid0(VALU_DEP_1)
	v_cmpx_eq_u32_e32 0, v11
	s_cbranch_execz .LBB4_9546
; %bb.9548:                             ;   in Loop: Header=BB4_9547 Depth=3
	v_add_nc_u32_e32 v11, 1, v10
	s_mov_b32 s41, -1
	s_mov_b32 s40, exec_lo
	v_cmpx_lt_i32_e32 0x270e, v10
	s_cbranch_execz .LBB4_9545
; %bb.9549:                             ;   in Loop: Header=BB4_9547 Depth=3
	s_cbranch_execnz .LBB4_10286
; %bb.9550:                             ;   in Loop: Header=BB4_9547 Depth=3
	ds_load_b64 v[10:11], v0
	s_mov_b32 s42, exec_lo
	s_waitcnt vmcnt(0) lgkmcnt(0)
	s_waitcnt_vscnt null, 0x0
	flat_load_b32 v10, v[10:11] glc
	s_waitcnt vmcnt(0) lgkmcnt(0)
	buffer_gl1_inv
	buffer_gl0_inv
	v_cmpx_ne_u32_e32 0, v10
	s_cbranch_execz .LBB4_9544
; %bb.9551:                             ;   in Loop: Header=BB4_9547 Depth=3
	ds_store_b32 v0, v10
	s_cbranch_execnz .LBB4_10340
; %bb.9552:                             ;   in Loop: Header=BB4_9547 Depth=3
	v_or_b32_e32 v30, 64, v30
	s_xor_b32 s41, exec_lo, -1
	s_branch .LBB4_9544
.LBB4_9553:                             ;   in Loop: Header=BB4_9541 Depth=2
	s_or_b32 exec_lo, exec_lo, s37
	v_and_b32_e32 v10, 12, v30
.LBB4_9554:                             ;   in Loop: Header=BB4_9541 Depth=2
	s_or_b32 exec_lo, exec_lo, s17
	s_delay_alu instid0(VALU_DEP_1)
	v_cmp_eq_u32_e32 vcc_lo, 0, v10
	;;#ASMSTART
	s_wakeup
	;;#ASMEND
	s_or_not1_b32 s17, vcc_lo, exec_lo
.LBB4_9555:                             ;   in Loop: Header=BB4_9541 Depth=2
	s_or_b32 exec_lo, exec_lo, s16
	v_sub_nc_u32_e32 v2, v71, v145
	s_xor_b32 s13, s13, -1
	s_delay_alu instid0(SALU_CYCLE_1) | instskip(NEXT) | instid1(SALU_CYCLE_1)
	s_and_b32 s13, exec_lo, s13
	s_or_b32 s15, s13, s15
	s_delay_alu instid0(VALU_DEP_1) | instskip(SKIP_1) | instid1(SALU_CYCLE_1)
	v_min_i32_e32 v68, v68, v2
	s_xor_b32 s13, s17, -1
	s_and_saveexec_b32 s16, s13
	s_cbranch_execz .LBB4_9568
; %bb.9556:                             ;   in Loop: Header=BB4_9541 Depth=2
	v_and_b32_e32 v2, 0x108, v30
	s_delay_alu instid0(VALU_DEP_1) | instskip(SKIP_2) | instid1(SALU_CYCLE_1)
	v_cmp_ne_u32_e32 vcc_lo, 0x108, v2
	v_and_b32_e32 v2, 7, v34
	s_and_saveexec_b32 s13, vcc_lo
	s_xor_b32 s13, exec_lo, s13
	s_delay_alu instid0(SALU_CYCLE_1)
	s_and_not1_saveexec_b32 s13, s13
	s_cbranch_execz .LBB4_9558
; %bb.9557:                             ;   in Loop: Header=BB4_9541 Depth=2
	v_mad_u64_u32 v[8:9], null, v2, 24, v[6:7]
	v_ashrrev_i32_e32 v69, 31, v68
	flat_store_b64 v[8:9], v[68:69] offset:8
.LBB4_9558:                             ;   in Loop: Header=BB4_9541 Depth=2
	s_or_b32 exec_lo, exec_lo, s13
	v_and_b32_e32 v8, 0x100, v30
	s_mov_b32 s13, -1
	s_delay_alu instid0(VALU_DEP_1)
	v_cmp_ne_u32_e32 vcc_lo, 0, v8
                                        ; implicit-def: $vgpr8_vgpr9
	s_and_saveexec_b32 s17, vcc_lo
	s_cbranch_execnz .LBB4_9561
; %bb.9559:                             ;   in Loop: Header=BB4_9541 Depth=2
	s_or_b32 exec_lo, exec_lo, s17
	s_and_saveexec_b32 s17, s13
	s_cbranch_execnz .LBB4_9564
.LBB4_9560:                             ;   in Loop: Header=BB4_9541 Depth=2
	s_or_b32 exec_lo, exec_lo, s17
	s_cbranch_execnz .LBB4_10282
	s_branch .LBB4_9565
.LBB4_9561:                             ;   in Loop: Header=BB4_9541 Depth=2
	v_mad_u64_u32 v[10:11], null, v2, 24, v[6:7]
	s_delay_alu instid0(VALU_DEP_1) | instskip(NEXT) | instid1(VALU_DEP_1)
	v_mov_b32_e32 v8, v11
	v_mad_u64_u32 v[11:12], null, v3, 24, v[8:9]
	flat_load_b32 v8, v[10:11]
	s_waitcnt vmcnt(0) lgkmcnt(0)
	v_cmp_ne_u32_e32 vcc_lo, 1, v8
	v_cmp_eq_u32_e64 s13, 1, v8
                                        ; implicit-def: $vgpr8_vgpr9
	s_delay_alu instid0(VALU_DEP_1)
	s_and_saveexec_b32 s37, s13
	s_cbranch_execz .LBB4_9563
; %bb.9562:                             ;   in Loop: Header=BB4_9541 Depth=2
	flat_load_b32 v8, v[10:11] offset:4 glc
	s_waitcnt vmcnt(0) lgkmcnt(0)
	v_ashrrev_i32_e32 v9, 31, v8
.LBB4_9563:                             ;   in Loop: Header=BB4_9541 Depth=2
	s_or_b32 exec_lo, exec_lo, s37
	s_delay_alu instid0(SALU_CYCLE_1)
	s_or_not1_b32 s13, vcc_lo, exec_lo
	s_or_b32 exec_lo, exec_lo, s17
	s_and_saveexec_b32 s17, s13
	s_cbranch_execz .LBB4_9560
.LBB4_9564:                             ;   in Loop: Header=BB4_9541 Depth=2
	v_mul_lo_u32 v10, v3, v86
	v_mul_lo_u32 v11, v2, v96
	v_mad_u64_u32 v[8:9], null, v2, v86, 0
	s_delay_alu instid0(VALU_DEP_1)
	v_add3_u32 v9, v9, v11, v10
	s_or_b32 exec_lo, exec_lo, s17
	s_cbranch_execnz .LBB4_10282
.LBB4_9565:                             ;   in Loop: Header=BB4_9541 Depth=2
	s_delay_alu instid0(VALU_DEP_2)
	v_add_co_u32 v8, vcc_lo, v36, v8
	v_and_b32_e32 v2, 0x2000, v30
	v_add_co_ci_u32_e32 v9, vcc_lo, v37, v9, vcc_lo
	s_mov_b32 s13, exec_lo
	ds_store_b64 v0, v[8:9]
	v_cmpx_ne_u32_e32 0, v2
	s_cbranch_execz .LBB4_9567
; %bb.9566:                             ;   in Loop: Header=BB4_9541 Depth=2
	ds_load_b64 v[8:9], v0 offset:584
	s_waitcnt lgkmcnt(0)
	v_add_co_u32 v8, vcc_lo, v8, 1
	v_add_co_ci_u32_e32 v9, vcc_lo, 0, v9, vcc_lo
	ds_store_b64 v0, v[8:9] offset:584
.LBB4_9567:                             ;   in Loop: Header=BB4_9541 Depth=2
	s_or_b32 exec_lo, exec_lo, s13
	v_add_co_u32 v34, vcc_lo, v34, 2
	v_add_co_ci_u32_e32 v35, vcc_lo, 0, v35, vcc_lo
.LBB4_9568:                             ;   in Loop: Header=BB4_9541 Depth=2
	s_or_b32 exec_lo, exec_lo, s16
	s_and_saveexec_b32 s13, s3
	s_cbranch_execz .LBB4_9590
; %bb.9569:                             ;   in Loop: Header=BB4_9541 Depth=2
	s_and_saveexec_b32 s16, s4
	s_delay_alu instid0(SALU_CYCLE_1)
	s_xor_b32 s16, exec_lo, s16
	s_cbranch_execz .LBB4_9587
; %bb.9570:                             ;   in Loop: Header=BB4_9541 Depth=2
	s_and_saveexec_b32 s17, s1
	s_cbranch_execz .LBB4_9586
; %bb.9571:                             ;   in Loop: Header=BB4_9541 Depth=2
	s_mov_b32 s38, exec_lo
	s_mov_b32 s37, exec_lo
	v_mbcnt_lo_u32_b32 v2, s38, 0
	s_waitcnt vmcnt(0) lgkmcnt(0)
	s_waitcnt_vscnt null, 0x0
	buffer_gl1_inv
	buffer_gl0_inv
	v_cmpx_eq_u32_e32 0, v2
	s_cbranch_execz .LBB4_9573
; %bb.9572:                             ;   in Loop: Header=BB4_9541 Depth=2
	s_bcnt1_i32_b32 vcc_lo, s38
	s_delay_alu instid0(SALU_CYCLE_1)
	v_mov_b32_e32 v2, vcc_lo
	ds_add_u64 v0, v[2:3]
	s_cbranch_execnz .LBB4_10398
.LBB4_9573:                             ;   in Loop: Header=BB4_9541 Depth=2
	s_or_b32 exec_lo, exec_lo, s37
	s_cbranch_execnz .LBB4_10372
; %bb.9574:                             ;   in Loop: Header=BB4_9541 Depth=2
	ds_load_b64 v[8:9], v0
	v_add_co_u32 v48, vcc_lo, v48, v97
	v_add_co_ci_u32_e32 v49, vcc_lo, 0, v49, vcc_lo
	s_mov_b32 s37, exec_lo
	s_waitcnt lgkmcnt(0)
	s_delay_alu instid0(VALU_DEP_1)
	v_cmpx_lt_u64_e64 v[8:9], v[48:49]
	s_cbranch_execz .LBB4_9585
; %bb.9575:                             ;   in Loop: Header=BB4_9541 Depth=2
	s_mov_b32 s38, 0
	s_mov_b32 s41, 0
                                        ; implicit-def: $sgpr39
                                        ; implicit-def: $sgpr40
	s_branch .LBB4_9577
.LBB4_9576:                             ;   in Loop: Header=BB4_9577 Depth=3
	s_or_b32 exec_lo, exec_lo, s43
	s_delay_alu instid0(SALU_CYCLE_1) | instskip(NEXT) | instid1(SALU_CYCLE_1)
	s_and_b32 vcc_lo, exec_lo, vcc_lo
	s_or_b32 s38, vcc_lo, s38
	s_and_not1_b32 vcc_lo, s39, exec_lo
	s_and_b32 s39, s40, exec_lo
	s_delay_alu instid0(SALU_CYCLE_1)
	s_or_b32 s39, vcc_lo, s39
	s_and_not1_b32 exec_lo, exec_lo, s38
	s_cbranch_execz .LBB4_9583
.LBB4_9577:                             ;   Parent Loop BB4_51 Depth=1
                                        ;     Parent Loop BB4_9541 Depth=2
                                        ; =>    This Inner Loop Header: Depth=3
	s_add_i32 s41, s41, 1
                                        ; implicit-def: $sgpr43
	s_delay_alu instid0(SALU_CYCLE_1) | instskip(SKIP_1) | instid1(SALU_CYCLE_1)
	s_cmpk_lg_i32 s41, 0x2710
	s_cselect_b32 s42, -1, 0
	s_and_b32 vcc_lo, exec_lo, s42
	s_cbranch_vccz .LBB4_9581
.LBB4_9578:                             ;   in Loop: Header=BB4_9577 Depth=3
	s_and_not1_b32 s40, s40, exec_lo
	s_and_b32 s43, s43, exec_lo
	s_mov_b32 vcc_lo, -1
	s_or_b32 s40, s40, s43
	s_and_saveexec_b32 s43, s42
	s_cbranch_execz .LBB4_9576
; %bb.9579:                             ;   in Loop: Header=BB4_9577 Depth=3
	s_sleep 1
	s_cbranch_execnz .LBB4_10442
; %bb.9580:                             ;   in Loop: Header=BB4_9577 Depth=3
	ds_load_b64 v[8:9], v0
	s_and_not1_b32 s40, s40, exec_lo
	s_waitcnt lgkmcnt(0)
	v_cmp_ge_u64_e32 vcc_lo, v[8:9], v[48:49]
	s_or_not1_b32 vcc_lo, vcc_lo, exec_lo
	s_branch .LBB4_9576
.LBB4_9581:                             ;   in Loop: Header=BB4_9577 Depth=3
	s_cbranch_execnz .LBB4_10454
; %bb.9582:                             ;   in Loop: Header=BB4_9577 Depth=3
	ds_load_b64 v[8:9], v0
	s_and_not1_b32 s42, s42, exec_lo
	s_mov_b32 s41, 0
	s_mov_b32 s43, -1
	s_waitcnt lgkmcnt(0)
	flat_load_b32 v2, v[8:9] glc
	s_waitcnt vmcnt(0) lgkmcnt(0)
	buffer_gl1_inv
	buffer_gl0_inv
	v_cmp_eq_u32_e32 vcc_lo, 0, v2
	s_and_b32 vcc_lo, vcc_lo, exec_lo
	s_delay_alu instid0(SALU_CYCLE_1)
	s_or_b32 s42, s42, vcc_lo
	s_branch .LBB4_9578
.LBB4_9583:                             ;   in Loop: Header=BB4_9541 Depth=2
	s_or_b32 exec_lo, exec_lo, s38
	s_and_saveexec_b32 vcc_lo, s39
	s_delay_alu instid0(SALU_CYCLE_1)
	s_xor_b32 vcc_lo, exec_lo, vcc_lo
	s_cbranch_execz .LBB4_9585
; %bb.9584:                             ;   in Loop: Header=BB4_9541 Depth=2
	ds_store_b32 v0, v134
	s_cbranch_execnz .LBB4_10652
.LBB4_9585:                             ;   in Loop: Header=BB4_9541 Depth=2
	s_or_b32 exec_lo, exec_lo, s37
	;;#ASMSTART
	s_wakeup
	;;#ASMEND
.LBB4_9586:                             ;   in Loop: Header=BB4_9541 Depth=2
	s_or_b32 exec_lo, exec_lo, s17
.LBB4_9587:                             ;   in Loop: Header=BB4_9541 Depth=2
	s_and_not1_saveexec_b32 s16, s16
	s_cbranch_execz .LBB4_9589
; %bb.9588:                             ;   in Loop: Header=BB4_9541 Depth=2
	s_waitcnt vmcnt(0) lgkmcnt(0)
	s_waitcnt_vscnt null, 0x0
	buffer_gl1_inv
	buffer_gl0_inv
	s_barrier
.LBB4_9589:                             ;   in Loop: Header=BB4_9541 Depth=2
	s_or_b32 exec_lo, exec_lo, s16
.LBB4_9590:                             ;   in Loop: Header=BB4_9541 Depth=2
	s_delay_alu instid0(SALU_CYCLE_1) | instskip(SKIP_1) | instid1(SALU_CYCLE_1)
	s_or_b32 exec_lo, exec_lo, s13
                                        ; implicit-def: $vgpr2
	s_and_saveexec_b32 s13, s7
	s_xor_b32 s16, exec_lo, s13
	s_cbranch_execz .LBB4_9595
; %bb.9591:                             ;   in Loop: Header=BB4_9541 Depth=2
	s_cbranch_execnz .LBB4_10296
; %bb.9592:                             ;   in Loop: Header=BB4_9541 Depth=2
	ds_load_b32 v2, v0
	v_cmp_lt_i32_e32 vcc_lo, 0, v68
	s_waitcnt lgkmcnt(0)
	v_readfirstlane_b32 s13, v2
	v_and_b32_e32 v2, 16, v30
	s_delay_alu instid0(VALU_DEP_2) | instskip(NEXT) | instid1(VALU_DEP_1)
	s_cmp_eq_u32 s13, 0
	v_cmp_ne_u32_e64 s13, 0, v2
	s_cselect_b32 s17, -1, 0
	v_and_b32_e32 v2, 16, v30
	s_and_b32 s17, vcc_lo, s17
	s_delay_alu instid0(VALU_DEP_2) | instid1(SALU_CYCLE_1)
	s_and_b32 s17, s13, s17
	s_delay_alu instid0(SALU_CYCLE_1)
	s_and_saveexec_b32 s13, s17
	s_cbranch_execz .LBB4_9594
; %bb.9593:                             ;   in Loop: Header=BB4_9541 Depth=2
	v_mov_b32_e32 v2, 1
	s_waitcnt vmcnt(0)
	s_waitcnt_vscnt null, 0x0
	buffer_gl1_inv
	buffer_gl0_inv
.LBB4_9594:                             ;   in Loop: Header=BB4_9541 Depth=2
	s_or_b32 exec_lo, exec_lo, s13
.LBB4_9595:                             ;   in Loop: Header=BB4_9541 Depth=2
	s_and_not1_saveexec_b32 s13, s16
	s_cbranch_execz .LBB4_9617
; %bb.9596:                             ;   in Loop: Header=BB4_9541 Depth=2
	s_and_saveexec_b32 s16, s4
	s_delay_alu instid0(SALU_CYCLE_1)
	s_xor_b32 s16, exec_lo, s16
	s_cbranch_execz .LBB4_9614
; %bb.9597:                             ;   in Loop: Header=BB4_9541 Depth=2
	s_and_saveexec_b32 s17, s1
	s_cbranch_execz .LBB4_9613
; %bb.9598:                             ;   in Loop: Header=BB4_9541 Depth=2
	s_mov_b32 s38, exec_lo
	s_mov_b32 s37, exec_lo
	v_mbcnt_lo_u32_b32 v2, s38, 0
	;;#ASMSTART
	s_waitcnt lgkmcnt(0) vmcnt(0)
	;;#ASMEND
	s_delay_alu instid0(VALU_DEP_1)
	v_cmpx_eq_u32_e32 0, v2
	s_cbranch_execz .LBB4_9600
; %bb.9599:                             ;   in Loop: Header=BB4_9541 Depth=2
	s_bcnt1_i32_b32 vcc_lo, s38
	s_delay_alu instid0(SALU_CYCLE_1)
	v_mov_b32_e32 v2, vcc_lo
	ds_add_u64 v0, v[2:3]
	s_cbranch_execnz .LBB4_10408
.LBB4_9600:                             ;   in Loop: Header=BB4_9541 Depth=2
	s_or_b32 exec_lo, exec_lo, s37
	s_cbranch_execnz .LBB4_10396
; %bb.9601:                             ;   in Loop: Header=BB4_9541 Depth=2
	ds_load_b64 v[8:9], v0
	v_add_co_u32 v48, vcc_lo, v48, v97
	v_add_co_ci_u32_e32 v49, vcc_lo, 0, v49, vcc_lo
	s_mov_b32 s37, exec_lo
	s_waitcnt lgkmcnt(0)
	s_delay_alu instid0(VALU_DEP_1)
	v_cmpx_lt_u64_e64 v[8:9], v[48:49]
	s_cbranch_execz .LBB4_9612
; %bb.9602:                             ;   in Loop: Header=BB4_9541 Depth=2
	s_mov_b32 s38, 0
	s_mov_b32 s41, 0
                                        ; implicit-def: $sgpr39
                                        ; implicit-def: $sgpr40
	s_branch .LBB4_9604
.LBB4_9603:                             ;   in Loop: Header=BB4_9604 Depth=3
	s_or_b32 exec_lo, exec_lo, s43
	s_delay_alu instid0(SALU_CYCLE_1) | instskip(NEXT) | instid1(SALU_CYCLE_1)
	s_and_b32 vcc_lo, exec_lo, vcc_lo
	s_or_b32 s38, vcc_lo, s38
	s_and_not1_b32 vcc_lo, s39, exec_lo
	s_and_b32 s39, s40, exec_lo
	s_delay_alu instid0(SALU_CYCLE_1)
	s_or_b32 s39, vcc_lo, s39
	s_and_not1_b32 exec_lo, exec_lo, s38
	s_cbranch_execz .LBB4_9610
.LBB4_9604:                             ;   Parent Loop BB4_51 Depth=1
                                        ;     Parent Loop BB4_9541 Depth=2
                                        ; =>    This Inner Loop Header: Depth=3
	s_add_i32 s41, s41, 1
                                        ; implicit-def: $sgpr43
	s_delay_alu instid0(SALU_CYCLE_1) | instskip(SKIP_1) | instid1(SALU_CYCLE_1)
	s_cmpk_lg_i32 s41, 0x2710
	s_cselect_b32 s42, -1, 0
	s_and_b32 vcc_lo, exec_lo, s42
	s_cbranch_vccz .LBB4_9608
.LBB4_9605:                             ;   in Loop: Header=BB4_9604 Depth=3
	s_and_not1_b32 s40, s40, exec_lo
	s_and_b32 s43, s43, exec_lo
	s_mov_b32 vcc_lo, -1
	s_or_b32 s40, s40, s43
	s_and_saveexec_b32 s43, s42
	s_cbranch_execz .LBB4_9603
; %bb.9606:                             ;   in Loop: Header=BB4_9604 Depth=3
	s_sleep 1
	s_cbranch_execnz .LBB4_10464
; %bb.9607:                             ;   in Loop: Header=BB4_9604 Depth=3
	ds_load_b64 v[8:9], v0
	s_and_not1_b32 s40, s40, exec_lo
	s_waitcnt lgkmcnt(0)
	v_cmp_ge_u64_e32 vcc_lo, v[8:9], v[48:49]
	s_or_not1_b32 vcc_lo, vcc_lo, exec_lo
	s_branch .LBB4_9603
.LBB4_9608:                             ;   in Loop: Header=BB4_9604 Depth=3
	s_cbranch_execnz .LBB4_10476
; %bb.9609:                             ;   in Loop: Header=BB4_9604 Depth=3
	ds_load_b64 v[8:9], v0
	s_and_not1_b32 s42, s42, exec_lo
	s_mov_b32 s41, 0
	s_mov_b32 s43, -1
	s_waitcnt vmcnt(0) lgkmcnt(0)
	s_waitcnt_vscnt null, 0x0
	flat_load_b32 v2, v[8:9] glc
	s_waitcnt vmcnt(0) lgkmcnt(0)
	buffer_gl1_inv
	buffer_gl0_inv
	v_cmp_eq_u32_e32 vcc_lo, 0, v2
	s_and_b32 vcc_lo, vcc_lo, exec_lo
	s_delay_alu instid0(SALU_CYCLE_1)
	s_or_b32 s42, s42, vcc_lo
	s_branch .LBB4_9605
.LBB4_9610:                             ;   in Loop: Header=BB4_9541 Depth=2
	s_or_b32 exec_lo, exec_lo, s38
	s_and_saveexec_b32 vcc_lo, s39
	s_delay_alu instid0(SALU_CYCLE_1)
	s_xor_b32 vcc_lo, exec_lo, vcc_lo
	s_cbranch_execz .LBB4_9612
; %bb.9611:                             ;   in Loop: Header=BB4_9541 Depth=2
	ds_store_b32 v0, v134
	s_cbranch_execnz .LBB4_10664
.LBB4_9612:                             ;   in Loop: Header=BB4_9541 Depth=2
	s_or_b32 exec_lo, exec_lo, s37
	;;#ASMSTART
	s_wakeup
	;;#ASMEND
.LBB4_9613:                             ;   in Loop: Header=BB4_9541 Depth=2
	s_or_b32 exec_lo, exec_lo, s17
.LBB4_9614:                             ;   in Loop: Header=BB4_9541 Depth=2
	s_and_not1_saveexec_b32 s16, s16
	s_cbranch_execz .LBB4_9616
; %bb.9615:                             ;   in Loop: Header=BB4_9541 Depth=2
	;;#ASMSTART
	s_waitcnt lgkmcnt(0) vmcnt(0)
	;;#ASMEND
	s_waitcnt vmcnt(0) lgkmcnt(0)
	s_waitcnt_vscnt null, 0x0
	s_barrier
.LBB4_9616:                             ;   in Loop: Header=BB4_9541 Depth=2
	s_or_b32 exec_lo, exec_lo, s16
	v_and_b32_e32 v2, 16, v30
.LBB4_9617:                             ;   in Loop: Header=BB4_9541 Depth=2
	s_or_b32 exec_lo, exec_lo, s13
	s_delay_alu instid0(VALU_DEP_1) | instskip(SKIP_1) | instid1(SALU_CYCLE_1)
	v_cmp_ne_u32_e32 vcc_lo, 0, v2
	s_xor_b32 s13, s10, -1
	s_and_b32 s16, vcc_lo, s13
	s_delay_alu instid0(SALU_CYCLE_1)
	s_and_saveexec_b32 s13, s16
	s_cbranch_execz .LBB4_9619
; %bb.9618:                             ;   in Loop: Header=BB4_9541 Depth=2
	s_waitcnt vmcnt(0) lgkmcnt(0)
	s_waitcnt_vscnt null, 0x0
	flat_store_b32 v[38:39], v134
.LBB4_9619:                             ;   in Loop: Header=BB4_9541 Depth=2
	s_or_b32 exec_lo, exec_lo, s13
	v_and_b32_e32 v2, 48, v30
	s_mov_b32 s13, exec_lo
	s_delay_alu instid0(VALU_DEP_1)
	v_cmpx_ne_u32_e32 0, v2
	s_cbranch_execz .LBB4_9621
; %bb.9620:                             ;   in Loop: Header=BB4_9541 Depth=2
	v_add_co_u32 v34, vcc_lo, v34, 2
	v_add_co_ci_u32_e32 v35, vcc_lo, 0, v35, vcc_lo
	s_waitcnt vmcnt(0) lgkmcnt(0)
	s_waitcnt_vscnt null, 0x0
	flat_store_b64 v[32:33], v[34:35]
.LBB4_9621:                             ;   in Loop: Header=BB4_9541 Depth=2
	s_or_b32 exec_lo, exec_lo, s13
	v_add_nc_u32_e32 v145, v68, v145
	s_mov_b32 s13, 0
	s_and_not1_b32 exec_lo, exec_lo, s15
	s_cbranch_execnz .LBB4_9541
; %bb.9622:                             ;   in Loop: Header=BB4_51 Depth=1
	s_or_b32 exec_lo, exec_lo, s15
.LBB4_9623:                             ;   in Loop: Header=BB4_51 Depth=1
	s_delay_alu instid0(SALU_CYCLE_1) | instskip(NEXT) | instid1(SALU_CYCLE_1)
	s_or_b32 exec_lo, exec_lo, s14
	s_and_not1_b32 vcc_lo, exec_lo, s29
	s_cbranch_vccnz .LBB4_9920
; %bb.9624:                             ;   in Loop: Header=BB4_51 Depth=1
	s_mov_b32 s37, 1
.LBB4_9625:                             ;   Parent Loop BB4_51 Depth=1
                                        ; =>  This Loop Header: Depth=2
                                        ;       Child Loop BB4_9627 Depth 3
                                        ;         Child Loop BB4_9636 Depth 4
                                        ;         Child Loop BB4_9666 Depth 4
	;; [unrolled: 1-line block ×5, first 2 shown]
                                        ;           Child Loop BB4_9721 Depth 5
                                        ;         Child Loop BB4_9732 Depth 4
                                        ;         Child Loop BB4_9738 Depth 4
                                        ;           Child Loop BB4_9739 Depth 5
                                        ;         Child Loop BB4_9753 Depth 4
                                        ;         Child Loop BB4_9759 Depth 4
	;; [unrolled: 1-line block ×6, first 2 shown]
                                        ;       Child Loop BB4_9834 Depth 3
                                        ;         Child Loop BB4_9840 Depth 4
                                        ;         Child Loop BB4_9872 Depth 4
	;; [unrolled: 1-line block ×3, first 2 shown]
	s_delay_alu instid0(SALU_CYCLE_1)
	s_sub_i32 s13, s25, s37
	s_waitcnt vmcnt(0) lgkmcnt(1)
	v_mov_b32_e32 v16, 0
	s_cmp_le_i32 s19, s13
	s_mov_b32 s39, 0
	s_cselect_b32 s14, s19, 0
	s_delay_alu instid0(SALU_CYCLE_1) | instskip(NEXT) | instid1(SALU_CYCLE_1)
	s_sub_i32 s13, s13, s14
	s_ashr_i32 s14, s13, 31
	v_mul_lo_u32 v2, v65, s13
	v_mad_u64_u32 v[8:9], null, v64, s13, 0
	v_mul_lo_u32 v10, v64, s14
	s_delay_alu instid0(VALU_DEP_1) | instskip(NEXT) | instid1(VALU_DEP_3)
	v_add3_u32 v9, v9, v10, v2
	v_sub_co_u32 v10, vcc_lo, v66, v8
	s_delay_alu instid0(VALU_DEP_2) | instskip(NEXT) | instid1(VALU_DEP_1)
	v_sub_co_ci_u32_e32 v11, vcc_lo, v67, v9, vcc_lo
	v_cmp_lt_i64_e32 vcc_lo, v[64:65], v[10:11]
	v_cndmask_b32_e32 v10, v10, v64, vcc_lo
	s_delay_alu instid0(VALU_DEP_1) | instskip(NEXT) | instid1(VALU_DEP_1)
	v_max_i32_e32 v15, 0, v10
	v_add_nc_u32_e32 v2, 31, v15
	s_delay_alu instid0(VALU_DEP_1) | instskip(NEXT) | instid1(VALU_DEP_1)
	v_lshrrev_b32_e32 v2, 1, v2
	v_and_b32_e32 v11, 0x3ffffff0, v2
	v_cmp_lt_i32_e32 vcc_lo, 0, v10
	v_mov_b32_e32 v2, 0
	s_delay_alu instid0(VALU_DEP_3) | instskip(SKIP_1) | instid1(SALU_CYCLE_1)
	v_max_i32_e32 v12, s28, v11
	s_and_b32 s13, s30, vcc_lo
	s_and_saveexec_b32 s38, s13
	s_cbranch_execz .LBB4_9832
; %bb.9626:                             ;   in Loop: Header=BB4_9625 Depth=2
	v_add_co_u32 v17, vcc_lo, v8, v135
	v_add_co_ci_u32_e32 v18, vcc_lo, v9, v144, vcc_lo
	v_mov_b32_e32 v16, 0
	s_mov_b32 s41, 1
	s_mov_b32 s40, -1
.LBB4_9627:                             ;   Parent Loop BB4_51 Depth=1
                                        ;     Parent Loop BB4_9625 Depth=2
                                        ; =>    This Loop Header: Depth=3
                                        ;         Child Loop BB4_9636 Depth 4
                                        ;         Child Loop BB4_9666 Depth 4
	;; [unrolled: 1-line block ×5, first 2 shown]
                                        ;           Child Loop BB4_9721 Depth 5
                                        ;         Child Loop BB4_9732 Depth 4
                                        ;         Child Loop BB4_9738 Depth 4
                                        ;           Child Loop BB4_9739 Depth 5
                                        ;         Child Loop BB4_9753 Depth 4
                                        ;         Child Loop BB4_9759 Depth 4
	;; [unrolled: 1-line block ×6, first 2 shown]
	s_and_saveexec_b32 s14, s0
	s_cbranch_execz .LBB4_9630
; %bb.9628:                             ;   in Loop: Header=BB4_9627 Depth=3
	s_cbranch_execnz .LBB4_10320
; %bb.9629:                             ;   in Loop: Header=BB4_9627 Depth=3
	ds_load_b128 v[8:11], v0
	v_ashrrev_i32_e32 v2, 31, v16
	s_waitcnt lgkmcnt(0)
	v_add_co_u32 v13, vcc_lo, v10, v17
	v_add_co_ci_u32_e32 v14, vcc_lo, v11, v18, vcc_lo
	v_add_co_u32 v8, vcc_lo, v8, v17
	v_add_co_ci_u32_e32 v9, vcc_lo, v9, v18, vcc_lo
	s_delay_alu instid0(VALU_DEP_4) | instskip(NEXT) | instid1(VALU_DEP_4)
	v_add_co_u32 v13, vcc_lo, v13, v16
	v_add_co_ci_u32_e32 v14, vcc_lo, v14, v2, vcc_lo
	v_cmp_ne_u64_e32 vcc_lo, 0, v[10:11]
	v_add_co_u32 v8, s13, v8, v16
	s_delay_alu instid0(VALU_DEP_1) | instskip(NEXT) | instid1(VALU_DEP_4)
	v_add_co_ci_u32_e64 v9, s13, v9, v2, s13
	v_dual_cndmask_b32 v11, 0, v14 :: v_dual_cndmask_b32 v10, 0, v13
	ds_store_b64 v0, v[8:9]
	ds_store_b64 v0, v[10:11]
.LBB4_9630:                             ;   in Loop: Header=BB4_9627 Depth=3
	s_or_b32 exec_lo, exec_lo, s14
	v_and_b32_e32 v2, 12, v30
	s_mov_b32 s14, -1
	s_mov_b32 s13, exec_lo
	s_delay_alu instid0(VALU_DEP_1)
	v_cmpx_ne_u32_e32 0, v2
	s_cbranch_execz .LBB4_9644
; %bb.9631:                             ;   in Loop: Header=BB4_9627 Depth=3
	v_and_b32_e32 v2, 8, v30
	s_delay_alu instid0(VALU_DEP_1) | instskip(SKIP_3) | instid1(VALU_DEP_1)
	v_add_co_u32 v10, vcc_lo, v50, v2
	v_add_co_ci_u32_e32 v11, vcc_lo, 0, v51, vcc_lo
	v_add_co_u32 v8, vcc_lo, v34, 2
	v_add_co_ci_u32_e32 v9, vcc_lo, 0, v35, vcc_lo
	v_cmp_lt_u64_e32 vcc_lo, v[10:11], v[8:9]
	v_mov_b32_e32 v10, 1
	s_and_saveexec_b32 s14, vcc_lo
	s_cbranch_execz .LBB4_9643
; %bb.9632:                             ;   in Loop: Header=BB4_9627 Depth=3
	v_mov_b32_e32 v10, 0
	s_mov_b32 s15, 0
                                        ; implicit-def: $sgpr16
	s_branch .LBB4_9636
.LBB4_9633:                             ;   in Loop: Header=BB4_9636 Depth=4
	s_or_b32 exec_lo, exec_lo, s44
	v_mov_b32_e32 v11, 0
	s_or_not1_b32 s43, s43, exec_lo
.LBB4_9634:                             ;   in Loop: Header=BB4_9636 Depth=4
	s_or_b32 exec_lo, exec_lo, s42
	s_delay_alu instid0(VALU_DEP_1) | instskip(SKIP_2) | instid1(SALU_CYCLE_1)
	v_mov_b32_e32 v10, v11
	s_and_not1_b32 s16, s16, exec_lo
	s_and_b32 vcc_lo, s43, exec_lo
	s_or_b32 s16, s16, vcc_lo
.LBB4_9635:                             ;   in Loop: Header=BB4_9636 Depth=4
	s_or_b32 exec_lo, exec_lo, s17
	s_waitcnt vmcnt(0) lgkmcnt(0)
	v_add_co_u32 v13, vcc_lo, v50, v2
	v_add_co_ci_u32_e32 v14, vcc_lo, 0, v51, vcc_lo
	s_xor_b32 s17, s16, -1
	s_delay_alu instid0(VALU_DEP_1) | instskip(SKIP_1) | instid1(SALU_CYCLE_1)
	v_cmp_ge_u64_e32 vcc_lo, v[13:14], v[8:9]
	s_or_b32 s17, s17, vcc_lo
	s_and_b32 s17, exec_lo, s17
	s_delay_alu instid0(SALU_CYCLE_1) | instskip(NEXT) | instid1(SALU_CYCLE_1)
	s_or_b32 s15, s17, s15
	s_and_not1_b32 exec_lo, exec_lo, s15
	s_cbranch_execz .LBB4_9642
.LBB4_9636:                             ;   Parent Loop BB4_51 Depth=1
                                        ;     Parent Loop BB4_9625 Depth=2
                                        ;       Parent Loop BB4_9627 Depth=3
                                        ; =>      This Inner Loop Header: Depth=4
	s_sleep 1
	flat_load_b64 v[50:51], v[32:33] glc
	v_and_b32_e32 v11, 64, v30
	s_and_not1_b32 s16, s16, exec_lo
	s_mov_b32 s17, exec_lo
	s_delay_alu instid0(VALU_DEP_1)
	v_cmpx_eq_u32_e32 0, v11
	s_cbranch_execz .LBB4_9635
; %bb.9637:                             ;   in Loop: Header=BB4_9636 Depth=4
	v_add_nc_u32_e32 v11, 1, v10
	s_mov_b32 s43, -1
	s_mov_b32 s42, exec_lo
	v_cmpx_lt_i32_e32 0x270e, v10
	s_cbranch_execz .LBB4_9634
; %bb.9638:                             ;   in Loop: Header=BB4_9636 Depth=4
	s_cbranch_execnz .LBB4_10362
; %bb.9639:                             ;   in Loop: Header=BB4_9636 Depth=4
	ds_load_b64 v[10:11], v0
	s_mov_b32 s44, exec_lo
	s_waitcnt vmcnt(0) lgkmcnt(0)
	s_waitcnt_vscnt null, 0x0
	flat_load_b32 v10, v[10:11] glc
	s_waitcnt vmcnt(0) lgkmcnt(0)
	buffer_gl1_inv
	buffer_gl0_inv
	v_cmpx_ne_u32_e32 0, v10
	s_cbranch_execz .LBB4_9633
; %bb.9640:                             ;   in Loop: Header=BB4_9636 Depth=4
	ds_store_b32 v0, v10
	s_cbranch_execnz .LBB4_10440
; %bb.9641:                             ;   in Loop: Header=BB4_9636 Depth=4
	v_or_b32_e32 v30, 64, v30
	s_xor_b32 s43, exec_lo, -1
	s_branch .LBB4_9633
.LBB4_9642:                             ;   in Loop: Header=BB4_9627 Depth=3
	s_or_b32 exec_lo, exec_lo, s15
	v_and_b32_e32 v10, 12, v30
.LBB4_9643:                             ;   in Loop: Header=BB4_9627 Depth=3
	s_or_b32 exec_lo, exec_lo, s14
	s_delay_alu instid0(VALU_DEP_1)
	v_cmp_eq_u32_e32 vcc_lo, 0, v10
	;;#ASMSTART
	s_wakeup
	;;#ASMEND
	s_or_not1_b32 s14, vcc_lo, exec_lo
.LBB4_9644:                             ;   in Loop: Header=BB4_9627 Depth=3
	s_or_b32 exec_lo, exec_lo, s13
	v_sub_nc_u32_e32 v2, v15, v16
	s_xor_b32 s13, s14, -1
	s_delay_alu instid0(VALU_DEP_1)
	v_min_i32_e32 v12, v12, v2
	s_and_saveexec_b32 s14, s13
	s_cbranch_execz .LBB4_9657
; %bb.9645:                             ;   in Loop: Header=BB4_9627 Depth=3
	v_and_b32_e32 v2, 0x108, v30
	s_delay_alu instid0(VALU_DEP_1) | instskip(SKIP_2) | instid1(SALU_CYCLE_1)
	v_cmp_ne_u32_e32 vcc_lo, 0x108, v2
	v_and_b32_e32 v2, 7, v34
	s_and_saveexec_b32 s13, vcc_lo
	s_xor_b32 s13, exec_lo, s13
	s_delay_alu instid0(SALU_CYCLE_1)
	s_and_not1_saveexec_b32 s13, s13
	s_cbranch_execz .LBB4_9647
; %bb.9646:                             ;   in Loop: Header=BB4_9627 Depth=3
	v_mad_u64_u32 v[8:9], null, v2, 24, v[6:7]
	v_ashrrev_i32_e32 v13, 31, v12
	flat_store_b64 v[8:9], v[12:13] offset:8
.LBB4_9647:                             ;   in Loop: Header=BB4_9627 Depth=3
	s_or_b32 exec_lo, exec_lo, s13
	v_and_b32_e32 v8, 0x100, v30
	s_mov_b32 s13, -1
	s_delay_alu instid0(VALU_DEP_1)
	v_cmp_ne_u32_e32 vcc_lo, 0, v8
                                        ; implicit-def: $vgpr8_vgpr9
	s_and_saveexec_b32 s15, vcc_lo
	s_cbranch_execnz .LBB4_9650
; %bb.9648:                             ;   in Loop: Header=BB4_9627 Depth=3
	s_or_b32 exec_lo, exec_lo, s15
	s_and_saveexec_b32 s15, s13
	s_cbranch_execnz .LBB4_9653
.LBB4_9649:                             ;   in Loop: Header=BB4_9627 Depth=3
	s_or_b32 exec_lo, exec_lo, s15
	s_cbranch_execnz .LBB4_10352
	s_branch .LBB4_9654
.LBB4_9650:                             ;   in Loop: Header=BB4_9627 Depth=3
	v_mad_u64_u32 v[10:11], null, v2, 24, v[6:7]
	s_delay_alu instid0(VALU_DEP_1) | instskip(NEXT) | instid1(VALU_DEP_1)
	v_mov_b32_e32 v8, v11
	v_mad_u64_u32 v[13:14], null, v3, 24, v[8:9]
	s_delay_alu instid0(VALU_DEP_1) | instskip(SKIP_4) | instid1(VALU_DEP_1)
	v_mov_b32_e32 v11, v13
	flat_load_b32 v8, v[10:11]
	s_waitcnt vmcnt(0) lgkmcnt(0)
	v_cmp_ne_u32_e32 vcc_lo, 1, v8
	v_cmp_eq_u32_e64 s13, 1, v8
                                        ; implicit-def: $vgpr8_vgpr9
	s_and_saveexec_b32 s16, s13
	s_cbranch_execz .LBB4_9652
; %bb.9651:                             ;   in Loop: Header=BB4_9627 Depth=3
	flat_load_b32 v8, v[10:11] offset:4 glc
	s_waitcnt vmcnt(0) lgkmcnt(0)
	v_ashrrev_i32_e32 v9, 31, v8
.LBB4_9652:                             ;   in Loop: Header=BB4_9627 Depth=3
	s_or_b32 exec_lo, exec_lo, s16
	s_delay_alu instid0(SALU_CYCLE_1)
	s_or_not1_b32 s13, vcc_lo, exec_lo
	s_or_b32 exec_lo, exec_lo, s15
	s_and_saveexec_b32 s15, s13
	s_cbranch_execz .LBB4_9649
.LBB4_9653:                             ;   in Loop: Header=BB4_9627 Depth=3
	v_mul_lo_u32 v10, v3, v86
	v_mul_lo_u32 v11, v2, v96
	v_mad_u64_u32 v[8:9], null, v2, v86, 0
	s_delay_alu instid0(VALU_DEP_1)
	v_add3_u32 v9, v9, v11, v10
	s_or_b32 exec_lo, exec_lo, s15
	s_cbranch_execnz .LBB4_10352
.LBB4_9654:                             ;   in Loop: Header=BB4_9627 Depth=3
	s_delay_alu instid0(VALU_DEP_2)
	v_add_co_u32 v8, vcc_lo, v36, v8
	v_and_b32_e32 v2, 0x2000, v30
	v_add_co_ci_u32_e32 v9, vcc_lo, v37, v9, vcc_lo
	s_mov_b32 s13, exec_lo
	ds_store_b64 v0, v[8:9]
	v_cmpx_ne_u32_e32 0, v2
	s_cbranch_execz .LBB4_9656
; %bb.9655:                             ;   in Loop: Header=BB4_9627 Depth=3
	ds_load_b64 v[8:9], v0 offset:584
	s_waitcnt lgkmcnt(0)
	v_add_co_u32 v8, vcc_lo, v8, 1
	v_add_co_ci_u32_e32 v9, vcc_lo, 0, v9, vcc_lo
	ds_store_b64 v0, v[8:9] offset:584
.LBB4_9656:                             ;   in Loop: Header=BB4_9627 Depth=3
	s_or_b32 exec_lo, exec_lo, s13
	v_add_co_u32 v34, vcc_lo, v34, 2
	v_add_co_ci_u32_e32 v35, vcc_lo, 0, v35, vcc_lo
.LBB4_9657:                             ;   in Loop: Header=BB4_9627 Depth=3
	s_or_b32 exec_lo, exec_lo, s14
	s_and_saveexec_b32 s13, s3
	s_cbranch_execz .LBB4_9679
; %bb.9658:                             ;   in Loop: Header=BB4_9627 Depth=3
	s_and_saveexec_b32 s14, s4
	s_delay_alu instid0(SALU_CYCLE_1)
	s_xor_b32 s14, exec_lo, s14
	s_cbranch_execz .LBB4_9676
; %bb.9659:                             ;   in Loop: Header=BB4_9627 Depth=3
	s_and_saveexec_b32 s15, s1
	s_cbranch_execz .LBB4_9675
; %bb.9660:                             ;   in Loop: Header=BB4_9627 Depth=3
	s_mov_b32 s17, exec_lo
	s_mov_b32 s16, exec_lo
	v_mbcnt_lo_u32_b32 v2, s17, 0
	s_waitcnt lgkmcnt(0)
	s_waitcnt_vscnt null, 0x0
	buffer_gl1_inv
	buffer_gl0_inv
	v_cmpx_eq_u32_e32 0, v2
	s_cbranch_execz .LBB4_9662
; %bb.9661:                             ;   in Loop: Header=BB4_9627 Depth=3
	s_bcnt1_i32_b32 s17, s17
	s_delay_alu instid0(SALU_CYCLE_1)
	v_mov_b32_e32 v2, s17
	ds_add_u64 v0, v[2:3]
	s_cbranch_execnz .LBB4_10496
.LBB4_9662:                             ;   in Loop: Header=BB4_9627 Depth=3
	s_or_b32 exec_lo, exec_lo, s16
	s_cbranch_execnz .LBB4_10466
; %bb.9663:                             ;   in Loop: Header=BB4_9627 Depth=3
	ds_load_b64 v[8:9], v0
	v_add_co_u32 v48, vcc_lo, v48, v97
	v_add_co_ci_u32_e32 v49, vcc_lo, 0, v49, vcc_lo
	s_mov_b32 s16, exec_lo
	s_waitcnt lgkmcnt(0)
	s_delay_alu instid0(VALU_DEP_1)
	v_cmpx_lt_u64_e64 v[8:9], v[48:49]
	s_cbranch_execz .LBB4_9674
; %bb.9664:                             ;   in Loop: Header=BB4_9627 Depth=3
	s_mov_b32 s17, 0
	s_mov_b32 s44, 0
                                        ; implicit-def: $sgpr42
                                        ; implicit-def: $sgpr43
	s_branch .LBB4_9666
.LBB4_9665:                             ;   in Loop: Header=BB4_9666 Depth=4
	s_or_b32 exec_lo, exec_lo, s46
	s_delay_alu instid0(SALU_CYCLE_1) | instskip(NEXT) | instid1(SALU_CYCLE_1)
	s_and_b32 vcc_lo, exec_lo, vcc_lo
	s_or_b32 s17, vcc_lo, s17
	s_and_not1_b32 vcc_lo, s42, exec_lo
	s_and_b32 s42, s43, exec_lo
	s_delay_alu instid0(SALU_CYCLE_1)
	s_or_b32 s42, vcc_lo, s42
	s_and_not1_b32 exec_lo, exec_lo, s17
	s_cbranch_execz .LBB4_9672
.LBB4_9666:                             ;   Parent Loop BB4_51 Depth=1
                                        ;     Parent Loop BB4_9625 Depth=2
                                        ;       Parent Loop BB4_9627 Depth=3
                                        ; =>      This Inner Loop Header: Depth=4
	s_add_i32 s44, s44, 1
                                        ; implicit-def: $sgpr46
	s_delay_alu instid0(SALU_CYCLE_1) | instskip(SKIP_1) | instid1(SALU_CYCLE_1)
	s_cmpk_lg_i32 s44, 0x2710
	s_cselect_b32 s45, -1, 0
	s_and_b32 vcc_lo, exec_lo, s45
	s_cbranch_vccz .LBB4_9670
.LBB4_9667:                             ;   in Loop: Header=BB4_9666 Depth=4
	s_and_not1_b32 s43, s43, exec_lo
	s_and_b32 s46, s46, exec_lo
	s_mov_b32 vcc_lo, -1
	s_or_b32 s43, s43, s46
	s_and_saveexec_b32 s46, s45
	s_cbranch_execz .LBB4_9665
; %bb.9668:                             ;   in Loop: Header=BB4_9666 Depth=4
	s_sleep 1
	s_cbranch_execnz .LBB4_10546
; %bb.9669:                             ;   in Loop: Header=BB4_9666 Depth=4
	ds_load_b64 v[8:9], v0
	s_and_not1_b32 s43, s43, exec_lo
	s_waitcnt lgkmcnt(0)
	v_cmp_ge_u64_e32 vcc_lo, v[8:9], v[48:49]
	s_or_not1_b32 vcc_lo, vcc_lo, exec_lo
	s_branch .LBB4_9665
.LBB4_9670:                             ;   in Loop: Header=BB4_9666 Depth=4
	s_cbranch_execnz .LBB4_10568
; %bb.9671:                             ;   in Loop: Header=BB4_9666 Depth=4
	ds_load_b64 v[8:9], v0
	s_and_not1_b32 s45, s45, exec_lo
	s_mov_b32 s44, 0
	s_mov_b32 s46, -1
	s_waitcnt lgkmcnt(0)
	flat_load_b32 v2, v[8:9] glc
	s_waitcnt vmcnt(0) lgkmcnt(0)
	buffer_gl1_inv
	buffer_gl0_inv
	v_cmp_eq_u32_e32 vcc_lo, 0, v2
	s_and_b32 vcc_lo, vcc_lo, exec_lo
	s_delay_alu instid0(SALU_CYCLE_1)
	s_or_b32 s45, s45, vcc_lo
	s_branch .LBB4_9667
.LBB4_9672:                             ;   in Loop: Header=BB4_9627 Depth=3
	s_or_b32 exec_lo, exec_lo, s17
	s_and_saveexec_b32 s17, s42
	s_delay_alu instid0(SALU_CYCLE_1)
	s_xor_b32 s17, exec_lo, s17
	s_cbranch_execz .LBB4_9674
; %bb.9673:                             ;   in Loop: Header=BB4_9627 Depth=3
	ds_store_b32 v0, v134
	s_cbranch_execnz .LBB4_10682
.LBB4_9674:                             ;   in Loop: Header=BB4_9627 Depth=3
	s_or_b32 exec_lo, exec_lo, s16
	;;#ASMSTART
	s_wakeup
	;;#ASMEND
.LBB4_9675:                             ;   in Loop: Header=BB4_9627 Depth=3
	s_or_b32 exec_lo, exec_lo, s15
.LBB4_9676:                             ;   in Loop: Header=BB4_9627 Depth=3
	s_and_not1_saveexec_b32 s14, s14
	s_cbranch_execz .LBB4_9678
; %bb.9677:                             ;   in Loop: Header=BB4_9627 Depth=3
	s_waitcnt lgkmcnt(0)
	s_waitcnt_vscnt null, 0x0
	buffer_gl1_inv
	buffer_gl0_inv
	s_barrier
.LBB4_9678:                             ;   in Loop: Header=BB4_9627 Depth=3
	s_or_b32 exec_lo, exec_lo, s14
.LBB4_9679:                             ;   in Loop: Header=BB4_9627 Depth=3
	s_delay_alu instid0(SALU_CYCLE_1)
	s_or_b32 exec_lo, exec_lo, s13
	s_cbranch_execnz .LBB4_10334
; %bb.9680:                             ;   in Loop: Header=BB4_9627 Depth=3
	ds_load_b32 v8, v0
	v_and_b32_e32 v2, 0x4000, v30
	s_xor_b32 s13, s2, -1
	s_delay_alu instid0(VALU_DEP_1) | instskip(SKIP_1) | instid1(SALU_CYCLE_1)
	v_cmp_ne_u32_e32 vcc_lo, 0, v2
	s_and_b32 s14, s13, vcc_lo
	s_and_saveexec_b32 s13, s14
	s_cbranch_execz .LBB4_9702
; %bb.9681:                             ;   in Loop: Header=BB4_9627 Depth=3
	s_and_saveexec_b32 s14, s4
	s_delay_alu instid0(SALU_CYCLE_1)
	s_xor_b32 s14, exec_lo, s14
	s_cbranch_execz .LBB4_9699
; %bb.9682:                             ;   in Loop: Header=BB4_9627 Depth=3
	s_and_saveexec_b32 s15, s1
	s_cbranch_execz .LBB4_9698
; %bb.9683:                             ;   in Loop: Header=BB4_9627 Depth=3
	s_mov_b32 s17, exec_lo
	s_mov_b32 s16, exec_lo
	v_mbcnt_lo_u32_b32 v2, s17, 0
	s_waitcnt lgkmcnt(0)
	s_waitcnt_vscnt null, 0x0
	buffer_gl1_inv
	buffer_gl0_inv
	v_cmpx_eq_u32_e32 0, v2
	s_cbranch_execz .LBB4_9685
; %bb.9684:                             ;   in Loop: Header=BB4_9627 Depth=3
	s_bcnt1_i32_b32 s17, s17
	s_delay_alu instid0(SALU_CYCLE_1)
	v_mov_b32_e32 v2, s17
	ds_add_u64 v0, v[2:3]
	s_cbranch_execnz .LBB4_10534
.LBB4_9685:                             ;   in Loop: Header=BB4_9627 Depth=3
	s_or_b32 exec_lo, exec_lo, s16
	s_cbranch_execnz .LBB4_10516
; %bb.9686:                             ;   in Loop: Header=BB4_9627 Depth=3
	ds_load_b64 v[9:10], v0
	v_add_co_u32 v48, vcc_lo, v48, v97
	v_add_co_ci_u32_e32 v49, vcc_lo, 0, v49, vcc_lo
	s_mov_b32 s16, exec_lo
	s_waitcnt lgkmcnt(0)
	s_delay_alu instid0(VALU_DEP_1)
	v_cmpx_lt_u64_e64 v[9:10], v[48:49]
	s_cbranch_execz .LBB4_9697
; %bb.9687:                             ;   in Loop: Header=BB4_9627 Depth=3
	s_mov_b32 s17, 0
	s_mov_b32 s44, 0
                                        ; implicit-def: $sgpr42
                                        ; implicit-def: $sgpr43
	s_branch .LBB4_9689
.LBB4_9688:                             ;   in Loop: Header=BB4_9689 Depth=4
	s_or_b32 exec_lo, exec_lo, s46
	s_delay_alu instid0(SALU_CYCLE_1) | instskip(NEXT) | instid1(SALU_CYCLE_1)
	s_and_b32 vcc_lo, exec_lo, vcc_lo
	s_or_b32 s17, vcc_lo, s17
	s_and_not1_b32 vcc_lo, s42, exec_lo
	s_and_b32 s42, s43, exec_lo
	s_delay_alu instid0(SALU_CYCLE_1)
	s_or_b32 s42, vcc_lo, s42
	s_and_not1_b32 exec_lo, exec_lo, s17
	s_cbranch_execz .LBB4_9695
.LBB4_9689:                             ;   Parent Loop BB4_51 Depth=1
                                        ;     Parent Loop BB4_9625 Depth=2
                                        ;       Parent Loop BB4_9627 Depth=3
                                        ; =>      This Inner Loop Header: Depth=4
	s_add_i32 s44, s44, 1
                                        ; implicit-def: $sgpr46
	s_delay_alu instid0(SALU_CYCLE_1) | instskip(SKIP_1) | instid1(SALU_CYCLE_1)
	s_cmpk_lg_i32 s44, 0x2710
	s_cselect_b32 s45, -1, 0
	s_and_b32 vcc_lo, exec_lo, s45
	s_cbranch_vccz .LBB4_9693
.LBB4_9690:                             ;   in Loop: Header=BB4_9689 Depth=4
	s_and_not1_b32 s43, s43, exec_lo
	s_and_b32 s46, s46, exec_lo
	s_mov_b32 vcc_lo, -1
	s_or_b32 s43, s43, s46
	s_and_saveexec_b32 s46, s45
	s_cbranch_execz .LBB4_9688
; %bb.9691:                             ;   in Loop: Header=BB4_9689 Depth=4
	s_sleep 1
	s_cbranch_execnz .LBB4_10604
; %bb.9692:                             ;   in Loop: Header=BB4_9689 Depth=4
	ds_load_b64 v[9:10], v0
	s_and_not1_b32 s43, s43, exec_lo
	s_waitcnt lgkmcnt(0)
	v_cmp_ge_u64_e32 vcc_lo, v[9:10], v[48:49]
	s_or_not1_b32 vcc_lo, vcc_lo, exec_lo
	s_branch .LBB4_9688
.LBB4_9693:                             ;   in Loop: Header=BB4_9689 Depth=4
	s_cbranch_execnz .LBB4_10612
; %bb.9694:                             ;   in Loop: Header=BB4_9689 Depth=4
	ds_load_b64 v[9:10], v0
	s_and_not1_b32 s45, s45, exec_lo
	s_mov_b32 s44, 0
	s_mov_b32 s46, -1
	s_waitcnt lgkmcnt(0)
	flat_load_b32 v2, v[9:10] glc
	s_waitcnt vmcnt(0) lgkmcnt(0)
	buffer_gl1_inv
	buffer_gl0_inv
	v_cmp_eq_u32_e32 vcc_lo, 0, v2
	s_and_b32 vcc_lo, vcc_lo, exec_lo
	s_delay_alu instid0(SALU_CYCLE_1)
	s_or_b32 s45, s45, vcc_lo
	s_branch .LBB4_9690
.LBB4_9695:                             ;   in Loop: Header=BB4_9627 Depth=3
	s_or_b32 exec_lo, exec_lo, s17
	s_and_saveexec_b32 s17, s42
	s_delay_alu instid0(SALU_CYCLE_1)
	s_xor_b32 s17, exec_lo, s17
	s_cbranch_execz .LBB4_9697
; %bb.9696:                             ;   in Loop: Header=BB4_9627 Depth=3
	ds_store_b32 v0, v134
	s_cbranch_execnz .LBB4_10698
.LBB4_9697:                             ;   in Loop: Header=BB4_9627 Depth=3
	s_or_b32 exec_lo, exec_lo, s16
	;;#ASMSTART
	s_wakeup
	;;#ASMEND
.LBB4_9698:                             ;   in Loop: Header=BB4_9627 Depth=3
	s_or_b32 exec_lo, exec_lo, s15
.LBB4_9699:                             ;   in Loop: Header=BB4_9627 Depth=3
	s_and_not1_saveexec_b32 s14, s14
	s_cbranch_execz .LBB4_9701
; %bb.9700:                             ;   in Loop: Header=BB4_9627 Depth=3
	s_waitcnt lgkmcnt(0)
	s_waitcnt_vscnt null, 0x0
	buffer_gl1_inv
	buffer_gl0_inv
	s_barrier
.LBB4_9701:                             ;   in Loop: Header=BB4_9627 Depth=3
	s_or_b32 exec_lo, exec_lo, s14
.LBB4_9702:                             ;   in Loop: Header=BB4_9627 Depth=3
	s_delay_alu instid0(SALU_CYCLE_1)
	s_or_b32 exec_lo, exec_lo, s13
	s_cbranch_execnz .LBB4_10392
; %bb.9703:                             ;   in Loop: Header=BB4_9627 Depth=3
	ds_load_b64 v[9:10], v0
	v_mov_b32_e32 v19, 0
	s_waitcnt lgkmcnt(0)
	v_cmp_eq_u64_e32 vcc_lo, 0, v[9:10]
	s_or_b32 s13, vcc_lo, vcc_lo
	s_delay_alu instid0(SALU_CYCLE_1)
	s_and_b32 vcc_lo, exec_lo, s13
	s_cbranch_vccnz .LBB4_9778
; %bb.9704:                             ;   in Loop: Header=BB4_9627 Depth=3
	v_cmp_eq_u32_e32 vcc_lo, 0, v8
	s_cbranch_execnz .LBB4_10458
; %bb.9705:                             ;   in Loop: Header=BB4_9627 Depth=3
	ds_load_b64 v[8:9], v0
	v_cndmask_b32_e32 v19, 0, v12, vcc_lo
	s_waitcnt lgkmcnt(0)
	v_cmp_ne_u64_e64 s13, 0, v[8:9]
	s_delay_alu instid0(VALU_DEP_1)
	s_and_b32 vcc_lo, exec_lo, s13
	s_cbranch_vccz .LBB4_9743
; %bb.9706:                             ;   in Loop: Header=BB4_9627 Depth=3
	s_mov_b32 s13, -1
	s_and_saveexec_b32 s14, s6
	s_cbranch_execz .LBB4_9708
; %bb.9707:                             ;   in Loop: Header=BB4_9627 Depth=3
	ds_load_b32 v2, v0 offset:720
	s_waitcnt lgkmcnt(0)
	v_and_b32_e32 v2, 15, v2
	s_delay_alu instid0(VALU_DEP_1)
	v_cmp_eq_u32_e32 vcc_lo, 0, v2
	s_or_not1_b32 s13, vcc_lo, exec_lo
.LBB4_9708:                             ;   in Loop: Header=BB4_9627 Depth=3
	s_or_b32 exec_lo, exec_lo, s14
	s_and_saveexec_b32 s14, s12
	s_cbranch_execz .LBB4_9710
; %bb.9709:                             ;   in Loop: Header=BB4_9627 Depth=3
	ds_load_b32 v2, v0 offset:784
	s_waitcnt lgkmcnt(0)
	v_and_b32_e32 v2, 15, v2
	s_delay_alu instid0(VALU_DEP_1) | instskip(SKIP_3) | instid1(SALU_CYCLE_1)
	v_cmp_eq_u32_e32 vcc_lo, 0, v2
	s_and_b32 s15, s13, vcc_lo
	s_and_not1_b32 s13, s13, exec_lo
	s_and_b32 s15, s15, exec_lo
	s_or_b32 s13, s13, s15
.LBB4_9710:                             ;   in Loop: Header=BB4_9627 Depth=3
	s_or_b32 exec_lo, exec_lo, s14
	s_xor_b32 s13, s13, -1
	v_mov_b32_e32 v20, v19
	v_cndmask_b32_e64 v2, 0, 1, s13
	;;#ASMSTART
	;;#ASMEND
	s_delay_alu instid0(VALU_DEP_1)
	v_cmp_ne_u32_e32 vcc_lo, 0, v2
	v_dual_mov_b32 v2, 0 :: v_dual_mov_b32 v21, v0
	v_mov_b32_e32 v8, v99
	s_mov_b32 s13, -1
	s_cbranch_vccnz .LBB4_9728
; %bb.9711:                             ;   in Loop: Header=BB4_9627 Depth=3
	v_ashrrev_i32_e32 v2, 31, v19
	s_mov_b32 s14, exec_lo
	s_delay_alu instid0(VALU_DEP_1) | instskip(NEXT) | instid1(VALU_DEP_1)
	v_lshrrev_b32_e32 v2, 22, v2
	v_add_nc_u32_e32 v2, v19, v2
	s_delay_alu instid0(VALU_DEP_1) | instskip(NEXT) | instid1(VALU_DEP_1)
	v_ashrrev_i32_e32 v2, 10, v2
	v_sub_nc_u32_e32 v23, v2, v99
	s_delay_alu instid0(VALU_DEP_1)
	v_cmpx_lt_i32_e32 0, v23
	s_cbranch_execz .LBB4_9716
; %bb.9712:                             ;   in Loop: Header=BB4_9627 Depth=3
	s_cbranch_execnz .LBB4_10628
; %bb.9713:                             ;   in Loop: Header=BB4_9627 Depth=3
	ds_load_b64 v[8:9], v0
	ds_load_b128 v[68:71], v0
	s_mov_b32 s15, 0
	s_waitcnt lgkmcnt(1)
	v_add_co_u32 v8, vcc_lo, v8, v130
	v_add_co_ci_u32_e32 v9, vcc_lo, v9, v131, vcc_lo
	s_waitcnt lgkmcnt(0)
	v_add_co_u32 v10, vcc_lo, v68, v130
	v_add_co_ci_u32_e32 v11, vcc_lo, v69, v131, vcc_lo
	v_add_co_u32 v13, vcc_lo, v70, v130
	v_add_co_ci_u32_e32 v14, vcc_lo, v71, v131, vcc_lo
.LBB4_9714:                             ;   Parent Loop BB4_51 Depth=1
                                        ;     Parent Loop BB4_9625 Depth=2
                                        ;       Parent Loop BB4_9627 Depth=3
                                        ; =>      This Inner Loop Header: Depth=4
	s_clause 0x1
	global_load_b128 v[68:71], v[8:9], off slc dlc
	global_load_b128 v[80:83], v[8:9], off offset:512 slc dlc
	v_sub_nc_u32_e32 v23, v23, v97
	v_add_co_u32 v8, vcc_lo, v8, v132
	v_add_co_ci_u32_e32 v9, vcc_lo, v9, v133, vcc_lo
	s_delay_alu instid0(VALU_DEP_3)
	v_cmp_gt_i32_e32 vcc_lo, 1, v23
	s_waitcnt vmcnt(1)
	global_store_b128 v[10:11], v[68:71], off glc slc dlc
	s_waitcnt vmcnt(0)
	global_store_b128 v[10:11], v[80:83], off offset:512 glc slc dlc
	s_clause 0x1
	global_store_b128 v[13:14], v[68:71], off glc slc dlc
	global_store_b128 v[13:14], v[80:83], off offset:512 glc slc dlc
	v_add_co_u32 v10, s13, v10, v132
	s_delay_alu instid0(VALU_DEP_1) | instskip(SKIP_1) | instid1(VALU_DEP_1)
	v_add_co_ci_u32_e64 v11, s13, v11, v133, s13
	v_add_co_u32 v13, s13, v13, v132
	v_add_co_ci_u32_e64 v14, s13, v14, v133, s13
	s_or_b32 s15, vcc_lo, s15
	s_delay_alu instid0(SALU_CYCLE_1)
	s_and_not1_b32 exec_lo, exec_lo, s15
	s_cbranch_execnz .LBB4_9714
; %bb.9715:                             ;   in Loop: Header=BB4_9627 Depth=3
	s_or_b32 exec_lo, exec_lo, s15
.LBB4_9716:                             ;   in Loop: Header=BB4_9627 Depth=3
	s_delay_alu instid0(SALU_CYCLE_1) | instskip(SKIP_4) | instid1(VALU_DEP_2)
	s_or_b32 exec_lo, exec_lo, s14
	v_lshlrev_b32_e32 v22, 10, v2
	v_mov_b32_e32 v2, 0
	s_mov_b32 s13, 0
	s_mov_b32 s16, exec_lo
                                        ; implicit-def: $vgpr20
                                        ; implicit-def: $vgpr21
                                        ; implicit-def: $vgpr8
	v_cmpx_ne_u32_e64 v19, v22
	s_cbranch_execz .LBB4_9727
; %bb.9717:                             ;   in Loop: Header=BB4_9627 Depth=3
	v_lshlrev_b32_e32 v2, 5, v23
	v_sub_nc_u32_e32 v9, v19, v22
	s_mov_b32 s17, exec_lo
	s_delay_alu instid0(VALU_DEP_2) | instskip(NEXT) | instid1(VALU_DEP_2)
	v_sub_nc_u32_e32 v2, v100, v2
	v_ashrrev_i32_e32 v10, 31, v9
	s_delay_alu instid0(VALU_DEP_2) | instskip(NEXT) | instid1(VALU_DEP_2)
	v_ashrrev_i32_e32 v8, 31, v2
	v_lshrrev_b32_e32 v10, 23, v10
	s_delay_alu instid0(VALU_DEP_2) | instskip(NEXT) | instid1(VALU_DEP_2)
	v_lshrrev_b32_e32 v8, 27, v8
	v_add_nc_u32_e32 v10, v9, v10
	s_delay_alu instid0(VALU_DEP_2) | instskip(NEXT) | instid1(VALU_DEP_2)
	v_add_nc_u32_e32 v8, v2, v8
	v_and_b32_e32 v23, 0xfffffe00, v10
	v_ashrrev_i32_e32 v10, 9, v10
	s_delay_alu instid0(VALU_DEP_3) | instskip(NEXT) | instid1(VALU_DEP_3)
	v_and_b32_e32 v11, 0xffffffe0, v8
	v_sub_nc_u32_e32 v69, v9, v23
	s_delay_alu instid0(VALU_DEP_2) | instskip(SKIP_1) | instid1(VALU_DEP_3)
	v_sub_nc_u32_e32 v68, v2, v11
	v_ashrrev_i32_e32 v11, 5, v8
	v_cmp_lt_i32_e64 s13, 15, v69
	s_delay_alu instid0(VALU_DEP_3) | instskip(NEXT) | instid1(VALU_DEP_2)
	v_lshlrev_b32_e32 v2, 4, v68
	v_add_co_ci_u32_e64 v10, vcc_lo, 0, v10, s13
	s_delay_alu instid0(VALU_DEP_2) | instskip(NEXT) | instid1(VALU_DEP_2)
	v_lshl_add_u32 v8, v11, 9, v2
	v_sub_nc_u32_e32 v70, v10, v11
	s_delay_alu instid0(VALU_DEP_2) | instskip(NEXT) | instid1(VALU_DEP_1)
	v_sub_nc_u32_e32 v2, v9, v8
	v_cmpx_lt_i32_e32 15, v2
	s_cbranch_execz .LBB4_9724
; %bb.9718:                             ;   in Loop: Header=BB4_9627 Depth=3
	s_cbranch_execnz .LBB4_10666
; %bb.9719:                             ;   in Loop: Header=BB4_9627 Depth=3
	ds_load_b64 v[9:10], v0
	ds_load_b128 v[80:83], v0
	v_add_nc_u32_e32 v8, v8, v22
	s_mov_b32 s42, 0
	s_delay_alu instid0(VALU_DEP_1) | instskip(SKIP_2) | instid1(VALU_DEP_2)
	v_ashrrev_i32_e32 v11, 31, v8
	s_waitcnt lgkmcnt(1)
	v_add_co_u32 v13, vcc_lo, v9, v8
	v_add_co_ci_u32_e32 v14, vcc_lo, v10, v11, vcc_lo
	s_waitcnt lgkmcnt(0)
	v_add_co_u32 v20, vcc_lo, v80, v8
	v_add_co_ci_u32_e32 v21, vcc_lo, v81, v11, vcc_lo
	v_add_co_u32 v71, vcc_lo, v82, v8
	v_add_co_ci_u32_e32 v80, vcc_lo, v83, v11, vcc_lo
.LBB4_9720:                             ;   Parent Loop BB4_51 Depth=1
                                        ;     Parent Loop BB4_9625 Depth=2
                                        ;       Parent Loop BB4_9627 Depth=3
                                        ; =>      This Loop Header: Depth=4
                                        ;           Child Loop BB4_9721 Depth 5
	global_load_b128 v[8:11], v[13:14], off slc dlc
	s_mov_b64 s[14:15], 0
	s_mov_b32 s43, -1
.LBB4_9721:                             ;   Parent Loop BB4_51 Depth=1
                                        ;     Parent Loop BB4_9625 Depth=2
                                        ;       Parent Loop BB4_9627 Depth=3
                                        ;         Parent Loop BB4_9720 Depth=4
                                        ; =>        This Inner Loop Header: Depth=5
	s_cmp_eq_u32 s14, 0
	v_cndmask_b32_e64 v83, 0, 1, s43
	s_cselect_b32 vcc_lo, -1, 0
	s_cmp_eq_u32 s14, 1
	s_mov_b32 s43, 0
	s_cselect_b32 s14, -1, 0
	s_delay_alu instid0(SALU_CYCLE_1) | instskip(SKIP_1) | instid1(VALU_DEP_2)
	v_cndmask_b32_e64 v81, v20, v71, s14
	v_cndmask_b32_e64 v82, v21, v80, s14
	v_add_co_u32 v84, s15, 0x200, v81
	s_delay_alu instid0(VALU_DEP_1) | instskip(SKIP_1) | instid1(VALU_DEP_3)
	v_add_co_ci_u32_e64 v85, s15, 0, v82, s15
	v_cmp_ne_u32_e64 s15, 1, v83
	v_cndmask_b32_e64 v71, v71, v84, s14
	v_cndmask_b32_e32 v20, v20, v84, vcc_lo
	s_delay_alu instid0(VALU_DEP_4)
	v_cndmask_b32_e64 v80, v80, v85, s14
	v_cndmask_b32_e32 v21, v21, v85, vcc_lo
	s_and_b32 vcc_lo, exec_lo, s15
	s_mov_b64 s[14:15], 1
	s_waitcnt vmcnt(0)
	global_store_b128 v[81:82], v[8:11], off glc slc dlc
	s_cbranch_vccz .LBB4_9721
; %bb.9722:                             ;   in Loop: Header=BB4_9720 Depth=4
	v_add_co_u32 v20, vcc_lo, v20, v103
	v_sub_nc_u32_e32 v2, v2, v101
	v_add_co_ci_u32_e32 v21, vcc_lo, v21, v115, vcc_lo
	v_add_co_u32 v71, vcc_lo, v71, v103
	v_add_co_ci_u32_e32 v80, vcc_lo, v80, v115, vcc_lo
	s_delay_alu instid0(VALU_DEP_4) | instskip(SKIP_1) | instid1(VALU_DEP_1)
	v_cmp_gt_i32_e32 vcc_lo, 16, v2
	v_add_co_u32 v13, s14, v117, v13
	v_add_co_ci_u32_e64 v14, s14, v118, v14, s14
	v_sub_nc_u32_e32 v70, v70, v97
	s_or_b32 s42, vcc_lo, s42
	s_delay_alu instid0(SALU_CYCLE_1)
	s_and_not1_b32 exec_lo, exec_lo, s42
	s_cbranch_execnz .LBB4_9720
; %bb.9723:                             ;   in Loop: Header=BB4_9627 Depth=3
	s_or_b32 exec_lo, exec_lo, s42
.LBB4_9724:                             ;   in Loop: Header=BB4_9627 Depth=3
	s_delay_alu instid0(SALU_CYCLE_1) | instskip(SKIP_3) | instid1(VALU_DEP_1)
	s_or_b32 exec_lo, exec_lo, s17
	v_dual_mov_b32 v2, 0 :: v_dual_and_b32 v9, 15, v19
	s_mov_b32 s14, 0
	s_mov_b32 s15, exec_lo
                                        ; implicit-def: $vgpr21
                                        ; implicit-def: $vgpr8
	v_cndmask_b32_e64 v20, v69, v9, s13
	s_delay_alu instid0(VALU_DEP_1)
	v_cmpx_ne_u32_e32 0, v20
	s_cbranch_execz .LBB4_9726
; %bb.9725:                             ;   in Loop: Header=BB4_9627 Depth=3
	v_cmp_lt_i32_e32 vcc_lo, 0, v70
	v_sub_nc_u32_e32 v8, v69, v9
	s_mov_b32 s14, exec_lo
	v_cndmask_b32_e32 v2, 0, v97, vcc_lo
	s_delay_alu instid0(VALU_DEP_2) | instskip(NEXT) | instid1(VALU_DEP_2)
	v_cndmask_b32_e64 v8, 0, v8, s13
	v_sub_nc_u32_e32 v2, v2, v70
	s_delay_alu instid0(VALU_DEP_1) | instskip(NEXT) | instid1(VALU_DEP_1)
	v_lshl_add_u32 v21, v2, 5, v68
	v_ashrrev_i32_e32 v2, 31, v21
	s_delay_alu instid0(VALU_DEP_1) | instskip(NEXT) | instid1(VALU_DEP_1)
	v_lshrrev_b32_e32 v2, 27, v2
	v_add_nc_u32_e32 v9, v21, v2
	v_add3_u32 v2, v23, v22, v8
	s_delay_alu instid0(VALU_DEP_2)
	v_ashrrev_i32_e32 v8, 5, v9
.LBB4_9726:                             ;   in Loop: Header=BB4_9627 Depth=3
	s_or_b32 exec_lo, exec_lo, s15
	s_delay_alu instid0(SALU_CYCLE_1)
	s_and_b32 s13, s14, exec_lo
.LBB4_9727:                             ;   in Loop: Header=BB4_9627 Depth=3
	s_or_b32 exec_lo, exec_lo, s16
.LBB4_9728:                             ;   in Loop: Header=BB4_9627 Depth=3
	s_and_saveexec_b32 s15, s13
	s_cbranch_execz .LBB4_9742
; %bb.9729:                             ;   in Loop: Header=BB4_9627 Depth=3
	v_ashrrev_i32_e32 v9, 31, v20
	s_mov_b32 s14, exec_lo
	s_delay_alu instid0(VALU_DEP_1) | instskip(NEXT) | instid1(VALU_DEP_1)
	v_lshrrev_b32_e32 v9, 23, v9
	v_add_nc_u32_e32 v9, v20, v9
	s_delay_alu instid0(VALU_DEP_1) | instskip(NEXT) | instid1(VALU_DEP_1)
	v_ashrrev_i32_e32 v23, 9, v9
	v_sub_nc_u32_e32 v22, v23, v8
	s_delay_alu instid0(VALU_DEP_1)
	v_cmpx_lt_i32_e32 0, v22
	s_cbranch_execz .LBB4_9734
; %bb.9730:                             ;   in Loop: Header=BB4_9627 Depth=3
	s_cbranch_execnz .LBB4_10624
; %bb.9731:                             ;   in Loop: Header=BB4_9627 Depth=3
	v_ashrrev_i32_e32 v9, 31, v21
	v_lshlrev_b32_e32 v8, 9, v8
	s_mov_b32 s16, 0
	ds_load_b128 v[68:71], v0
	v_lshrrev_b32_e32 v9, 27, v9
	s_delay_alu instid0(VALU_DEP_1) | instskip(SKIP_2) | instid1(VALU_DEP_1)
	v_add_nc_u32_e32 v11, v21, v9
	ds_load_b64 v[9:10], v0
	v_and_b32_e32 v11, 0xffffffe0, v11
	v_sub_nc_u32_e32 v11, v21, v11
	s_delay_alu instid0(VALU_DEP_1) | instskip(NEXT) | instid1(VALU_DEP_1)
	v_add3_u32 v13, v2, v11, v8
	v_ashrrev_i32_e32 v14, 31, v13
	s_waitcnt lgkmcnt(0)
	v_add_co_u32 v80, vcc_lo, 0x1e0, v9
	v_add_co_ci_u32_e32 v81, vcc_lo, 0, v10, vcc_lo
	v_add_co_u32 v8, vcc_lo, v68, v13
	v_add_co_ci_u32_e32 v9, vcc_lo, v69, v14, vcc_lo
	;; [unrolled: 2-line block ×4, first 2 shown]
.LBB4_9732:                             ;   Parent Loop BB4_51 Depth=1
                                        ;     Parent Loop BB4_9625 Depth=2
                                        ;       Parent Loop BB4_9627 Depth=3
                                        ; =>      This Inner Loop Header: Depth=4
	s_delay_alu instid0(VALU_DEP_2) | instskip(NEXT) | instid1(VALU_DEP_2)
	v_add_co_u32 v68, vcc_lo, 0xfffffe20, v13
	v_add_co_ci_u32_e32 v69, vcc_lo, -1, v14, vcc_lo
	v_add_co_u32 v70, vcc_lo, 0xfffffe40, v13
	v_add_co_ci_u32_e32 v71, vcc_lo, -1, v14, vcc_lo
	;; [unrolled: 2-line block ×15, first 2 shown]
	flat_load_u8 v151, v[13:14] slc dlc
	flat_load_u8 v68, v[68:69] slc dlc
	;; [unrolled: 1-line block ×16, first 2 shown]
	v_sub_nc_u32_e32 v22, v22, v97
	v_add_co_u32 v13, vcc_lo, v13, v117
	v_add_co_ci_u32_e32 v14, vcc_lo, v14, v118, vcc_lo
	s_delay_alu instid0(VALU_DEP_3)
	v_cmp_gt_i32_e32 vcc_lo, 1, v22
	s_waitcnt vmcnt(14) lgkmcnt(14)
	flat_store_b8 v[8:9], v68 glc slc dlc
	s_waitcnt vmcnt(13) lgkmcnt(14)
	flat_store_b8 v[8:9], v69 offset:32 glc slc dlc
	s_waitcnt vmcnt(12) lgkmcnt(14)
	flat_store_b8 v[8:9], v70 offset:64 glc slc dlc
	;; [unrolled: 2-line block ×13, first 2 shown]
	s_waitcnt vmcnt(0) lgkmcnt(14)
	s_clause 0x1
	flat_store_b8 v[8:9], v149 offset:448 glc slc dlc
	flat_store_b8 v[8:9], v151 offset:480 glc slc dlc
	s_clause 0xf
	flat_store_b8 v[10:11], v68 glc slc dlc
	flat_store_b8 v[10:11], v69 offset:32 glc slc dlc
	flat_store_b8 v[10:11], v70 offset:64 glc slc dlc
	;; [unrolled: 1-line block ×15, first 2 shown]
	v_add_co_u32 v8, s13, v8, v117
	s_delay_alu instid0(VALU_DEP_1) | instskip(SKIP_1) | instid1(VALU_DEP_1)
	v_add_co_ci_u32_e64 v9, s13, v9, v118, s13
	v_add_co_u32 v10, s13, v10, v117
	v_add_co_ci_u32_e64 v11, s13, v11, v118, s13
	s_or_b32 s16, vcc_lo, s16
	s_delay_alu instid0(SALU_CYCLE_1)
	s_and_not1_b32 exec_lo, exec_lo, s16
	s_cbranch_execnz .LBB4_9732
; %bb.9733:                             ;   in Loop: Header=BB4_9627 Depth=3
	s_or_b32 exec_lo, exec_lo, s16
.LBB4_9734:                             ;   in Loop: Header=BB4_9627 Depth=3
	s_delay_alu instid0(SALU_CYCLE_1) | instskip(SKIP_2) | instid1(VALU_DEP_1)
	s_or_b32 exec_lo, exec_lo, s14
	v_lshlrev_b32_e32 v8, 9, v23
	s_mov_b32 s42, exec_lo
	v_cmpx_ne_u32_e64 v20, v8
	s_cbranch_execz .LBB4_9741
; %bb.9735:                             ;   in Loop: Header=BB4_9627 Depth=3
	v_ashrrev_i32_e32 v9, 31, v21
	v_lshlrev_b32_e32 v10, 5, v22
	s_delay_alu instid0(VALU_DEP_2) | instskip(NEXT) | instid1(VALU_DEP_1)
	v_lshrrev_b32_e32 v9, 27, v9
	v_add_nc_u32_e32 v9, v21, v9
	s_delay_alu instid0(VALU_DEP_1) | instskip(NEXT) | instid1(VALU_DEP_1)
	v_and_b32_e32 v9, 0xffffffe0, v9
	v_sub_nc_u32_e32 v9, v21, v9
	s_delay_alu instid0(VALU_DEP_1) | instskip(NEXT) | instid1(VALU_DEP_1)
	v_sub_nc_u32_e32 v9, v9, v10
	v_add_nc_u32_e32 v8, v8, v9
	s_delay_alu instid0(VALU_DEP_1) | instskip(NEXT) | instid1(VALU_DEP_1)
	v_sub_nc_u32_e32 v10, v20, v8
	v_cmp_lt_i32_e32 vcc_lo, 0, v10
	s_and_b32 exec_lo, exec_lo, vcc_lo
	s_cbranch_execz .LBB4_9741
; %bb.9736:                             ;   in Loop: Header=BB4_9627 Depth=3
	s_cbranch_execnz .LBB4_10660
; %bb.9737:                             ;   in Loop: Header=BB4_9627 Depth=3
	ds_load_b64 v[13:14], v0
	ds_load_b128 v[20:23], v0
	v_add_nc_u32_e32 v68, v8, v2
	s_mov_b32 s43, 0
	s_delay_alu instid0(VALU_DEP_1) | instskip(SKIP_2) | instid1(VALU_DEP_2)
	v_ashrrev_i32_e32 v69, 31, v68
	s_waitcnt lgkmcnt(1)
	v_add_co_u32 v8, vcc_lo, v13, v68
	v_add_co_ci_u32_e32 v9, vcc_lo, v14, v69, vcc_lo
	s_waitcnt lgkmcnt(0)
	v_add_co_u32 v2, vcc_lo, v20, v68
	v_add_co_ci_u32_e32 v11, vcc_lo, v21, v69, vcc_lo
	v_add_co_u32 v13, vcc_lo, v22, v68
	v_add_co_ci_u32_e32 v14, vcc_lo, v23, v69, vcc_lo
	s_set_inst_prefetch_distance 0x1
.LBB4_9738:                             ;   Parent Loop BB4_51 Depth=1
                                        ;     Parent Loop BB4_9625 Depth=2
                                        ;       Parent Loop BB4_9627 Depth=3
                                        ; =>      This Loop Header: Depth=4
                                        ;           Child Loop BB4_9739 Depth 5
	flat_load_u8 v20, v[8:9] slc dlc
	s_mov_b64 s[16:17], 0
	s_mov_b32 s44, -1
.LBB4_9739:                             ;   Parent Loop BB4_51 Depth=1
                                        ;     Parent Loop BB4_9625 Depth=2
                                        ;       Parent Loop BB4_9627 Depth=3
                                        ;         Parent Loop BB4_9738 Depth=4
                                        ; =>        This Inner Loop Header: Depth=5
	s_cmp_eq_u32 s16, 1
	s_cselect_b32 vcc_lo, -1, 0
	s_cmp_eq_u32 s16, 0
	v_dual_cndmask_b32 v22, v11, v14 :: v_dual_cndmask_b32 v21, v2, v13
	s_mov_b64 s[16:17], 1
	s_delay_alu instid0(VALU_DEP_1) | instskip(NEXT) | instid1(VALU_DEP_1)
	v_add_co_u32 v23, s13, v21, 32
	v_add_co_ci_u32_e64 v68, s13, 0, v22, s13
	s_cselect_b32 s13, -1, 0
	s_and_b32 s14, exec_lo, s44
	s_delay_alu instid0(VALU_DEP_1)
	v_dual_cndmask_b32 v13, v13, v23 :: v_dual_cndmask_b32 v14, v14, v68
	v_cndmask_b32_e64 v11, v11, v68, s13
	v_cndmask_b32_e64 v2, v2, v23, s13
	s_mov_b32 s44, 0
	s_mov_b32 vcc_lo, s14
	s_waitcnt vmcnt(0) lgkmcnt(0)
	flat_store_b8 v[21:22], v20 glc slc dlc
	s_cbranch_vccnz .LBB4_9739
; %bb.9740:                             ;   in Loop: Header=BB4_9738 Depth=4
	v_add_co_u32 v2, vcc_lo, v2, v116
	v_sub_nc_u32_e32 v10, v10, v98
	v_add_co_ci_u32_e32 v11, vcc_lo, v11, v119, vcc_lo
	v_add_co_u32 v13, vcc_lo, v13, v116
	v_add_co_ci_u32_e32 v14, vcc_lo, v14, v119, vcc_lo
	s_delay_alu instid0(VALU_DEP_4) | instskip(SKIP_1) | instid1(VALU_DEP_1)
	v_cmp_gt_i32_e32 vcc_lo, 1, v10
	v_add_co_u32 v8, s13, v128, v8
	v_add_co_ci_u32_e64 v9, s13, v129, v9, s13
	s_or_b32 s43, vcc_lo, s43
	s_delay_alu instid0(SALU_CYCLE_1)
	s_and_not1_b32 exec_lo, exec_lo, s43
	s_cbranch_execnz .LBB4_9738
.LBB4_9741:                             ;   in Loop: Header=BB4_9627 Depth=3
	s_set_inst_prefetch_distance 0x2
	s_or_b32 exec_lo, exec_lo, s42
.LBB4_9742:                             ;   in Loop: Header=BB4_9627 Depth=3
	s_delay_alu instid0(SALU_CYCLE_1)
	s_or_b32 exec_lo, exec_lo, s15
	s_mov_b32 s13, 0
	s_branch .LBB4_9744
.LBB4_9743:                             ;   in Loop: Header=BB4_9627 Depth=3
	s_mov_b32 s13, -1
.LBB4_9744:                             ;   in Loop: Header=BB4_9627 Depth=3
	s_delay_alu instid0(SALU_CYCLE_1)
	s_and_b32 vcc_lo, exec_lo, s13
	s_cbranch_vccz .LBB4_9778
; %bb.9745:                             ;   in Loop: Header=BB4_9627 Depth=3
	s_mov_b32 s13, -1
	s_and_saveexec_b32 s14, s6
	s_cbranch_execz .LBB4_9747
; %bb.9746:                             ;   in Loop: Header=BB4_9627 Depth=3
	ds_load_b32 v2, v0 offset:720
	s_waitcnt lgkmcnt(0)
	v_and_b32_e32 v2, 15, v2
	s_delay_alu instid0(VALU_DEP_1)
	v_cmp_eq_u32_e32 vcc_lo, 0, v2
	s_or_not1_b32 s13, vcc_lo, exec_lo
.LBB4_9747:                             ;   in Loop: Header=BB4_9627 Depth=3
	s_or_b32 exec_lo, exec_lo, s14
	s_and_saveexec_b32 s14, s5
	s_cbranch_execz .LBB4_9749
; %bb.9748:                             ;   in Loop: Header=BB4_9627 Depth=3
	ds_load_b32 v2, v0 offset:784
	s_waitcnt lgkmcnt(0)
	v_and_b32_e32 v2, 15, v2
	s_delay_alu instid0(VALU_DEP_1) | instskip(SKIP_3) | instid1(SALU_CYCLE_1)
	v_cmp_eq_u32_e32 vcc_lo, 0, v2
	s_and_b32 s15, s13, vcc_lo
	s_and_not1_b32 s13, s13, exec_lo
	s_and_b32 s15, s15, exec_lo
	s_or_b32 s13, s13, s15
.LBB4_9749:                             ;   in Loop: Header=BB4_9627 Depth=3
	s_or_b32 exec_lo, exec_lo, s14
	s_xor_b32 s13, s13, -1
	v_mov_b32_e32 v14, v0
	v_cndmask_b32_e64 v2, 0, 1, s13
	;;#ASMSTART
	;;#ASMEND
	s_delay_alu instid0(VALU_DEP_1)
	v_cmp_ne_u32_e32 vcc_lo, 0, v2
	v_dual_mov_b32 v2, 0 :: v_dual_mov_b32 v13, v19
	v_mov_b32_e32 v22, v99
	s_mov_b32 s13, -1
	s_cbranch_vccnz .LBB4_9765
; %bb.9750:                             ;   in Loop: Header=BB4_9627 Depth=3
	v_ashrrev_i32_e32 v2, 31, v19
	s_mov_b32 s14, exec_lo
	s_delay_alu instid0(VALU_DEP_1) | instskip(NEXT) | instid1(VALU_DEP_1)
	v_lshrrev_b32_e32 v2, 21, v2
	v_add_nc_u32_e32 v2, v19, v2
	s_delay_alu instid0(VALU_DEP_1) | instskip(NEXT) | instid1(VALU_DEP_1)
	v_ashrrev_i32_e32 v2, 11, v2
	v_sub_nc_u32_e32 v20, v2, v99
	s_delay_alu instid0(VALU_DEP_1)
	v_cmpx_lt_i32_e32 0, v20
	s_cbranch_execz .LBB4_9755
; %bb.9751:                             ;   in Loop: Header=BB4_9627 Depth=3
	s_cbranch_execnz .LBB4_10644
; %bb.9752:                             ;   in Loop: Header=BB4_9627 Depth=3
	ds_load_b64 v[8:9], v0
	s_mov_b32 s15, 0
	s_waitcnt lgkmcnt(0)
	v_dual_mov_b32 v11, v9 :: v_dual_mov_b32 v10, v8
	s_set_inst_prefetch_distance 0x1
.LBB4_9753:                             ;   Parent Loop BB4_51 Depth=1
                                        ;     Parent Loop BB4_9625 Depth=2
                                        ;       Parent Loop BB4_9627 Depth=3
                                        ; =>      This Inner Loop Header: Depth=4
	s_delay_alu instid0(VALU_DEP_1) | instskip(NEXT) | instid1(VALU_DEP_2)
	v_add_co_u32 v13, vcc_lo, v102, v10
	v_add_co_ci_u32_e32 v14, vcc_lo, v112, v11, vcc_lo
	v_sub_nc_u32_e32 v20, v20, v97
	s_clause 0x3
	global_load_b128 v[68:71], v[13:14], off slc dlc
	global_load_b128 v[80:83], v[13:14], off offset:512 slc dlc
	global_load_b128 v[145:148], v[13:14], off offset:1024 slc dlc
	;; [unrolled: 1-line block ×3, first 2 shown]
	v_add_co_u32 v13, vcc_lo, v102, v8
	v_add_co_ci_u32_e32 v14, vcc_lo, v112, v9, vcc_lo
	v_add_co_u32 v10, vcc_lo, v10, v113
	v_add_co_ci_u32_e32 v11, vcc_lo, v11, v114, vcc_lo
	v_add_co_u32 v8, vcc_lo, v8, v113
	v_cmp_gt_i32_e64 s13, 1, v20
	v_add_co_ci_u32_e32 v9, vcc_lo, v9, v114, vcc_lo
	s_waitcnt vmcnt(3)
	global_store_b128 v[13:14], v[68:71], off glc slc dlc
	s_waitcnt vmcnt(2)
	global_store_b128 v[13:14], v[80:83], off offset:512 glc slc dlc
	s_waitcnt vmcnt(1)
	global_store_b128 v[13:14], v[145:148], off offset:1024 glc slc dlc
	;; [unrolled: 2-line block ×3, first 2 shown]
	s_or_b32 s15, s13, s15
	s_delay_alu instid0(SALU_CYCLE_1)
	s_and_not1_b32 exec_lo, exec_lo, s15
	s_cbranch_execnz .LBB4_9753
; %bb.9754:                             ;   in Loop: Header=BB4_9627 Depth=3
	s_set_inst_prefetch_distance 0x2
	s_or_b32 exec_lo, exec_lo, s15
.LBB4_9755:                             ;   in Loop: Header=BB4_9627 Depth=3
	s_delay_alu instid0(SALU_CYCLE_1) | instskip(SKIP_4) | instid1(VALU_DEP_2)
	s_or_b32 exec_lo, exec_lo, s14
	v_lshlrev_b32_e32 v10, 11, v2
	v_mov_b32_e32 v2, 0
	s_mov_b32 s13, 0
	s_mov_b32 s15, exec_lo
                                        ; implicit-def: $vgpr13
                                        ; implicit-def: $vgpr14
                                        ; implicit-def: $vgpr22
	v_cmpx_ne_u32_e64 v19, v10
	s_cbranch_execz .LBB4_9764
; %bb.9756:                             ;   in Loop: Header=BB4_9627 Depth=3
	v_lshlrev_b32_e32 v2, 5, v20
	v_sub_nc_u32_e32 v9, v19, v10
	s_mov_b32 s16, exec_lo
	s_delay_alu instid0(VALU_DEP_2) | instskip(NEXT) | instid1(VALU_DEP_2)
	v_sub_nc_u32_e32 v2, v100, v2
	v_ashrrev_i32_e32 v11, 31, v9
	s_delay_alu instid0(VALU_DEP_2) | instskip(NEXT) | instid1(VALU_DEP_2)
	v_ashrrev_i32_e32 v8, 31, v2
	v_lshrrev_b32_e32 v11, 23, v11
	s_delay_alu instid0(VALU_DEP_2) | instskip(NEXT) | instid1(VALU_DEP_2)
	v_lshrrev_b32_e32 v8, 27, v8
	v_add_nc_u32_e32 v14, v9, v11
	s_delay_alu instid0(VALU_DEP_2) | instskip(NEXT) | instid1(VALU_DEP_2)
	v_add_nc_u32_e32 v8, v2, v8
	v_and_b32_e32 v11, 0xfffffe00, v14
	v_ashrrev_i32_e32 v14, 9, v14
	s_delay_alu instid0(VALU_DEP_3) | instskip(NEXT) | instid1(VALU_DEP_3)
	v_and_b32_e32 v13, 0xffffffe0, v8
	v_sub_nc_u32_e32 v21, v9, v11
	v_ashrrev_i32_e32 v8, 5, v8
	s_delay_alu instid0(VALU_DEP_3) | instskip(NEXT) | instid1(VALU_DEP_3)
	v_sub_nc_u32_e32 v20, v2, v13
	v_cmp_lt_i32_e32 vcc_lo, 15, v21
	s_delay_alu instid0(VALU_DEP_2) | instskip(SKIP_1) | instid1(VALU_DEP_2)
	v_lshlrev_b32_e32 v2, 4, v20
	v_add_co_ci_u32_e64 v14, s13, 0, v14, vcc_lo
	v_lshl_add_u32 v13, v8, 9, v2
	s_delay_alu instid0(VALU_DEP_2) | instskip(NEXT) | instid1(VALU_DEP_2)
	v_sub_nc_u32_e32 v23, v14, v8
	v_sub_nc_u32_e32 v2, v9, v13
	s_delay_alu instid0(VALU_DEP_1)
	v_cmpx_lt_i32_e32 15, v2
	s_cbranch_execz .LBB4_9761
; %bb.9757:                             ;   in Loop: Header=BB4_9627 Depth=3
	s_cbranch_execnz .LBB4_10674
; %bb.9758:                             ;   in Loop: Header=BB4_9627 Depth=3
	ds_load_b64 v[8:9], v0
	v_add_nc_u32_e32 v13, v13, v10
	s_mov_b32 s17, 0
	s_delay_alu instid0(VALU_DEP_1)
	v_ashrrev_i32_e32 v14, 31, v13
.LBB4_9759:                             ;   Parent Loop BB4_51 Depth=1
                                        ;     Parent Loop BB4_9625 Depth=2
                                        ;       Parent Loop BB4_9627 Depth=3
                                        ; =>      This Inner Loop Header: Depth=4
	s_waitcnt lgkmcnt(0)
	v_add_co_u32 v80, s13, v8, v13
	s_delay_alu instid0(VALU_DEP_1)
	v_add_co_ci_u32_e64 v81, s13, v9, v14, s13
	v_sub_nc_u32_e32 v2, v2, v101
	v_add_co_u32 v13, s14, v13, v117
	global_load_b128 v[68:71], v[80:81], off slc dlc
	v_sub_nc_u32_e32 v23, v23, v97
	v_cmp_gt_i32_e64 s13, 16, v2
	v_add_co_ci_u32_e64 v14, s14, v14, v118, s14
	s_delay_alu instid0(VALU_DEP_2)
	s_or_b32 s17, s13, s17
	s_waitcnt vmcnt(0)
	global_store_b128 v[80:81], v[68:71], off glc slc dlc
	s_and_not1_b32 exec_lo, exec_lo, s17
	s_cbranch_execnz .LBB4_9759
; %bb.9760:                             ;   in Loop: Header=BB4_9627 Depth=3
	s_or_b32 exec_lo, exec_lo, s17
.LBB4_9761:                             ;   in Loop: Header=BB4_9627 Depth=3
	s_delay_alu instid0(SALU_CYCLE_1) | instskip(SKIP_3) | instid1(VALU_DEP_1)
	s_or_b32 exec_lo, exec_lo, s16
	v_and_b32_e32 v8, 15, v19
	s_mov_b32 s14, 0
	s_mov_b32 s16, exec_lo
                                        ; implicit-def: $vgpr14
                                        ; implicit-def: $vgpr22
	v_dual_mov_b32 v2, 0 :: v_dual_cndmask_b32 v13, v21, v8
	s_delay_alu instid0(VALU_DEP_1)
	v_cmpx_ne_u32_e32 0, v13
; %bb.9762:                             ;   in Loop: Header=BB4_9627 Depth=3
	v_cmp_lt_i32_e64 s13, 0, v23
	v_sub_nc_u32_e32 v8, v21, v8
	s_mov_b32 s14, exec_lo
	s_delay_alu instid0(VALU_DEP_2) | instskip(NEXT) | instid1(VALU_DEP_1)
	v_cndmask_b32_e64 v2, 0, v97, s13
	v_sub_nc_u32_e32 v2, v2, v23
	s_delay_alu instid0(VALU_DEP_1) | instskip(NEXT) | instid1(VALU_DEP_1)
	v_lshl_add_u32 v14, v2, 5, v20
	v_ashrrev_i32_e32 v2, 31, v14
	s_delay_alu instid0(VALU_DEP_1) | instskip(NEXT) | instid1(VALU_DEP_1)
	v_lshrrev_b32_e32 v2, 27, v2
	v_dual_cndmask_b32 v8, 0, v8 :: v_dual_add_nc_u32 v9, v14, v2
	s_delay_alu instid0(VALU_DEP_1) | instskip(NEXT) | instid1(VALU_DEP_2)
	v_add3_u32 v2, v11, v10, v8
	v_ashrrev_i32_e32 v22, 5, v9
; %bb.9763:                             ;   in Loop: Header=BB4_9627 Depth=3
	s_or_b32 exec_lo, exec_lo, s16
	s_delay_alu instid0(SALU_CYCLE_1)
	s_and_b32 s13, s14, exec_lo
.LBB4_9764:                             ;   in Loop: Header=BB4_9627 Depth=3
	s_or_b32 exec_lo, exec_lo, s15
.LBB4_9765:                             ;   in Loop: Header=BB4_9627 Depth=3
	s_and_saveexec_b32 s14, s13
	s_cbranch_execz .LBB4_9777
; %bb.9766:                             ;   in Loop: Header=BB4_9627 Depth=3
	v_ashrrev_i32_e32 v8, 31, v13
	s_mov_b32 s13, exec_lo
	s_delay_alu instid0(VALU_DEP_1) | instskip(NEXT) | instid1(VALU_DEP_1)
	v_lshrrev_b32_e32 v8, 23, v8
	v_add_nc_u32_e32 v8, v13, v8
	s_delay_alu instid0(VALU_DEP_1) | instskip(NEXT) | instid1(VALU_DEP_1)
	v_ashrrev_i32_e32 v21, 9, v8
	v_sub_nc_u32_e32 v20, v21, v22
	s_delay_alu instid0(VALU_DEP_1)
	v_cmpx_lt_i32_e32 0, v20
	s_cbranch_execz .LBB4_9771
; %bb.9767:                             ;   in Loop: Header=BB4_9627 Depth=3
	s_cbranch_execnz .LBB4_10632
; %bb.9768:                             ;   in Loop: Header=BB4_9627 Depth=3
	v_ashrrev_i32_e32 v8, 31, v14
	s_mov_b32 s15, 0
	s_delay_alu instid0(VALU_DEP_1) | instskip(NEXT) | instid1(VALU_DEP_1)
	v_lshrrev_b32_e32 v8, 27, v8
	v_add_nc_u32_e32 v10, v14, v8
	ds_load_b64 v[8:9], v0
	v_lshlrev_b32_e32 v11, 9, v22
	v_and_b32_e32 v10, 0xffffffe0, v10
	s_delay_alu instid0(VALU_DEP_1) | instskip(NEXT) | instid1(VALU_DEP_1)
	v_sub_nc_u32_e32 v10, v14, v10
	v_add3_u32 v22, v2, v10, v11
	s_delay_alu instid0(VALU_DEP_1)
	v_ashrrev_i32_e32 v23, 31, v22
	s_waitcnt lgkmcnt(0)
	v_dual_mov_b32 v11, v9 :: v_dual_mov_b32 v10, v8
.LBB4_9769:                             ;   Parent Loop BB4_51 Depth=1
                                        ;     Parent Loop BB4_9625 Depth=2
                                        ;       Parent Loop BB4_9627 Depth=3
                                        ; =>      This Inner Loop Header: Depth=4
	s_delay_alu instid0(VALU_DEP_1) | instskip(NEXT) | instid1(VALU_DEP_2)
	v_add_co_u32 v68, vcc_lo, v22, v10
	v_add_co_ci_u32_e32 v69, vcc_lo, v23, v11, vcc_lo
	v_sub_nc_u32_e32 v20, v20, v97
	s_clause 0xf
	flat_load_u8 v70, v[68:69] slc dlc
	flat_load_u8 v71, v[68:69] offset:32 slc dlc
	flat_load_u8 v80, v[68:69] offset:64 slc dlc
	;; [unrolled: 1-line block ×15, first 2 shown]
	v_add_co_u32 v68, vcc_lo, v22, v8
	v_add_co_ci_u32_e32 v69, vcc_lo, v23, v9, vcc_lo
	v_add_co_u32 v10, vcc_lo, v10, v117
	v_add_co_ci_u32_e32 v11, vcc_lo, v11, v118, vcc_lo
	;; [unrolled: 2-line block ×3, first 2 shown]
	v_cmp_gt_i32_e32 vcc_lo, 1, v20
	s_waitcnt vmcnt(15) lgkmcnt(15)
	flat_store_b8 v[68:69], v70 glc slc dlc
	s_waitcnt vmcnt(14) lgkmcnt(15)
	flat_store_b8 v[68:69], v71 offset:32 glc slc dlc
	s_waitcnt vmcnt(13) lgkmcnt(15)
	flat_store_b8 v[68:69], v80 offset:64 glc slc dlc
	;; [unrolled: 2-line block ×15, first 2 shown]
	s_or_b32 s15, vcc_lo, s15
	s_delay_alu instid0(SALU_CYCLE_1)
	s_and_not1_b32 exec_lo, exec_lo, s15
	s_cbranch_execnz .LBB4_9769
; %bb.9770:                             ;   in Loop: Header=BB4_9627 Depth=3
	s_or_b32 exec_lo, exec_lo, s15
.LBB4_9771:                             ;   in Loop: Header=BB4_9627 Depth=3
	s_delay_alu instid0(SALU_CYCLE_1) | instskip(SKIP_2) | instid1(VALU_DEP_1)
	s_or_b32 exec_lo, exec_lo, s13
	v_lshlrev_b32_e32 v8, 9, v21
	s_mov_b32 s15, exec_lo
	v_cmpx_ne_u32_e64 v13, v8
	s_cbranch_execz .LBB4_9776
; %bb.9772:                             ;   in Loop: Header=BB4_9627 Depth=3
	v_ashrrev_i32_e32 v9, 31, v14
	v_lshlrev_b32_e32 v10, 5, v20
	s_delay_alu instid0(VALU_DEP_2) | instskip(NEXT) | instid1(VALU_DEP_1)
	v_lshrrev_b32_e32 v9, 27, v9
	v_add_nc_u32_e32 v9, v14, v9
	s_delay_alu instid0(VALU_DEP_1) | instskip(NEXT) | instid1(VALU_DEP_1)
	v_and_b32_e32 v9, 0xffffffe0, v9
	v_sub_nc_u32_e32 v9, v14, v9
	s_delay_alu instid0(VALU_DEP_1) | instskip(NEXT) | instid1(VALU_DEP_1)
	v_sub_nc_u32_e32 v9, v9, v10
	v_add_nc_u32_e32 v11, v8, v9
	s_delay_alu instid0(VALU_DEP_1) | instskip(NEXT) | instid1(VALU_DEP_1)
	v_sub_nc_u32_e32 v10, v13, v11
	v_cmp_lt_i32_e32 vcc_lo, 0, v10
	s_and_b32 exec_lo, exec_lo, vcc_lo
	s_cbranch_execz .LBB4_9776
; %bb.9773:                             ;   in Loop: Header=BB4_9627 Depth=3
	s_cbranch_execnz .LBB4_10670
; %bb.9774:                             ;   in Loop: Header=BB4_9627 Depth=3
	ds_load_b64 v[8:9], v0
	v_add_nc_u32_e32 v2, v11, v2
	s_mov_b32 s16, 0
	s_delay_alu instid0(VALU_DEP_1)
	v_ashrrev_i32_e32 v11, 31, v2
.LBB4_9775:                             ;   Parent Loop BB4_51 Depth=1
                                        ;     Parent Loop BB4_9625 Depth=2
                                        ;       Parent Loop BB4_9627 Depth=3
                                        ; =>      This Inner Loop Header: Depth=4
	s_waitcnt lgkmcnt(0)
	v_add_co_u32 v13, vcc_lo, v8, v2
	s_delay_alu instid0(VALU_DEP_2)
	v_add_co_ci_u32_e32 v14, vcc_lo, v9, v11, vcc_lo
	v_sub_nc_u32_e32 v10, v10, v98
	v_add_co_u32 v2, s13, v2, v128
	flat_load_u8 v20, v[13:14] slc dlc
	v_add_co_ci_u32_e64 v11, s13, v11, v129, s13
	v_cmp_gt_i32_e32 vcc_lo, 1, v10
	s_or_b32 s16, vcc_lo, s16
	s_waitcnt vmcnt(0) lgkmcnt(0)
	flat_store_b8 v[13:14], v20 glc slc dlc
	s_and_not1_b32 exec_lo, exec_lo, s16
	s_cbranch_execnz .LBB4_9775
.LBB4_9776:                             ;   in Loop: Header=BB4_9627 Depth=3
	s_or_b32 exec_lo, exec_lo, s15
.LBB4_9777:                             ;   in Loop: Header=BB4_9627 Depth=3
	s_delay_alu instid0(SALU_CYCLE_1)
	s_or_b32 exec_lo, exec_lo, s14
.LBB4_9778:                             ;   in Loop: Header=BB4_9627 Depth=3
	s_and_saveexec_b32 s13, s3
	s_cbranch_execz .LBB4_9800
; %bb.9779:                             ;   in Loop: Header=BB4_9627 Depth=3
	s_and_saveexec_b32 s14, s4
	s_delay_alu instid0(SALU_CYCLE_1)
	s_xor_b32 s14, exec_lo, s14
	s_cbranch_execz .LBB4_9797
; %bb.9780:                             ;   in Loop: Header=BB4_9627 Depth=3
	s_and_saveexec_b32 s15, s1
	s_cbranch_execz .LBB4_9796
; %bb.9781:                             ;   in Loop: Header=BB4_9627 Depth=3
	s_mov_b32 s17, exec_lo
	s_mov_b32 s16, exec_lo
	v_mbcnt_lo_u32_b32 v2, s17, 0
	s_waitcnt lgkmcnt(0)
	s_waitcnt_vscnt null, 0x0
	buffer_gl1_inv
	buffer_gl0_inv
	v_cmpx_eq_u32_e32 0, v2
	s_cbranch_execz .LBB4_9783
; %bb.9782:                             ;   in Loop: Header=BB4_9627 Depth=3
	s_bcnt1_i32_b32 s17, s17
	s_delay_alu instid0(SALU_CYCLE_1)
	v_mov_b32_e32 v2, s17
	ds_add_u64 v0, v[2:3]
	s_cbranch_execnz .LBB4_10618
.LBB4_9783:                             ;   in Loop: Header=BB4_9627 Depth=3
	s_or_b32 exec_lo, exec_lo, s16
	s_cbranch_execnz .LBB4_10596
; %bb.9784:                             ;   in Loop: Header=BB4_9627 Depth=3
	ds_load_b64 v[8:9], v0
	v_add_co_u32 v48, vcc_lo, v48, v97
	v_add_co_ci_u32_e32 v49, vcc_lo, 0, v49, vcc_lo
	s_mov_b32 s16, exec_lo
	s_waitcnt lgkmcnt(0)
	s_delay_alu instid0(VALU_DEP_1)
	v_cmpx_lt_u64_e64 v[8:9], v[48:49]
	s_cbranch_execz .LBB4_9795
; %bb.9785:                             ;   in Loop: Header=BB4_9627 Depth=3
	s_mov_b32 s17, 0
	s_mov_b32 s44, 0
                                        ; implicit-def: $sgpr42
                                        ; implicit-def: $sgpr43
	s_branch .LBB4_9787
.LBB4_9786:                             ;   in Loop: Header=BB4_9787 Depth=4
	s_or_b32 exec_lo, exec_lo, s46
	s_delay_alu instid0(SALU_CYCLE_1) | instskip(NEXT) | instid1(SALU_CYCLE_1)
	s_and_b32 vcc_lo, exec_lo, vcc_lo
	s_or_b32 s17, vcc_lo, s17
	s_and_not1_b32 vcc_lo, s42, exec_lo
	s_and_b32 s42, s43, exec_lo
	s_delay_alu instid0(SALU_CYCLE_1)
	s_or_b32 s42, vcc_lo, s42
	s_and_not1_b32 exec_lo, exec_lo, s17
	s_cbranch_execz .LBB4_9793
.LBB4_9787:                             ;   Parent Loop BB4_51 Depth=1
                                        ;     Parent Loop BB4_9625 Depth=2
                                        ;       Parent Loop BB4_9627 Depth=3
                                        ; =>      This Inner Loop Header: Depth=4
	s_add_i32 s44, s44, 1
                                        ; implicit-def: $sgpr46
	s_delay_alu instid0(SALU_CYCLE_1) | instskip(SKIP_1) | instid1(SALU_CYCLE_1)
	s_cmpk_lg_i32 s44, 0x2710
	s_cselect_b32 s45, -1, 0
	s_and_b32 vcc_lo, exec_lo, s45
	s_cbranch_vccnz .LBB4_9790
; %bb.9788:                             ;   in Loop: Header=BB4_9787 Depth=4
	s_cbranch_execnz .LBB4_10658
; %bb.9789:                             ;   in Loop: Header=BB4_9787 Depth=4
	ds_load_b64 v[8:9], v0
	s_and_not1_b32 s45, s45, exec_lo
	s_mov_b32 s44, 0
	s_mov_b32 s46, -1
	s_waitcnt lgkmcnt(0)
	flat_load_b32 v2, v[8:9] glc
	s_waitcnt vmcnt(0) lgkmcnt(0)
	buffer_gl1_inv
	buffer_gl0_inv
	v_cmp_eq_u32_e32 vcc_lo, 0, v2
	s_and_b32 vcc_lo, vcc_lo, exec_lo
	s_delay_alu instid0(SALU_CYCLE_1)
	s_or_b32 s45, s45, vcc_lo
.LBB4_9790:                             ;   in Loop: Header=BB4_9787 Depth=4
	s_and_not1_b32 s43, s43, exec_lo
	s_and_b32 s46, s46, exec_lo
	s_mov_b32 vcc_lo, -1
	s_or_b32 s43, s43, s46
	s_and_saveexec_b32 s46, s45
	s_cbranch_execz .LBB4_9786
; %bb.9791:                             ;   in Loop: Header=BB4_9787 Depth=4
	s_sleep 1
	s_cbranch_execnz .LBB4_10650
; %bb.9792:                             ;   in Loop: Header=BB4_9787 Depth=4
	ds_load_b64 v[8:9], v0
	s_and_not1_b32 s43, s43, exec_lo
	s_waitcnt lgkmcnt(0)
	v_cmp_ge_u64_e32 vcc_lo, v[8:9], v[48:49]
	s_or_not1_b32 vcc_lo, vcc_lo, exec_lo
	s_branch .LBB4_9786
.LBB4_9793:                             ;   in Loop: Header=BB4_9627 Depth=3
	s_or_b32 exec_lo, exec_lo, s17
	s_and_saveexec_b32 s17, s42
	s_delay_alu instid0(SALU_CYCLE_1)
	s_xor_b32 s17, exec_lo, s17
	s_cbranch_execz .LBB4_9795
; %bb.9794:                             ;   in Loop: Header=BB4_9627 Depth=3
	ds_store_b32 v0, v134
	s_cbranch_execnz .LBB4_10704
.LBB4_9795:                             ;   in Loop: Header=BB4_9627 Depth=3
	s_or_b32 exec_lo, exec_lo, s16
	;;#ASMSTART
	s_wakeup
	;;#ASMEND
.LBB4_9796:                             ;   in Loop: Header=BB4_9627 Depth=3
	s_or_b32 exec_lo, exec_lo, s15
.LBB4_9797:                             ;   in Loop: Header=BB4_9627 Depth=3
	s_and_not1_saveexec_b32 s14, s14
	s_cbranch_execz .LBB4_9799
; %bb.9798:                             ;   in Loop: Header=BB4_9627 Depth=3
	s_waitcnt lgkmcnt(0)
	s_waitcnt_vscnt null, 0x0
	buffer_gl1_inv
	buffer_gl0_inv
	s_barrier
.LBB4_9799:                             ;   in Loop: Header=BB4_9627 Depth=3
	s_or_b32 exec_lo, exec_lo, s14
.LBB4_9800:                             ;   in Loop: Header=BB4_9627 Depth=3
	s_delay_alu instid0(SALU_CYCLE_1) | instskip(SKIP_1) | instid1(SALU_CYCLE_1)
	s_or_b32 exec_lo, exec_lo, s13
                                        ; implicit-def: $vgpr2
	s_and_saveexec_b32 s13, s7
	s_xor_b32 s14, exec_lo, s13
	s_cbranch_execz .LBB4_9804
; %bb.9801:                             ;   in Loop: Header=BB4_9627 Depth=3
	v_and_b32_e32 v2, 16, v30
	v_cmp_lt_i32_e32 vcc_lo, 0, v19
	s_delay_alu instid0(VALU_DEP_2) | instskip(SKIP_1) | instid1(VALU_DEP_2)
	v_cmp_ne_u32_e64 s13, 0, v2
	v_and_b32_e32 v2, 16, v30
	s_and_b32 s15, s13, vcc_lo
	s_delay_alu instid0(SALU_CYCLE_1)
	s_and_saveexec_b32 s13, s15
	s_cbranch_execz .LBB4_9803
; %bb.9802:                             ;   in Loop: Header=BB4_9627 Depth=3
	v_mov_b32_e32 v2, 1
	s_waitcnt lgkmcnt(0)
	s_waitcnt_vscnt null, 0x0
	buffer_gl1_inv
	buffer_gl0_inv
.LBB4_9803:                             ;   in Loop: Header=BB4_9627 Depth=3
	s_or_b32 exec_lo, exec_lo, s13
.LBB4_9804:                             ;   in Loop: Header=BB4_9627 Depth=3
	s_and_not1_saveexec_b32 s13, s14
	s_cbranch_execz .LBB4_9826
; %bb.9805:                             ;   in Loop: Header=BB4_9627 Depth=3
	s_and_saveexec_b32 s14, s4
	s_delay_alu instid0(SALU_CYCLE_1)
	s_xor_b32 s14, exec_lo, s14
	s_cbranch_execz .LBB4_9823
; %bb.9806:                             ;   in Loop: Header=BB4_9627 Depth=3
	s_and_saveexec_b32 s15, s1
	s_cbranch_execz .LBB4_9822
; %bb.9807:                             ;   in Loop: Header=BB4_9627 Depth=3
	s_mov_b32 s17, exec_lo
	s_mov_b32 s16, exec_lo
	v_mbcnt_lo_u32_b32 v2, s17, 0
	;;#ASMSTART
	s_waitcnt lgkmcnt(0) vmcnt(0)
	;;#ASMEND
	s_delay_alu instid0(VALU_DEP_1)
	v_cmpx_eq_u32_e32 0, v2
	s_cbranch_execz .LBB4_9809
; %bb.9808:                             ;   in Loop: Header=BB4_9627 Depth=3
	s_bcnt1_i32_b32 s17, s17
	s_delay_alu instid0(SALU_CYCLE_1)
	v_mov_b32_e32 v2, s17
	ds_add_u64 v0, v[2:3]
	s_cbranch_execnz .LBB4_10620
.LBB4_9809:                             ;   in Loop: Header=BB4_9627 Depth=3
	s_or_b32 exec_lo, exec_lo, s16
	s_cbranch_execnz .LBB4_10600
; %bb.9810:                             ;   in Loop: Header=BB4_9627 Depth=3
	ds_load_b64 v[8:9], v0
	v_add_co_u32 v48, vcc_lo, v48, v97
	v_add_co_ci_u32_e32 v49, vcc_lo, 0, v49, vcc_lo
	s_mov_b32 s16, exec_lo
	s_waitcnt lgkmcnt(0)
	s_delay_alu instid0(VALU_DEP_1)
	v_cmpx_lt_u64_e64 v[8:9], v[48:49]
	s_cbranch_execz .LBB4_9821
; %bb.9811:                             ;   in Loop: Header=BB4_9627 Depth=3
	s_mov_b32 s17, 0
	s_mov_b32 s44, 0
                                        ; implicit-def: $sgpr42
                                        ; implicit-def: $sgpr43
	s_branch .LBB4_9813
.LBB4_9812:                             ;   in Loop: Header=BB4_9813 Depth=4
	s_or_b32 exec_lo, exec_lo, s46
	s_delay_alu instid0(SALU_CYCLE_1) | instskip(NEXT) | instid1(SALU_CYCLE_1)
	s_and_b32 vcc_lo, exec_lo, vcc_lo
	s_or_b32 s17, vcc_lo, s17
	s_and_not1_b32 vcc_lo, s42, exec_lo
	s_and_b32 s42, s43, exec_lo
	s_delay_alu instid0(SALU_CYCLE_1)
	s_or_b32 s42, vcc_lo, s42
	s_and_not1_b32 exec_lo, exec_lo, s17
	s_cbranch_execz .LBB4_9819
.LBB4_9813:                             ;   Parent Loop BB4_51 Depth=1
                                        ;     Parent Loop BB4_9625 Depth=2
                                        ;       Parent Loop BB4_9627 Depth=3
                                        ; =>      This Inner Loop Header: Depth=4
	s_add_i32 s44, s44, 1
                                        ; implicit-def: $sgpr46
	s_delay_alu instid0(SALU_CYCLE_1) | instskip(SKIP_1) | instid1(SALU_CYCLE_1)
	s_cmpk_lg_i32 s44, 0x2710
	s_cselect_b32 s45, -1, 0
	s_and_b32 vcc_lo, exec_lo, s45
	s_cbranch_vccz .LBB4_9817
.LBB4_9814:                             ;   in Loop: Header=BB4_9813 Depth=4
	s_and_not1_b32 s43, s43, exec_lo
	s_and_b32 s46, s46, exec_lo
	s_mov_b32 vcc_lo, -1
	s_or_b32 s43, s43, s46
	s_and_saveexec_b32 s46, s45
	s_cbranch_execz .LBB4_9812
; %bb.9815:                             ;   in Loop: Header=BB4_9813 Depth=4
	s_sleep 1
	s_cbranch_execnz .LBB4_10656
; %bb.9816:                             ;   in Loop: Header=BB4_9813 Depth=4
	ds_load_b64 v[8:9], v0
	s_and_not1_b32 s43, s43, exec_lo
	s_waitcnt lgkmcnt(0)
	v_cmp_ge_u64_e32 vcc_lo, v[8:9], v[48:49]
	s_or_not1_b32 vcc_lo, vcc_lo, exec_lo
	s_branch .LBB4_9812
.LBB4_9817:                             ;   in Loop: Header=BB4_9813 Depth=4
	s_cbranch_execnz .LBB4_10662
; %bb.9818:                             ;   in Loop: Header=BB4_9813 Depth=4
	ds_load_b64 v[8:9], v0
	s_and_not1_b32 s45, s45, exec_lo
	s_mov_b32 s44, 0
	s_mov_b32 s46, -1
	s_waitcnt lgkmcnt(0)
	s_waitcnt_vscnt null, 0x0
	flat_load_b32 v2, v[8:9] glc
	s_waitcnt vmcnt(0) lgkmcnt(0)
	buffer_gl1_inv
	buffer_gl0_inv
	v_cmp_eq_u32_e32 vcc_lo, 0, v2
	s_and_b32 vcc_lo, vcc_lo, exec_lo
	s_delay_alu instid0(SALU_CYCLE_1)
	s_or_b32 s45, s45, vcc_lo
	s_branch .LBB4_9814
.LBB4_9819:                             ;   in Loop: Header=BB4_9627 Depth=3
	s_or_b32 exec_lo, exec_lo, s17
	s_and_saveexec_b32 s17, s42
	s_delay_alu instid0(SALU_CYCLE_1)
	s_xor_b32 s17, exec_lo, s17
	s_cbranch_execz .LBB4_9821
; %bb.9820:                             ;   in Loop: Header=BB4_9627 Depth=3
	ds_store_b32 v0, v134
	s_cbranch_execnz .LBB4_10706
.LBB4_9821:                             ;   in Loop: Header=BB4_9627 Depth=3
	s_or_b32 exec_lo, exec_lo, s16
	;;#ASMSTART
	s_wakeup
	;;#ASMEND
.LBB4_9822:                             ;   in Loop: Header=BB4_9627 Depth=3
	s_or_b32 exec_lo, exec_lo, s15
.LBB4_9823:                             ;   in Loop: Header=BB4_9627 Depth=3
	s_and_not1_saveexec_b32 s14, s14
	s_cbranch_execz .LBB4_9825
; %bb.9824:                             ;   in Loop: Header=BB4_9627 Depth=3
	;;#ASMSTART
	s_waitcnt lgkmcnt(0) vmcnt(0)
	;;#ASMEND
	s_waitcnt lgkmcnt(0)
	s_waitcnt_vscnt null, 0x0
	s_barrier
.LBB4_9825:                             ;   in Loop: Header=BB4_9627 Depth=3
	s_or_b32 exec_lo, exec_lo, s14
	v_and_b32_e32 v2, 16, v30
.LBB4_9826:                             ;   in Loop: Header=BB4_9627 Depth=3
	s_or_b32 exec_lo, exec_lo, s13
	s_delay_alu instid0(VALU_DEP_1) | instskip(SKIP_1) | instid1(SALU_CYCLE_1)
	v_cmp_ne_u32_e32 vcc_lo, 0, v2
	s_xor_b32 s13, s10, -1
	s_and_b32 s14, vcc_lo, s13
	s_delay_alu instid0(SALU_CYCLE_1)
	s_and_saveexec_b32 s13, s14
	s_cbranch_execz .LBB4_9828
; %bb.9827:                             ;   in Loop: Header=BB4_9627 Depth=3
	s_waitcnt lgkmcnt(0)
	s_waitcnt_vscnt null, 0x0
	flat_store_b32 v[38:39], v134
.LBB4_9828:                             ;   in Loop: Header=BB4_9627 Depth=3
	s_or_b32 exec_lo, exec_lo, s13
	v_and_b32_e32 v2, 48, v30
	s_mov_b32 s13, exec_lo
	s_delay_alu instid0(VALU_DEP_1)
	v_cmpx_ne_u32_e32 0, v2
	s_cbranch_execz .LBB4_9830
; %bb.9829:                             ;   in Loop: Header=BB4_9627 Depth=3
	v_add_co_u32 v34, vcc_lo, v34, 2
	v_add_co_ci_u32_e32 v35, vcc_lo, 0, v35, vcc_lo
	s_waitcnt lgkmcnt(0)
	s_waitcnt_vscnt null, 0x0
	flat_store_b64 v[32:33], v[34:35]
.LBB4_9830:                             ;   in Loop: Header=BB4_9627 Depth=3
	s_or_b32 exec_lo, exec_lo, s13
	v_add_nc_u32_e32 v16, v12, v16
	s_xor_b32 s13, s40, -1
	v_mov_b32_e32 v2, s41
	s_mov_b32 s40, 0
	s_mov_b32 s41, 2
	v_cmp_ge_i32_e32 vcc_lo, v16, v15
	s_or_b32 s13, s13, vcc_lo
	s_delay_alu instid0(SALU_CYCLE_1) | instskip(NEXT) | instid1(SALU_CYCLE_1)
	s_and_b32 s13, exec_lo, s13
	s_or_b32 s39, s13, s39
	s_delay_alu instid0(SALU_CYCLE_1)
	s_and_not1_b32 exec_lo, exec_lo, s39
	s_cbranch_execnz .LBB4_9627
; %bb.9831:                             ;   in Loop: Header=BB4_9625 Depth=2
	s_or_b32 exec_lo, exec_lo, s39
.LBB4_9832:                             ;   in Loop: Header=BB4_9625 Depth=2
	s_delay_alu instid0(SALU_CYCLE_1) | instskip(NEXT) | instid1(SALU_CYCLE_1)
	s_or_b32 exec_lo, exec_lo, s38
	s_mov_b32 s14, exec_lo
	v_cmpx_gt_i32_e32 2, v2
	s_cbranch_execz .LBB4_9918
; %bb.9833:                             ;   in Loop: Header=BB4_9625 Depth=2
	v_cmp_eq_u32_e64 s13, 0, v2
	s_mov_b32 s15, 0
.LBB4_9834:                             ;   Parent Loop BB4_51 Depth=1
                                        ;     Parent Loop BB4_9625 Depth=2
                                        ; =>    This Loop Header: Depth=3
                                        ;         Child Loop BB4_9840 Depth 4
                                        ;         Child Loop BB4_9872 Depth 4
                                        ;         Child Loop BB4_9899 Depth 4
	v_and_b32_e32 v2, 12, v30
	s_mov_b32 s17, -1
	s_mov_b32 s16, exec_lo
	s_delay_alu instid0(VALU_DEP_1)
	v_cmpx_ne_u32_e32 0, v2
	s_cbranch_execz .LBB4_9848
; %bb.9835:                             ;   in Loop: Header=BB4_9834 Depth=3
	v_and_b32_e32 v2, 8, v30
	s_delay_alu instid0(VALU_DEP_1) | instskip(SKIP_3) | instid1(VALU_DEP_1)
	v_add_co_u32 v10, vcc_lo, v50, v2
	v_add_co_ci_u32_e32 v11, vcc_lo, 0, v51, vcc_lo
	v_add_co_u32 v8, vcc_lo, v34, 2
	v_add_co_ci_u32_e32 v9, vcc_lo, 0, v35, vcc_lo
	v_cmp_lt_u64_e32 vcc_lo, v[10:11], v[8:9]
	v_mov_b32_e32 v10, 1
	s_and_saveexec_b32 s17, vcc_lo
	s_cbranch_execz .LBB4_9847
; %bb.9836:                             ;   in Loop: Header=BB4_9834 Depth=3
	v_mov_b32_e32 v10, 0
	s_mov_b32 s38, 0
                                        ; implicit-def: $sgpr39
	s_branch .LBB4_9840
.LBB4_9837:                             ;   in Loop: Header=BB4_9840 Depth=4
	s_or_b32 exec_lo, exec_lo, s43
	v_mov_b32_e32 v11, 0
	s_or_not1_b32 s42, s42, exec_lo
.LBB4_9838:                             ;   in Loop: Header=BB4_9840 Depth=4
	s_or_b32 exec_lo, exec_lo, s41
	s_delay_alu instid0(VALU_DEP_1) | instskip(SKIP_2) | instid1(SALU_CYCLE_1)
	v_mov_b32_e32 v10, v11
	s_and_not1_b32 vcc_lo, s39, exec_lo
	s_and_b32 s39, s42, exec_lo
	s_or_b32 s39, vcc_lo, s39
.LBB4_9839:                             ;   in Loop: Header=BB4_9840 Depth=4
	s_or_b32 exec_lo, exec_lo, s40
	s_waitcnt vmcnt(0) lgkmcnt(0)
	v_add_co_u32 v13, vcc_lo, v50, v2
	v_add_co_ci_u32_e32 v14, vcc_lo, 0, v51, vcc_lo
	s_xor_b32 s40, s39, -1
	s_delay_alu instid0(VALU_DEP_1) | instskip(SKIP_1) | instid1(SALU_CYCLE_1)
	v_cmp_ge_u64_e32 vcc_lo, v[13:14], v[8:9]
	s_or_b32 vcc_lo, s40, vcc_lo
	s_and_b32 vcc_lo, exec_lo, vcc_lo
	s_delay_alu instid0(SALU_CYCLE_1) | instskip(NEXT) | instid1(SALU_CYCLE_1)
	s_or_b32 s38, vcc_lo, s38
	s_and_not1_b32 exec_lo, exec_lo, s38
	s_cbranch_execz .LBB4_9846
.LBB4_9840:                             ;   Parent Loop BB4_51 Depth=1
                                        ;     Parent Loop BB4_9625 Depth=2
                                        ;       Parent Loop BB4_9834 Depth=3
                                        ; =>      This Inner Loop Header: Depth=4
	s_sleep 1
	flat_load_b64 v[50:51], v[32:33] glc
	v_and_b32_e32 v11, 64, v30
	s_and_not1_b32 s39, s39, exec_lo
	s_mov_b32 s40, exec_lo
	s_delay_alu instid0(VALU_DEP_1)
	v_cmpx_eq_u32_e32 0, v11
	s_cbranch_execz .LBB4_9839
; %bb.9841:                             ;   in Loop: Header=BB4_9840 Depth=4
	v_add_nc_u32_e32 v11, 1, v10
	s_mov_b32 s42, -1
	s_mov_b32 s41, exec_lo
	v_cmpx_lt_i32_e32 0x270e, v10
	s_cbranch_execz .LBB4_9838
; %bb.9842:                             ;   in Loop: Header=BB4_9840 Depth=4
	s_cbranch_execnz .LBB4_10364
; %bb.9843:                             ;   in Loop: Header=BB4_9840 Depth=4
	ds_load_b64 v[10:11], v0
	s_mov_b32 s43, exec_lo
	s_waitcnt vmcnt(0) lgkmcnt(0)
	s_waitcnt_vscnt null, 0x0
	flat_load_b32 v10, v[10:11] glc
	s_waitcnt vmcnt(0) lgkmcnt(0)
	buffer_gl1_inv
	buffer_gl0_inv
	v_cmpx_ne_u32_e32 0, v10
	s_cbranch_execz .LBB4_9837
; %bb.9844:                             ;   in Loop: Header=BB4_9840 Depth=4
	ds_store_b32 v0, v10
	s_cbranch_execnz .LBB4_10444
; %bb.9845:                             ;   in Loop: Header=BB4_9840 Depth=4
	v_or_b32_e32 v30, 64, v30
	s_xor_b32 s42, exec_lo, -1
	s_branch .LBB4_9837
.LBB4_9846:                             ;   in Loop: Header=BB4_9834 Depth=3
	s_or_b32 exec_lo, exec_lo, s38
	v_and_b32_e32 v10, 12, v30
.LBB4_9847:                             ;   in Loop: Header=BB4_9834 Depth=3
	s_or_b32 exec_lo, exec_lo, s17
	s_delay_alu instid0(VALU_DEP_1)
	v_cmp_eq_u32_e32 vcc_lo, 0, v10
	;;#ASMSTART
	s_wakeup
	;;#ASMEND
	s_or_not1_b32 s17, vcc_lo, exec_lo
.LBB4_9848:                             ;   in Loop: Header=BB4_9834 Depth=3
	s_or_b32 exec_lo, exec_lo, s16
	v_sub_nc_u32_e32 v2, v15, v16
	s_xor_b32 s13, s13, -1
	s_delay_alu instid0(SALU_CYCLE_1) | instskip(NEXT) | instid1(SALU_CYCLE_1)
	s_and_b32 s13, exec_lo, s13
	s_or_b32 s15, s13, s15
	s_delay_alu instid0(VALU_DEP_1) | instskip(SKIP_1) | instid1(SALU_CYCLE_1)
	v_min_i32_e32 v12, v12, v2
	s_xor_b32 s13, s17, -1
	s_and_saveexec_b32 s16, s13
	s_cbranch_execz .LBB4_9863
; %bb.9849:                             ;   in Loop: Header=BB4_9834 Depth=3
	v_and_b32_e32 v2, 0x108, v30
	s_mov_b32 s13, exec_lo
	s_delay_alu instid0(VALU_DEP_1)
	v_cmpx_ne_u32_e32 0x108, v2
	s_xor_b32 s13, exec_lo, s13
                                        ; implicit-def: $vgpr8_vgpr9
; %bb.9850:                             ;   in Loop: Header=BB4_9834 Depth=3
	v_and_b32_e32 v8, 7, v34
; %bb.9851:                             ;   in Loop: Header=BB4_9834 Depth=3
	s_and_not1_saveexec_b32 s13, s13
	s_cbranch_execz .LBB4_9853
; %bb.9852:                             ;   in Loop: Header=BB4_9834 Depth=3
	v_and_b32_e32 v8, 7, v34
	v_ashrrev_i32_e32 v13, 31, v12
	s_delay_alu instid0(VALU_DEP_2)
	v_mad_u64_u32 v[9:10], null, v8, 24, v[6:7]
	flat_store_b64 v[9:10], v[12:13] offset:8
.LBB4_9853:                             ;   in Loop: Header=BB4_9834 Depth=3
	s_or_b32 exec_lo, exec_lo, s13
	v_and_b32_e32 v2, 0x100, v30
	s_mov_b32 s13, -1
	s_mov_b32 s17, exec_lo
                                        ; implicit-def: $vgpr9_vgpr10
	s_delay_alu instid0(VALU_DEP_1)
	v_cmpx_ne_u32_e32 0, v2
	s_cbranch_execnz .LBB4_9856
; %bb.9854:                             ;   in Loop: Header=BB4_9834 Depth=3
	s_or_b32 exec_lo, exec_lo, s17
	s_and_saveexec_b32 s17, s13
	s_cbranch_execnz .LBB4_9859
.LBB4_9855:                             ;   in Loop: Header=BB4_9834 Depth=3
	s_or_b32 exec_lo, exec_lo, s17
	s_cbranch_execnz .LBB4_10354
	s_branch .LBB4_9860
.LBB4_9856:                             ;   in Loop: Header=BB4_9834 Depth=3
	v_mad_u64_u32 v[13:14], null, v8, 24, v[6:7]
	s_mov_b32 s38, exec_lo
	s_delay_alu instid0(VALU_DEP_1) | instskip(NEXT) | instid1(VALU_DEP_1)
	v_mov_b32_e32 v2, v14
	v_mad_u64_u32 v[9:10], null, v3, 24, v[2:3]
	s_delay_alu instid0(VALU_DEP_1)
	v_mov_b32_e32 v14, v9
                                        ; implicit-def: $vgpr9_vgpr10
	flat_load_b32 v2, v[13:14]
	s_waitcnt vmcnt(0) lgkmcnt(0)
	v_cmp_ne_u32_e32 vcc_lo, 1, v2
	v_cmpx_eq_u32_e32 1, v2
	s_cbranch_execz .LBB4_9858
; %bb.9857:                             ;   in Loop: Header=BB4_9834 Depth=3
	flat_load_b32 v9, v[13:14] offset:4 glc
	s_waitcnt vmcnt(0) lgkmcnt(0)
	v_ashrrev_i32_e32 v10, 31, v9
.LBB4_9858:                             ;   in Loop: Header=BB4_9834 Depth=3
	s_or_b32 exec_lo, exec_lo, s38
	s_delay_alu instid0(SALU_CYCLE_1)
	s_or_not1_b32 s13, vcc_lo, exec_lo
	s_or_b32 exec_lo, exec_lo, s17
	s_and_saveexec_b32 s17, s13
	s_cbranch_execz .LBB4_9855
.LBB4_9859:                             ;   in Loop: Header=BB4_9834 Depth=3
	v_mul_lo_u32 v2, v3, v86
	v_mul_lo_u32 v11, v8, v96
	v_mad_u64_u32 v[9:10], null, v8, v86, 0
	s_delay_alu instid0(VALU_DEP_1)
	v_add3_u32 v10, v10, v11, v2
	s_or_b32 exec_lo, exec_lo, s17
	s_cbranch_execnz .LBB4_10354
.LBB4_9860:                             ;   in Loop: Header=BB4_9834 Depth=3
	s_delay_alu instid0(VALU_DEP_2)
	v_add_co_u32 v8, vcc_lo, v36, v9
	v_and_b32_e32 v2, 0x2000, v30
	v_add_co_ci_u32_e32 v9, vcc_lo, v37, v10, vcc_lo
	s_mov_b32 s13, exec_lo
	ds_store_b64 v0, v[8:9]
	v_cmpx_ne_u32_e32 0, v2
	s_cbranch_execz .LBB4_9862
; %bb.9861:                             ;   in Loop: Header=BB4_9834 Depth=3
	ds_load_b64 v[8:9], v0 offset:584
	s_waitcnt lgkmcnt(0)
	v_add_co_u32 v8, vcc_lo, v8, 1
	v_add_co_ci_u32_e32 v9, vcc_lo, 0, v9, vcc_lo
	ds_store_b64 v0, v[8:9] offset:584
.LBB4_9862:                             ;   in Loop: Header=BB4_9834 Depth=3
	s_or_b32 exec_lo, exec_lo, s13
	v_add_co_u32 v34, vcc_lo, v34, 2
	v_add_co_ci_u32_e32 v35, vcc_lo, 0, v35, vcc_lo
.LBB4_9863:                             ;   in Loop: Header=BB4_9834 Depth=3
	s_or_b32 exec_lo, exec_lo, s16
	s_and_saveexec_b32 s13, s3
	s_cbranch_execz .LBB4_9885
; %bb.9864:                             ;   in Loop: Header=BB4_9834 Depth=3
	s_and_saveexec_b32 s16, s4
	s_delay_alu instid0(SALU_CYCLE_1)
	s_xor_b32 s16, exec_lo, s16
	s_cbranch_execz .LBB4_9882
; %bb.9865:                             ;   in Loop: Header=BB4_9834 Depth=3
	s_and_saveexec_b32 s17, s1
	s_cbranch_execz .LBB4_9881
; %bb.9866:                             ;   in Loop: Header=BB4_9834 Depth=3
	s_mov_b32 s39, exec_lo
	s_mov_b32 s38, exec_lo
	v_mbcnt_lo_u32_b32 v2, s39, 0
	s_waitcnt lgkmcnt(0)
	s_waitcnt_vscnt null, 0x0
	buffer_gl1_inv
	buffer_gl0_inv
	v_cmpx_eq_u32_e32 0, v2
	s_cbranch_execz .LBB4_9868
; %bb.9867:                             ;   in Loop: Header=BB4_9834 Depth=3
	s_bcnt1_i32_b32 vcc_lo, s39
	s_delay_alu instid0(SALU_CYCLE_1)
	v_mov_b32_e32 v2, vcc_lo
	ds_add_u64 v0, v[2:3]
	s_cbranch_execnz .LBB4_10500
.LBB4_9868:                             ;   in Loop: Header=BB4_9834 Depth=3
	s_or_b32 exec_lo, exec_lo, s38
	s_cbranch_execnz .LBB4_10468
; %bb.9869:                             ;   in Loop: Header=BB4_9834 Depth=3
	ds_load_b64 v[8:9], v0
	v_add_co_u32 v48, vcc_lo, v48, v97
	v_add_co_ci_u32_e32 v49, vcc_lo, 0, v49, vcc_lo
	s_mov_b32 s38, exec_lo
	s_waitcnt lgkmcnt(0)
	s_delay_alu instid0(VALU_DEP_1)
	v_cmpx_lt_u64_e64 v[8:9], v[48:49]
	s_cbranch_execz .LBB4_9880
; %bb.9870:                             ;   in Loop: Header=BB4_9834 Depth=3
	s_mov_b32 s39, 0
	s_mov_b32 s42, 0
                                        ; implicit-def: $sgpr40
                                        ; implicit-def: $sgpr41
	s_branch .LBB4_9872
.LBB4_9871:                             ;   in Loop: Header=BB4_9872 Depth=4
	s_or_b32 exec_lo, exec_lo, s44
	s_delay_alu instid0(SALU_CYCLE_1) | instskip(NEXT) | instid1(SALU_CYCLE_1)
	s_and_b32 vcc_lo, exec_lo, vcc_lo
	s_or_b32 s39, vcc_lo, s39
	s_and_not1_b32 vcc_lo, s40, exec_lo
	s_and_b32 s40, s41, exec_lo
	s_delay_alu instid0(SALU_CYCLE_1)
	s_or_b32 s40, vcc_lo, s40
	s_and_not1_b32 exec_lo, exec_lo, s39
	s_cbranch_execz .LBB4_9878
.LBB4_9872:                             ;   Parent Loop BB4_51 Depth=1
                                        ;     Parent Loop BB4_9625 Depth=2
                                        ;       Parent Loop BB4_9834 Depth=3
                                        ; =>      This Inner Loop Header: Depth=4
	s_add_i32 s42, s42, 1
                                        ; implicit-def: $sgpr44
	s_delay_alu instid0(SALU_CYCLE_1) | instskip(SKIP_1) | instid1(SALU_CYCLE_1)
	s_cmpk_lg_i32 s42, 0x2710
	s_cselect_b32 s43, -1, 0
	s_and_b32 vcc_lo, exec_lo, s43
	s_cbranch_vccz .LBB4_9876
.LBB4_9873:                             ;   in Loop: Header=BB4_9872 Depth=4
	s_and_not1_b32 s41, s41, exec_lo
	s_and_b32 s44, s44, exec_lo
	s_mov_b32 vcc_lo, -1
	s_or_b32 s41, s41, s44
	s_and_saveexec_b32 s44, s43
	s_cbranch_execz .LBB4_9871
; %bb.9874:                             ;   in Loop: Header=BB4_9872 Depth=4
	s_sleep 1
	s_cbranch_execnz .LBB4_10548
; %bb.9875:                             ;   in Loop: Header=BB4_9872 Depth=4
	ds_load_b64 v[8:9], v0
	s_and_not1_b32 s41, s41, exec_lo
	s_waitcnt lgkmcnt(0)
	v_cmp_ge_u64_e32 vcc_lo, v[8:9], v[48:49]
	s_or_not1_b32 vcc_lo, vcc_lo, exec_lo
	s_branch .LBB4_9871
.LBB4_9876:                             ;   in Loop: Header=BB4_9872 Depth=4
	s_cbranch_execnz .LBB4_10570
; %bb.9877:                             ;   in Loop: Header=BB4_9872 Depth=4
	ds_load_b64 v[8:9], v0
	s_and_not1_b32 s43, s43, exec_lo
	s_mov_b32 s42, 0
	s_mov_b32 s44, -1
	s_waitcnt lgkmcnt(0)
	flat_load_b32 v2, v[8:9] glc
	s_waitcnt vmcnt(0) lgkmcnt(0)
	buffer_gl1_inv
	buffer_gl0_inv
	v_cmp_eq_u32_e32 vcc_lo, 0, v2
	s_and_b32 vcc_lo, vcc_lo, exec_lo
	s_delay_alu instid0(SALU_CYCLE_1)
	s_or_b32 s43, s43, vcc_lo
	s_branch .LBB4_9873
.LBB4_9878:                             ;   in Loop: Header=BB4_9834 Depth=3
	s_or_b32 exec_lo, exec_lo, s39
	s_and_saveexec_b32 vcc_lo, s40
	s_delay_alu instid0(SALU_CYCLE_1)
	s_xor_b32 vcc_lo, exec_lo, vcc_lo
	s_cbranch_execz .LBB4_9880
; %bb.9879:                             ;   in Loop: Header=BB4_9834 Depth=3
	ds_store_b32 v0, v134
	s_cbranch_execnz .LBB4_10684
.LBB4_9880:                             ;   in Loop: Header=BB4_9834 Depth=3
	s_or_b32 exec_lo, exec_lo, s38
	;;#ASMSTART
	s_wakeup
	;;#ASMEND
.LBB4_9881:                             ;   in Loop: Header=BB4_9834 Depth=3
	s_or_b32 exec_lo, exec_lo, s17
.LBB4_9882:                             ;   in Loop: Header=BB4_9834 Depth=3
	s_and_not1_saveexec_b32 s16, s16
	s_cbranch_execz .LBB4_9884
; %bb.9883:                             ;   in Loop: Header=BB4_9834 Depth=3
	s_waitcnt lgkmcnt(0)
	s_waitcnt_vscnt null, 0x0
	buffer_gl1_inv
	buffer_gl0_inv
	s_barrier
.LBB4_9884:                             ;   in Loop: Header=BB4_9834 Depth=3
	s_or_b32 exec_lo, exec_lo, s16
.LBB4_9885:                             ;   in Loop: Header=BB4_9834 Depth=3
	s_delay_alu instid0(SALU_CYCLE_1) | instskip(SKIP_1) | instid1(SALU_CYCLE_1)
	s_or_b32 exec_lo, exec_lo, s13
                                        ; implicit-def: $vgpr2
	s_and_saveexec_b32 s13, s7
	s_xor_b32 s16, exec_lo, s13
	s_cbranch_execz .LBB4_9890
; %bb.9886:                             ;   in Loop: Header=BB4_9834 Depth=3
	s_cbranch_execnz .LBB4_10386
; %bb.9887:                             ;   in Loop: Header=BB4_9834 Depth=3
	ds_load_b32 v2, v0
	v_cmp_lt_i32_e32 vcc_lo, 0, v12
	s_waitcnt lgkmcnt(0)
	v_readfirstlane_b32 s13, v2
	v_and_b32_e32 v2, 16, v30
	s_delay_alu instid0(VALU_DEP_2) | instskip(NEXT) | instid1(VALU_DEP_1)
	s_cmp_eq_u32 s13, 0
	v_cmp_ne_u32_e64 s13, 0, v2
	s_cselect_b32 s17, -1, 0
	v_and_b32_e32 v2, 16, v30
	s_and_b32 s17, vcc_lo, s17
	s_delay_alu instid0(VALU_DEP_2) | instid1(SALU_CYCLE_1)
	s_and_b32 s17, s13, s17
	s_delay_alu instid0(SALU_CYCLE_1)
	s_and_saveexec_b32 s13, s17
	s_cbranch_execz .LBB4_9889
; %bb.9888:                             ;   in Loop: Header=BB4_9834 Depth=3
	v_mov_b32_e32 v2, 1
	s_waitcnt_vscnt null, 0x0
	buffer_gl1_inv
	buffer_gl0_inv
.LBB4_9889:                             ;   in Loop: Header=BB4_9834 Depth=3
	s_or_b32 exec_lo, exec_lo, s13
.LBB4_9890:                             ;   in Loop: Header=BB4_9834 Depth=3
	s_and_not1_saveexec_b32 s13, s16
	s_cbranch_execz .LBB4_9912
; %bb.9891:                             ;   in Loop: Header=BB4_9834 Depth=3
	s_and_saveexec_b32 s16, s4
	s_delay_alu instid0(SALU_CYCLE_1)
	s_xor_b32 s16, exec_lo, s16
	s_cbranch_execz .LBB4_9909
; %bb.9892:                             ;   in Loop: Header=BB4_9834 Depth=3
	s_and_saveexec_b32 s17, s1
	s_cbranch_execz .LBB4_9908
; %bb.9893:                             ;   in Loop: Header=BB4_9834 Depth=3
	s_mov_b32 s39, exec_lo
	s_mov_b32 s38, exec_lo
	v_mbcnt_lo_u32_b32 v2, s39, 0
	;;#ASMSTART
	s_waitcnt lgkmcnt(0) vmcnt(0)
	;;#ASMEND
	s_delay_alu instid0(VALU_DEP_1)
	v_cmpx_eq_u32_e32 0, v2
	s_cbranch_execz .LBB4_9895
; %bb.9894:                             ;   in Loop: Header=BB4_9834 Depth=3
	s_bcnt1_i32_b32 vcc_lo, s39
	s_delay_alu instid0(SALU_CYCLE_1)
	v_mov_b32_e32 v2, vcc_lo
	ds_add_u64 v0, v[2:3]
	s_cbranch_execnz .LBB4_10520
.LBB4_9895:                             ;   in Loop: Header=BB4_9834 Depth=3
	s_or_b32 exec_lo, exec_lo, s38
	s_cbranch_execnz .LBB4_10498
; %bb.9896:                             ;   in Loop: Header=BB4_9834 Depth=3
	ds_load_b64 v[8:9], v0
	v_add_co_u32 v48, vcc_lo, v48, v97
	v_add_co_ci_u32_e32 v49, vcc_lo, 0, v49, vcc_lo
	s_mov_b32 s38, exec_lo
	s_waitcnt lgkmcnt(0)
	s_delay_alu instid0(VALU_DEP_1)
	v_cmpx_lt_u64_e64 v[8:9], v[48:49]
	s_cbranch_execz .LBB4_9907
; %bb.9897:                             ;   in Loop: Header=BB4_9834 Depth=3
	s_mov_b32 s39, 0
	s_mov_b32 s42, 0
                                        ; implicit-def: $sgpr40
                                        ; implicit-def: $sgpr41
	s_branch .LBB4_9899
.LBB4_9898:                             ;   in Loop: Header=BB4_9899 Depth=4
	s_or_b32 exec_lo, exec_lo, s44
	s_delay_alu instid0(SALU_CYCLE_1) | instskip(NEXT) | instid1(SALU_CYCLE_1)
	s_and_b32 vcc_lo, exec_lo, vcc_lo
	s_or_b32 s39, vcc_lo, s39
	s_and_not1_b32 vcc_lo, s40, exec_lo
	s_and_b32 s40, s41, exec_lo
	s_delay_alu instid0(SALU_CYCLE_1)
	s_or_b32 s40, vcc_lo, s40
	s_and_not1_b32 exec_lo, exec_lo, s39
	s_cbranch_execz .LBB4_9905
.LBB4_9899:                             ;   Parent Loop BB4_51 Depth=1
                                        ;     Parent Loop BB4_9625 Depth=2
                                        ;       Parent Loop BB4_9834 Depth=3
                                        ; =>      This Inner Loop Header: Depth=4
	s_add_i32 s42, s42, 1
                                        ; implicit-def: $sgpr44
	s_delay_alu instid0(SALU_CYCLE_1) | instskip(SKIP_1) | instid1(SALU_CYCLE_1)
	s_cmpk_lg_i32 s42, 0x2710
	s_cselect_b32 s43, -1, 0
	s_and_b32 vcc_lo, exec_lo, s43
	s_cbranch_vccz .LBB4_9903
.LBB4_9900:                             ;   in Loop: Header=BB4_9899 Depth=4
	s_and_not1_b32 s41, s41, exec_lo
	s_and_b32 s44, s44, exec_lo
	s_mov_b32 vcc_lo, -1
	s_or_b32 s41, s41, s44
	s_and_saveexec_b32 s44, s43
	s_cbranch_execz .LBB4_9898
; %bb.9901:                             ;   in Loop: Header=BB4_9899 Depth=4
	s_sleep 1
	s_cbranch_execnz .LBB4_10580
; %bb.9902:                             ;   in Loop: Header=BB4_9899 Depth=4
	ds_load_b64 v[8:9], v0
	s_and_not1_b32 s41, s41, exec_lo
	s_waitcnt lgkmcnt(0)
	v_cmp_ge_u64_e32 vcc_lo, v[8:9], v[48:49]
	s_or_not1_b32 vcc_lo, vcc_lo, exec_lo
	s_branch .LBB4_9898
.LBB4_9903:                             ;   in Loop: Header=BB4_9899 Depth=4
	s_cbranch_execnz .LBB4_10594
; %bb.9904:                             ;   in Loop: Header=BB4_9899 Depth=4
	ds_load_b64 v[8:9], v0
	s_and_not1_b32 s43, s43, exec_lo
	s_mov_b32 s42, 0
	s_mov_b32 s44, -1
	s_waitcnt lgkmcnt(0)
	s_waitcnt_vscnt null, 0x0
	flat_load_b32 v2, v[8:9] glc
	s_waitcnt vmcnt(0) lgkmcnt(0)
	buffer_gl1_inv
	buffer_gl0_inv
	v_cmp_eq_u32_e32 vcc_lo, 0, v2
	s_and_b32 vcc_lo, vcc_lo, exec_lo
	s_delay_alu instid0(SALU_CYCLE_1)
	s_or_b32 s43, s43, vcc_lo
	s_branch .LBB4_9900
.LBB4_9905:                             ;   in Loop: Header=BB4_9834 Depth=3
	s_or_b32 exec_lo, exec_lo, s39
	s_and_saveexec_b32 vcc_lo, s40
	s_delay_alu instid0(SALU_CYCLE_1)
	s_xor_b32 vcc_lo, exec_lo, vcc_lo
	s_cbranch_execz .LBB4_9907
; %bb.9906:                             ;   in Loop: Header=BB4_9834 Depth=3
	ds_store_b32 v0, v134
	s_cbranch_execnz .LBB4_10694
.LBB4_9907:                             ;   in Loop: Header=BB4_9834 Depth=3
	s_or_b32 exec_lo, exec_lo, s38
	;;#ASMSTART
	s_wakeup
	;;#ASMEND
.LBB4_9908:                             ;   in Loop: Header=BB4_9834 Depth=3
	s_or_b32 exec_lo, exec_lo, s17
.LBB4_9909:                             ;   in Loop: Header=BB4_9834 Depth=3
	s_and_not1_saveexec_b32 s16, s16
	s_cbranch_execz .LBB4_9911
; %bb.9910:                             ;   in Loop: Header=BB4_9834 Depth=3
	;;#ASMSTART
	s_waitcnt lgkmcnt(0) vmcnt(0)
	;;#ASMEND
	s_waitcnt lgkmcnt(0)
	s_waitcnt_vscnt null, 0x0
	s_barrier
.LBB4_9911:                             ;   in Loop: Header=BB4_9834 Depth=3
	s_or_b32 exec_lo, exec_lo, s16
	v_and_b32_e32 v2, 16, v30
.LBB4_9912:                             ;   in Loop: Header=BB4_9834 Depth=3
	s_or_b32 exec_lo, exec_lo, s13
	s_delay_alu instid0(VALU_DEP_1) | instskip(SKIP_1) | instid1(SALU_CYCLE_1)
	v_cmp_ne_u32_e32 vcc_lo, 0, v2
	s_xor_b32 s13, s10, -1
	s_and_b32 s16, vcc_lo, s13
	s_delay_alu instid0(SALU_CYCLE_1)
	s_and_saveexec_b32 s13, s16
	s_cbranch_execz .LBB4_9914
; %bb.9913:                             ;   in Loop: Header=BB4_9834 Depth=3
	s_waitcnt lgkmcnt(0)
	s_waitcnt_vscnt null, 0x0
	flat_store_b32 v[38:39], v134
.LBB4_9914:                             ;   in Loop: Header=BB4_9834 Depth=3
	s_or_b32 exec_lo, exec_lo, s13
	v_and_b32_e32 v2, 48, v30
	s_mov_b32 s13, exec_lo
	s_delay_alu instid0(VALU_DEP_1)
	v_cmpx_ne_u32_e32 0, v2
	s_cbranch_execz .LBB4_9916
; %bb.9915:                             ;   in Loop: Header=BB4_9834 Depth=3
	v_add_co_u32 v34, vcc_lo, v34, 2
	v_add_co_ci_u32_e32 v35, vcc_lo, 0, v35, vcc_lo
	s_waitcnt lgkmcnt(0)
	s_waitcnt_vscnt null, 0x0
	flat_store_b64 v[32:33], v[34:35]
.LBB4_9916:                             ;   in Loop: Header=BB4_9834 Depth=3
	s_or_b32 exec_lo, exec_lo, s13
	v_add_nc_u32_e32 v16, v12, v16
	s_mov_b32 s13, 0
	s_and_not1_b32 exec_lo, exec_lo, s15
	s_cbranch_execnz .LBB4_9834
; %bb.9917:                             ;   in Loop: Header=BB4_9625 Depth=2
	s_or_b32 exec_lo, exec_lo, s15
.LBB4_9918:                             ;   in Loop: Header=BB4_9625 Depth=2
	s_delay_alu instid0(SALU_CYCLE_1)
	s_or_b32 exec_lo, exec_lo, s14
	s_add_i32 s13, s37, 1
	s_cmp_eq_u32 s37, s31
	s_cbranch_scc1 .LBB4_9920
; %bb.9919:                             ;   in Loop: Header=BB4_9625 Depth=2
	s_mov_b32 s37, s13
	s_branch .LBB4_9625
.LBB4_9920:                             ;   in Loop: Header=BB4_51 Depth=1
	s_mov_b32 s13, s36
	v_mul_lo_u32 v10, v64, s34
	v_mul_lo_u32 v2, v65, s13
	v_mad_u64_u32 v[8:9], null, v64, s13, 0
	v_mov_b32_e32 v14, 0
	s_mov_b32 s16, 0
	s_delay_alu instid0(VALU_DEP_2) | instskip(NEXT) | instid1(VALU_DEP_3)
	v_add3_u32 v9, v9, v10, v2
	v_sub_co_u32 v10, vcc_lo, v66, v8
	s_delay_alu instid0(VALU_DEP_2) | instskip(NEXT) | instid1(VALU_DEP_1)
	v_sub_co_ci_u32_e32 v11, vcc_lo, v67, v9, vcc_lo
	v_cmp_lt_i64_e32 vcc_lo, v[64:65], v[10:11]
	v_cndmask_b32_e32 v10, v10, v64, vcc_lo
	s_delay_alu instid0(VALU_DEP_1) | instskip(NEXT) | instid1(VALU_DEP_1)
	v_max_i32_e32 v12, 0, v10
	v_add_nc_u32_e32 v2, 31, v12
	s_delay_alu instid0(VALU_DEP_1) | instskip(NEXT) | instid1(VALU_DEP_1)
	v_lshrrev_b32_e32 v2, 1, v2
	v_and_b32_e32 v11, 0x3ffffff0, v2
	v_cmp_lt_i32_e32 vcc_lo, 0, v10
	v_mov_b32_e32 v2, 0
	s_delay_alu instid0(VALU_DEP_3) | instskip(SKIP_1) | instid1(SALU_CYCLE_1)
	v_max_i32_e32 v13, s28, v11
	s_and_b32 s13, s30, vcc_lo
	s_and_saveexec_b32 s15, s13
	s_cbranch_execz .LBB4_10081
; %bb.9921:                             ;   in Loop: Header=BB4_51 Depth=1
	v_add_co_u32 v15, vcc_lo, v8, v135
	s_waitcnt vmcnt(0) lgkmcnt(1)
	v_add_co_ci_u32_e32 v16, vcc_lo, v9, v144, vcc_lo
	v_mov_b32_e32 v14, 0
	s_mov_b32 s37, 1
	s_mov_b32 s17, -1
.LBB4_9922:                             ;   Parent Loop BB4_51 Depth=1
                                        ; =>  This Loop Header: Depth=2
                                        ;       Child Loop BB4_9931 Depth 3
                                        ;       Child Loop BB4_9958 Depth 3
	;; [unrolled: 1-line block ×9, first 2 shown]
	s_and_saveexec_b32 s14, s0
	s_cbranch_execz .LBB4_9925
; %bb.9923:                             ;   in Loop: Header=BB4_9922 Depth=2
	s_cbranch_execnz .LBB4_10336
; %bb.9924:                             ;   in Loop: Header=BB4_9922 Depth=2
	ds_load_b128 v[8:11], v0
	v_ashrrev_i32_e32 v2, 31, v14
	s_waitcnt lgkmcnt(0)
	v_add_co_u32 v17, vcc_lo, v10, v15
	v_add_co_ci_u32_e32 v18, vcc_lo, v11, v16, vcc_lo
	v_add_co_u32 v8, vcc_lo, v8, v15
	v_add_co_ci_u32_e32 v9, vcc_lo, v9, v16, vcc_lo
	s_delay_alu instid0(VALU_DEP_4) | instskip(NEXT) | instid1(VALU_DEP_4)
	v_add_co_u32 v17, vcc_lo, v17, v14
	v_add_co_ci_u32_e32 v18, vcc_lo, v18, v2, vcc_lo
	v_cmp_ne_u64_e32 vcc_lo, 0, v[10:11]
	v_add_co_u32 v8, s13, v8, v14
	s_delay_alu instid0(VALU_DEP_1) | instskip(NEXT) | instid1(VALU_DEP_4)
	v_add_co_ci_u32_e64 v9, s13, v9, v2, s13
	v_dual_cndmask_b32 v11, 0, v18 :: v_dual_cndmask_b32 v10, 0, v17
	ds_store_b64 v0, v[8:9]
	ds_store_b64 v0, v[10:11]
.LBB4_9925:                             ;   in Loop: Header=BB4_9922 Depth=2
	s_or_b32 exec_lo, exec_lo, s14
	v_and_b32_e32 v2, 4, v30
	s_mov_b32 s14, -1
	s_mov_b32 s13, exec_lo
	s_delay_alu instid0(VALU_DEP_1)
	v_cmpx_ne_u32_e32 0, v2
	s_cbranch_execz .LBB4_9939
; %bb.9926:                             ;   in Loop: Header=BB4_9922 Depth=2
	v_add_co_u32 v8, vcc_lo, v34, 2
	v_add_co_ci_u32_e32 v9, vcc_lo, 0, v35, vcc_lo
	v_mov_b32_e32 v2, 1
	s_mov_b32 s14, exec_lo
	s_delay_alu instid0(VALU_DEP_2)
	v_cmpx_lt_u64_e64 v[50:51], v[8:9]
	s_cbranch_execz .LBB4_9938
; %bb.9927:                             ;   in Loop: Header=BB4_9922 Depth=2
	v_mov_b32_e32 v2, 0
	s_mov_b32 s38, 0
                                        ; implicit-def: $sgpr39
	s_branch .LBB4_9931
.LBB4_9928:                             ;   in Loop: Header=BB4_9931 Depth=3
	s_or_b32 exec_lo, exec_lo, s43
	v_mov_b32_e32 v10, 0
	s_or_not1_b32 s42, s42, exec_lo
.LBB4_9929:                             ;   in Loop: Header=BB4_9931 Depth=3
	s_or_b32 exec_lo, exec_lo, s41
	s_delay_alu instid0(VALU_DEP_1) | instskip(SKIP_2) | instid1(SALU_CYCLE_1)
	v_mov_b32_e32 v2, v10
	s_and_not1_b32 vcc_lo, s39, exec_lo
	s_and_b32 s39, s42, exec_lo
	s_or_b32 s39, vcc_lo, s39
.LBB4_9930:                             ;   in Loop: Header=BB4_9931 Depth=3
	s_or_b32 exec_lo, exec_lo, s40
	s_waitcnt vmcnt(0) lgkmcnt(0)
	v_cmp_ge_u64_e32 vcc_lo, v[50:51], v[8:9]
	s_xor_b32 s40, s39, -1
	s_delay_alu instid0(SALU_CYCLE_1) | instskip(NEXT) | instid1(SALU_CYCLE_1)
	s_or_b32 vcc_lo, s40, vcc_lo
	s_and_b32 vcc_lo, exec_lo, vcc_lo
	s_delay_alu instid0(SALU_CYCLE_1) | instskip(NEXT) | instid1(SALU_CYCLE_1)
	s_or_b32 s38, vcc_lo, s38
	s_and_not1_b32 exec_lo, exec_lo, s38
	s_cbranch_execz .LBB4_9937
.LBB4_9931:                             ;   Parent Loop BB4_51 Depth=1
                                        ;     Parent Loop BB4_9922 Depth=2
                                        ; =>    This Inner Loop Header: Depth=3
	s_sleep 1
	flat_load_b64 v[50:51], v[32:33] glc
	v_and_b32_e32 v10, 64, v30
	s_and_not1_b32 s39, s39, exec_lo
	s_mov_b32 s40, exec_lo
	s_delay_alu instid0(VALU_DEP_1)
	v_cmpx_eq_u32_e32 0, v10
	s_cbranch_execz .LBB4_9930
; %bb.9932:                             ;   in Loop: Header=BB4_9931 Depth=3
	v_add_nc_u32_e32 v10, 1, v2
	s_mov_b32 s42, -1
	s_mov_b32 s41, exec_lo
	v_cmpx_lt_i32_e32 0x270e, v2
	s_cbranch_execz .LBB4_9929
; %bb.9933:                             ;   in Loop: Header=BB4_9931 Depth=3
	s_cbranch_execnz .LBB4_10382
; %bb.9934:                             ;   in Loop: Header=BB4_9931 Depth=3
	ds_load_b64 v[10:11], v0
	s_mov_b32 s43, exec_lo
	s_waitcnt vmcnt(0) lgkmcnt(0)
	s_waitcnt_vscnt null, 0x0
	flat_load_b32 v2, v[10:11] glc
	s_waitcnt vmcnt(0) lgkmcnt(0)
	buffer_gl1_inv
	buffer_gl0_inv
	v_cmpx_ne_u32_e32 0, v2
	s_cbranch_execz .LBB4_9928
; %bb.9935:                             ;   in Loop: Header=BB4_9931 Depth=3
	ds_store_b32 v0, v2
	s_cbranch_execnz .LBB4_10452
; %bb.9936:                             ;   in Loop: Header=BB4_9931 Depth=3
	v_or_b32_e32 v30, 64, v30
	s_xor_b32 s42, exec_lo, -1
	s_branch .LBB4_9928
.LBB4_9937:                             ;   in Loop: Header=BB4_9922 Depth=2
	s_or_b32 exec_lo, exec_lo, s38
	v_and_b32_e32 v2, 4, v30
.LBB4_9938:                             ;   in Loop: Header=BB4_9922 Depth=2
	s_or_b32 exec_lo, exec_lo, s14
	s_delay_alu instid0(VALU_DEP_1)
	v_cmp_eq_u32_e32 vcc_lo, 0, v2
	;;#ASMSTART
	s_wakeup
	;;#ASMEND
	s_or_not1_b32 s14, vcc_lo, exec_lo
.LBB4_9939:                             ;   in Loop: Header=BB4_9922 Depth=2
	s_or_b32 exec_lo, exec_lo, s13
	s_xor_b32 s13, s14, -1
	s_delay_alu instid0(SALU_CYCLE_1)
	s_and_saveexec_b32 s14, s13
	s_cbranch_execz .LBB4_9949
; %bb.9940:                             ;   in Loop: Header=BB4_9922 Depth=2
	v_and_b32_e32 v2, 0x100, v30
	s_mov_b32 s13, -1
                                        ; implicit-def: $vgpr8_vgpr9
	s_delay_alu instid0(VALU_DEP_1)
	v_cmp_ne_u32_e32 vcc_lo, 0, v2
	v_and_b32_e32 v2, 7, v34
	s_and_saveexec_b32 s38, vcc_lo
	s_cbranch_execz .LBB4_9944
; %bb.9941:                             ;   in Loop: Header=BB4_9922 Depth=2
	s_delay_alu instid0(VALU_DEP_1) | instskip(SKIP_4) | instid1(VALU_DEP_1)
	v_mad_u64_u32 v[10:11], null, v2, 24, v[6:7]
	flat_load_b32 v8, v[10:11]
	s_waitcnt vmcnt(0) lgkmcnt(0)
	v_cmp_ne_u32_e32 vcc_lo, 1, v8
	v_cmp_eq_u32_e64 s13, 1, v8
                                        ; implicit-def: $vgpr8_vgpr9
	s_and_saveexec_b32 s39, s13
	s_cbranch_execz .LBB4_9943
; %bb.9942:                             ;   in Loop: Header=BB4_9922 Depth=2
	flat_load_b32 v8, v[10:11] offset:4 glc
	s_waitcnt vmcnt(0) lgkmcnt(0)
	v_ashrrev_i32_e32 v9, 31, v8
.LBB4_9943:                             ;   in Loop: Header=BB4_9922 Depth=2
	s_or_b32 exec_lo, exec_lo, s39
	s_delay_alu instid0(SALU_CYCLE_1)
	s_or_not1_b32 s13, vcc_lo, exec_lo
.LBB4_9944:                             ;   in Loop: Header=BB4_9922 Depth=2
	s_or_b32 exec_lo, exec_lo, s38
	s_and_saveexec_b32 vcc_lo, s13
; %bb.9945:                             ;   in Loop: Header=BB4_9922 Depth=2
	v_mad_i64_i32 v[8:9], null, v2, v86, 0
; %bb.9946:                             ;   in Loop: Header=BB4_9922 Depth=2
	s_or_b32 exec_lo, exec_lo, vcc_lo
	s_delay_alu instid0(VALU_DEP_1) | instskip(SKIP_1) | instid1(VALU_DEP_3)
	v_add_co_u32 v8, vcc_lo, v36, v8
	v_and_b32_e32 v2, 0x2000, v30
	v_add_co_ci_u32_e32 v9, vcc_lo, v37, v9, vcc_lo
	s_mov_b32 s13, exec_lo
	ds_store_b64 v0, v[8:9] offset:720
	v_cmpx_ne_u32_e32 0, v2
	s_cbranch_execz .LBB4_9948
; %bb.9947:                             ;   in Loop: Header=BB4_9922 Depth=2
	ds_load_b64 v[8:9], v0 offset:584
	s_waitcnt lgkmcnt(0)
	v_add_co_u32 v8, vcc_lo, v8, 1
	v_add_co_ci_u32_e32 v9, vcc_lo, 0, v9, vcc_lo
	ds_store_b64 v0, v[8:9] offset:584
.LBB4_9948:                             ;   in Loop: Header=BB4_9922 Depth=2
	s_or_b32 exec_lo, exec_lo, s13
	v_add_co_u32 v34, vcc_lo, v34, 2
	v_add_co_ci_u32_e32 v35, vcc_lo, 0, v35, vcc_lo
.LBB4_9949:                             ;   in Loop: Header=BB4_9922 Depth=2
	s_or_b32 exec_lo, exec_lo, s14
	s_and_saveexec_b32 s13, s3
	s_cbranch_execz .LBB4_9971
; %bb.9950:                             ;   in Loop: Header=BB4_9922 Depth=2
	s_and_saveexec_b32 s14, s4
	s_delay_alu instid0(SALU_CYCLE_1)
	s_xor_b32 s14, exec_lo, s14
	s_cbranch_execz .LBB4_9968
; %bb.9951:                             ;   in Loop: Header=BB4_9922 Depth=2
	s_and_saveexec_b32 s38, s1
	s_cbranch_execz .LBB4_9967
; %bb.9952:                             ;   in Loop: Header=BB4_9922 Depth=2
	s_mov_b32 s40, exec_lo
	s_mov_b32 s39, exec_lo
	v_mbcnt_lo_u32_b32 v2, s40, 0
	s_waitcnt lgkmcnt(0)
	s_waitcnt_vscnt null, 0x0
	buffer_gl1_inv
	buffer_gl0_inv
	v_cmpx_eq_u32_e32 0, v2
	s_cbranch_execz .LBB4_9954
; %bb.9953:                             ;   in Loop: Header=BB4_9922 Depth=2
	s_bcnt1_i32_b32 vcc_lo, s40
	s_delay_alu instid0(SALU_CYCLE_1)
	v_mov_b32_e32 v2, vcc_lo
	ds_add_u64 v0, v[2:3]
	s_cbranch_execnz .LBB4_10494
.LBB4_9954:                             ;   in Loop: Header=BB4_9922 Depth=2
	s_or_b32 exec_lo, exec_lo, s39
	s_cbranch_execnz .LBB4_10462
; %bb.9955:                             ;   in Loop: Header=BB4_9922 Depth=2
	ds_load_b64 v[8:9], v0
	v_add_co_u32 v48, vcc_lo, v48, v97
	v_add_co_ci_u32_e32 v49, vcc_lo, 0, v49, vcc_lo
	s_mov_b32 s39, exec_lo
	s_waitcnt lgkmcnt(0)
	s_delay_alu instid0(VALU_DEP_1)
	v_cmpx_lt_u64_e64 v[8:9], v[48:49]
	s_cbranch_execz .LBB4_9966
; %bb.9956:                             ;   in Loop: Header=BB4_9922 Depth=2
	s_mov_b32 s40, 0
	s_mov_b32 s43, 0
                                        ; implicit-def: $sgpr41
                                        ; implicit-def: $sgpr42
	s_branch .LBB4_9958
.LBB4_9957:                             ;   in Loop: Header=BB4_9958 Depth=3
	s_or_b32 exec_lo, exec_lo, s45
	s_delay_alu instid0(SALU_CYCLE_1) | instskip(NEXT) | instid1(SALU_CYCLE_1)
	s_and_b32 vcc_lo, exec_lo, vcc_lo
	s_or_b32 s40, vcc_lo, s40
	s_and_not1_b32 vcc_lo, s41, exec_lo
	s_and_b32 s41, s42, exec_lo
	s_delay_alu instid0(SALU_CYCLE_1)
	s_or_b32 s41, vcc_lo, s41
	s_and_not1_b32 exec_lo, exec_lo, s40
	s_cbranch_execz .LBB4_9964
.LBB4_9958:                             ;   Parent Loop BB4_51 Depth=1
                                        ;     Parent Loop BB4_9922 Depth=2
                                        ; =>    This Inner Loop Header: Depth=3
	s_add_i32 s43, s43, 1
                                        ; implicit-def: $sgpr45
	s_delay_alu instid0(SALU_CYCLE_1) | instskip(SKIP_1) | instid1(SALU_CYCLE_1)
	s_cmpk_lg_i32 s43, 0x2710
	s_cselect_b32 s44, -1, 0
	s_and_b32 vcc_lo, exec_lo, s44
	s_cbranch_vccz .LBB4_9962
.LBB4_9959:                             ;   in Loop: Header=BB4_9958 Depth=3
	s_and_not1_b32 s42, s42, exec_lo
	s_and_b32 s45, s45, exec_lo
	s_mov_b32 vcc_lo, -1
	s_or_b32 s42, s42, s45
	s_and_saveexec_b32 s45, s44
	s_cbranch_execz .LBB4_9957
; %bb.9960:                             ;   in Loop: Header=BB4_9958 Depth=3
	s_sleep 1
	s_cbranch_execnz .LBB4_10544
; %bb.9961:                             ;   in Loop: Header=BB4_9958 Depth=3
	ds_load_b64 v[8:9], v0
	s_and_not1_b32 s42, s42, exec_lo
	s_waitcnt lgkmcnt(0)
	v_cmp_ge_u64_e32 vcc_lo, v[8:9], v[48:49]
	s_or_not1_b32 vcc_lo, vcc_lo, exec_lo
	s_branch .LBB4_9957
.LBB4_9962:                             ;   in Loop: Header=BB4_9958 Depth=3
	s_cbranch_execnz .LBB4_10560
; %bb.9963:                             ;   in Loop: Header=BB4_9958 Depth=3
	ds_load_b64 v[8:9], v0
	s_and_not1_b32 s44, s44, exec_lo
	s_mov_b32 s43, 0
	s_mov_b32 s45, -1
	s_waitcnt lgkmcnt(0)
	flat_load_b32 v2, v[8:9] glc
	s_waitcnt vmcnt(0) lgkmcnt(0)
	buffer_gl1_inv
	buffer_gl0_inv
	v_cmp_eq_u32_e32 vcc_lo, 0, v2
	s_and_b32 vcc_lo, vcc_lo, exec_lo
	s_delay_alu instid0(SALU_CYCLE_1)
	s_or_b32 s44, s44, vcc_lo
	s_branch .LBB4_9959
.LBB4_9964:                             ;   in Loop: Header=BB4_9922 Depth=2
	s_or_b32 exec_lo, exec_lo, s40
	s_and_saveexec_b32 vcc_lo, s41
	s_delay_alu instid0(SALU_CYCLE_1)
	s_xor_b32 vcc_lo, exec_lo, vcc_lo
	s_cbranch_execz .LBB4_9966
; %bb.9965:                             ;   in Loop: Header=BB4_9922 Depth=2
	ds_store_b32 v0, v134
	s_cbranch_execnz .LBB4_10680
.LBB4_9966:                             ;   in Loop: Header=BB4_9922 Depth=2
	s_or_b32 exec_lo, exec_lo, s39
	;;#ASMSTART
	s_wakeup
	;;#ASMEND
.LBB4_9967:                             ;   in Loop: Header=BB4_9922 Depth=2
	s_or_b32 exec_lo, exec_lo, s38
.LBB4_9968:                             ;   in Loop: Header=BB4_9922 Depth=2
	s_and_not1_saveexec_b32 s14, s14
	s_cbranch_execz .LBB4_9970
; %bb.9969:                             ;   in Loop: Header=BB4_9922 Depth=2
	s_waitcnt lgkmcnt(0)
	s_waitcnt_vscnt null, 0x0
	buffer_gl1_inv
	buffer_gl0_inv
	s_barrier
.LBB4_9970:                             ;   in Loop: Header=BB4_9922 Depth=2
	s_or_b32 exec_lo, exec_lo, s14
.LBB4_9971:                             ;   in Loop: Header=BB4_9922 Depth=2
	s_delay_alu instid0(SALU_CYCLE_1)
	s_or_b32 exec_lo, exec_lo, s13
	s_cbranch_execnz .LBB4_10330
; %bb.9972:                             ;   in Loop: Header=BB4_9922 Depth=2
	ds_load_b32 v8, v0
	v_and_b32_e32 v2, 0x4000, v30
	s_xor_b32 s13, s2, -1
	s_delay_alu instid0(VALU_DEP_1) | instskip(SKIP_1) | instid1(SALU_CYCLE_1)
	v_cmp_ne_u32_e32 vcc_lo, 0, v2
	s_and_b32 s14, s13, vcc_lo
	s_and_saveexec_b32 s13, s14
	s_cbranch_execz .LBB4_9994
; %bb.9973:                             ;   in Loop: Header=BB4_9922 Depth=2
	s_and_saveexec_b32 s14, s4
	s_delay_alu instid0(SALU_CYCLE_1)
	s_xor_b32 s14, exec_lo, s14
	s_cbranch_execz .LBB4_9991
; %bb.9974:                             ;   in Loop: Header=BB4_9922 Depth=2
	s_and_saveexec_b32 s38, s1
	s_cbranch_execz .LBB4_9990
; %bb.9975:                             ;   in Loop: Header=BB4_9922 Depth=2
	s_mov_b32 s40, exec_lo
	s_mov_b32 s39, exec_lo
	v_mbcnt_lo_u32_b32 v2, s40, 0
	s_waitcnt lgkmcnt(0)
	s_waitcnt_vscnt null, 0x0
	buffer_gl1_inv
	buffer_gl0_inv
	v_cmpx_eq_u32_e32 0, v2
	s_cbranch_execz .LBB4_9977
; %bb.9976:                             ;   in Loop: Header=BB4_9922 Depth=2
	s_bcnt1_i32_b32 vcc_lo, s40
	s_delay_alu instid0(SALU_CYCLE_1)
	v_mov_b32_e32 v2, vcc_lo
	ds_add_u64 v0, v[2:3]
	s_cbranch_execnz .LBB4_10532
.LBB4_9977:                             ;   in Loop: Header=BB4_9922 Depth=2
	s_or_b32 exec_lo, exec_lo, s39
	s_cbranch_execnz .LBB4_10514
; %bb.9978:                             ;   in Loop: Header=BB4_9922 Depth=2
	ds_load_b64 v[9:10], v0
	v_add_co_u32 v48, vcc_lo, v48, v97
	v_add_co_ci_u32_e32 v49, vcc_lo, 0, v49, vcc_lo
	s_mov_b32 s39, exec_lo
	s_waitcnt lgkmcnt(0)
	s_delay_alu instid0(VALU_DEP_1)
	v_cmpx_lt_u64_e64 v[9:10], v[48:49]
	s_cbranch_execz .LBB4_9989
; %bb.9979:                             ;   in Loop: Header=BB4_9922 Depth=2
	s_mov_b32 s40, 0
	s_mov_b32 s43, 0
                                        ; implicit-def: $sgpr41
                                        ; implicit-def: $sgpr42
	s_branch .LBB4_9981
.LBB4_9980:                             ;   in Loop: Header=BB4_9981 Depth=3
	s_or_b32 exec_lo, exec_lo, s45
	s_delay_alu instid0(SALU_CYCLE_1) | instskip(NEXT) | instid1(SALU_CYCLE_1)
	s_and_b32 vcc_lo, exec_lo, vcc_lo
	s_or_b32 s40, vcc_lo, s40
	s_and_not1_b32 vcc_lo, s41, exec_lo
	s_and_b32 s41, s42, exec_lo
	s_delay_alu instid0(SALU_CYCLE_1)
	s_or_b32 s41, vcc_lo, s41
	s_and_not1_b32 exec_lo, exec_lo, s40
	s_cbranch_execz .LBB4_9987
.LBB4_9981:                             ;   Parent Loop BB4_51 Depth=1
                                        ;     Parent Loop BB4_9922 Depth=2
                                        ; =>    This Inner Loop Header: Depth=3
	s_add_i32 s43, s43, 1
                                        ; implicit-def: $sgpr45
	s_delay_alu instid0(SALU_CYCLE_1) | instskip(SKIP_1) | instid1(SALU_CYCLE_1)
	s_cmpk_lg_i32 s43, 0x2710
	s_cselect_b32 s44, -1, 0
	s_and_b32 vcc_lo, exec_lo, s44
	s_cbranch_vccz .LBB4_9985
.LBB4_9982:                             ;   in Loop: Header=BB4_9981 Depth=3
	s_and_not1_b32 s42, s42, exec_lo
	s_and_b32 s45, s45, exec_lo
	s_mov_b32 vcc_lo, -1
	s_or_b32 s42, s42, s45
	s_and_saveexec_b32 s45, s44
	s_cbranch_execz .LBB4_9980
; %bb.9983:                             ;   in Loop: Header=BB4_9981 Depth=3
	s_sleep 1
	s_cbranch_execnz .LBB4_10598
; %bb.9984:                             ;   in Loop: Header=BB4_9981 Depth=3
	ds_load_b64 v[9:10], v0
	s_and_not1_b32 s42, s42, exec_lo
	s_waitcnt lgkmcnt(0)
	v_cmp_ge_u64_e32 vcc_lo, v[9:10], v[48:49]
	s_or_not1_b32 vcc_lo, vcc_lo, exec_lo
	s_branch .LBB4_9980
.LBB4_9985:                             ;   in Loop: Header=BB4_9981 Depth=3
	s_cbranch_execnz .LBB4_10610
; %bb.9986:                             ;   in Loop: Header=BB4_9981 Depth=3
	ds_load_b64 v[9:10], v0
	s_and_not1_b32 s44, s44, exec_lo
	s_mov_b32 s43, 0
	s_mov_b32 s45, -1
	s_waitcnt lgkmcnt(0)
	flat_load_b32 v2, v[9:10] glc
	s_waitcnt vmcnt(0) lgkmcnt(0)
	buffer_gl1_inv
	buffer_gl0_inv
	v_cmp_eq_u32_e32 vcc_lo, 0, v2
	s_and_b32 vcc_lo, vcc_lo, exec_lo
	s_delay_alu instid0(SALU_CYCLE_1)
	s_or_b32 s44, s44, vcc_lo
	s_branch .LBB4_9982
.LBB4_9987:                             ;   in Loop: Header=BB4_9922 Depth=2
	s_or_b32 exec_lo, exec_lo, s40
	s_and_saveexec_b32 vcc_lo, s41
	s_delay_alu instid0(SALU_CYCLE_1)
	s_xor_b32 vcc_lo, exec_lo, vcc_lo
	s_cbranch_execz .LBB4_9989
; %bb.9988:                             ;   in Loop: Header=BB4_9922 Depth=2
	ds_store_b32 v0, v134
	s_cbranch_execnz .LBB4_10696
.LBB4_9989:                             ;   in Loop: Header=BB4_9922 Depth=2
	s_or_b32 exec_lo, exec_lo, s39
	;;#ASMSTART
	s_wakeup
	;;#ASMEND
.LBB4_9990:                             ;   in Loop: Header=BB4_9922 Depth=2
	s_or_b32 exec_lo, exec_lo, s38
.LBB4_9991:                             ;   in Loop: Header=BB4_9922 Depth=2
	s_and_not1_saveexec_b32 s14, s14
	s_cbranch_execz .LBB4_9993
; %bb.9992:                             ;   in Loop: Header=BB4_9922 Depth=2
	s_waitcnt lgkmcnt(0)
	s_waitcnt_vscnt null, 0x0
	buffer_gl1_inv
	buffer_gl0_inv
	s_barrier
.LBB4_9993:                             ;   in Loop: Header=BB4_9922 Depth=2
	s_or_b32 exec_lo, exec_lo, s14
.LBB4_9994:                             ;   in Loop: Header=BB4_9922 Depth=2
	s_delay_alu instid0(SALU_CYCLE_1)
	s_or_b32 exec_lo, exec_lo, s13
	s_cbranch_execnz .LBB4_10388
; %bb.9995:                             ;   in Loop: Header=BB4_9922 Depth=2
	ds_load_b64 v[9:10], v0
	v_sub_nc_u32_e32 v2, v12, v14
	v_mov_b32_e32 v17, 0
	s_delay_alu instid0(VALU_DEP_2) | instskip(SKIP_3) | instid1(SALU_CYCLE_1)
	v_min_i32_e32 v13, v13, v2
	s_waitcnt lgkmcnt(0)
	v_cmp_eq_u64_e32 vcc_lo, 0, v[9:10]
	s_or_b32 s13, vcc_lo, vcc_lo
	s_and_b32 vcc_lo, exec_lo, s13
	s_cbranch_vccnz .LBB4_10029
; %bb.9996:                             ;   in Loop: Header=BB4_9922 Depth=2
	s_mov_b32 s13, -1
	s_and_saveexec_b32 s14, s6
	s_cbranch_execz .LBB4_9998
; %bb.9997:                             ;   in Loop: Header=BB4_9922 Depth=2
	ds_load_b32 v2, v0 offset:720
	s_waitcnt lgkmcnt(0)
	v_and_b32_e32 v2, 15, v2
	s_delay_alu instid0(VALU_DEP_1)
	v_cmp_eq_u32_e32 vcc_lo, 0, v2
	s_or_not1_b32 s13, vcc_lo, exec_lo
.LBB4_9998:                             ;   in Loop: Header=BB4_9922 Depth=2
	s_or_b32 exec_lo, exec_lo, s14
	s_and_saveexec_b32 s14, s5
	s_cbranch_execz .LBB4_10000
; %bb.9999:                             ;   in Loop: Header=BB4_9922 Depth=2
	ds_load_b32 v2, v0 offset:784
	s_waitcnt lgkmcnt(0)
	v_and_b32_e32 v2, 15, v2
	s_delay_alu instid0(VALU_DEP_1) | instskip(SKIP_3) | instid1(SALU_CYCLE_1)
	v_cmp_eq_u32_e32 vcc_lo, 0, v2
	s_and_b32 vcc_lo, s13, vcc_lo
	s_and_not1_b32 s13, s13, exec_lo
	s_and_b32 vcc_lo, vcc_lo, exec_lo
	s_or_b32 s13, s13, vcc_lo
.LBB4_10000:                            ;   in Loop: Header=BB4_9922 Depth=2
	s_or_b32 exec_lo, exec_lo, s14
	v_cmp_eq_u32_e32 vcc_lo, 0, v8
	s_xor_b32 s13, s13, -1
	v_mov_b32_e32 v22, v99
	v_cndmask_b32_e64 v2, 0, 1, s13
	;;#ASMSTART
	;;#ASMEND
	v_cndmask_b32_e32 v17, 0, v13, vcc_lo
	s_delay_alu instid0(VALU_DEP_2) | instskip(SKIP_2) | instid1(VALU_DEP_3)
	v_cmp_ne_u32_e32 vcc_lo, 0, v2
	v_mov_b32_e32 v2, 0
	s_mov_b32 s13, -1
	v_dual_mov_b32 v19, v0 :: v_dual_mov_b32 v18, v17
	s_cbranch_vccnz .LBB4_10016
; %bb.10001:                            ;   in Loop: Header=BB4_9922 Depth=2
	v_ashrrev_i32_e32 v2, 31, v17
	s_mov_b32 s14, exec_lo
	s_delay_alu instid0(VALU_DEP_1) | instskip(NEXT) | instid1(VALU_DEP_1)
	v_lshrrev_b32_e32 v2, 21, v2
	v_add_nc_u32_e32 v2, v17, v2
	s_delay_alu instid0(VALU_DEP_1) | instskip(NEXT) | instid1(VALU_DEP_1)
	v_ashrrev_i32_e32 v2, 11, v2
	v_sub_nc_u32_e32 v20, v2, v99
	s_delay_alu instid0(VALU_DEP_1)
	v_cmpx_lt_i32_e32 0, v20
	s_cbranch_execz .LBB4_10006
; %bb.10002:                            ;   in Loop: Header=BB4_9922 Depth=2
	s_cbranch_execnz .LBB4_10566
; %bb.10003:                            ;   in Loop: Header=BB4_9922 Depth=2
	ds_load_b64 v[8:9], v0
	s_mov_b32 s38, 0
	s_waitcnt lgkmcnt(0)
	v_dual_mov_b32 v11, v9 :: v_dual_mov_b32 v10, v8
	s_set_inst_prefetch_distance 0x1
.LBB4_10004:                            ;   Parent Loop BB4_51 Depth=1
                                        ;     Parent Loop BB4_9922 Depth=2
                                        ; =>    This Inner Loop Header: Depth=3
	s_delay_alu instid0(VALU_DEP_1) | instskip(NEXT) | instid1(VALU_DEP_2)
	v_add_co_u32 v18, vcc_lo, v102, v10
	v_add_co_ci_u32_e32 v19, vcc_lo, v112, v11, vcc_lo
	v_sub_nc_u32_e32 v20, v20, v97
	s_clause 0x3
	global_load_b128 v[66:69], v[18:19], off slc dlc
	global_load_b128 v[80:83], v[18:19], off offset:512 slc dlc
	global_load_b128 v[144:147], v[18:19], off offset:1024 slc dlc
	;; [unrolled: 1-line block ×3, first 2 shown]
	v_add_co_u32 v18, vcc_lo, v102, v8
	v_add_co_ci_u32_e32 v19, vcc_lo, v112, v9, vcc_lo
	v_add_co_u32 v10, vcc_lo, v10, v113
	v_add_co_ci_u32_e32 v11, vcc_lo, v11, v114, vcc_lo
	v_add_co_u32 v8, vcc_lo, v8, v113
	v_cmp_gt_i32_e64 s13, 1, v20
	v_add_co_ci_u32_e32 v9, vcc_lo, v9, v114, vcc_lo
	s_waitcnt vmcnt(3)
	global_store_b128 v[18:19], v[66:69], off glc slc dlc
	s_waitcnt vmcnt(2)
	global_store_b128 v[18:19], v[80:83], off offset:512 glc slc dlc
	s_waitcnt vmcnt(1)
	global_store_b128 v[18:19], v[144:147], off offset:1024 glc slc dlc
	s_waitcnt vmcnt(0)
	global_store_b128 v[18:19], v[148:151], off offset:1536 glc slc dlc
	s_or_b32 s38, s13, s38
	s_delay_alu instid0(SALU_CYCLE_1)
	s_and_not1_b32 exec_lo, exec_lo, s38
	s_cbranch_execnz .LBB4_10004
; %bb.10005:                            ;   in Loop: Header=BB4_9922 Depth=2
	s_set_inst_prefetch_distance 0x2
	s_or_b32 exec_lo, exec_lo, s38
.LBB4_10006:                            ;   in Loop: Header=BB4_9922 Depth=2
	s_delay_alu instid0(SALU_CYCLE_1) | instskip(SKIP_4) | instid1(VALU_DEP_2)
	s_or_b32 exec_lo, exec_lo, s14
	v_lshlrev_b32_e32 v10, 11, v2
	v_mov_b32_e32 v2, 0
	s_mov_b32 s13, 0
	s_mov_b32 s38, exec_lo
                                        ; implicit-def: $vgpr18
                                        ; implicit-def: $vgpr19
                                        ; implicit-def: $vgpr22
	v_cmpx_ne_u32_e64 v17, v10
	s_cbranch_execz .LBB4_10015
; %bb.10007:                            ;   in Loop: Header=BB4_9922 Depth=2
	v_lshlrev_b32_e32 v2, 5, v20
	v_sub_nc_u32_e32 v9, v17, v10
	s_mov_b32 s39, exec_lo
	s_delay_alu instid0(VALU_DEP_2) | instskip(NEXT) | instid1(VALU_DEP_2)
	v_sub_nc_u32_e32 v2, v100, v2
	v_ashrrev_i32_e32 v11, 31, v9
	s_delay_alu instid0(VALU_DEP_2) | instskip(NEXT) | instid1(VALU_DEP_2)
	v_ashrrev_i32_e32 v8, 31, v2
	v_lshrrev_b32_e32 v11, 23, v11
	s_delay_alu instid0(VALU_DEP_2) | instskip(NEXT) | instid1(VALU_DEP_2)
	v_lshrrev_b32_e32 v8, 27, v8
	v_add_nc_u32_e32 v19, v9, v11
	s_delay_alu instid0(VALU_DEP_2) | instskip(NEXT) | instid1(VALU_DEP_2)
	v_add_nc_u32_e32 v8, v2, v8
	v_and_b32_e32 v11, 0xfffffe00, v19
	v_ashrrev_i32_e32 v19, 9, v19
	s_delay_alu instid0(VALU_DEP_3) | instskip(NEXT) | instid1(VALU_DEP_3)
	v_and_b32_e32 v18, 0xffffffe0, v8
	v_sub_nc_u32_e32 v21, v9, v11
	v_ashrrev_i32_e32 v8, 5, v8
	s_delay_alu instid0(VALU_DEP_3) | instskip(NEXT) | instid1(VALU_DEP_3)
	v_sub_nc_u32_e32 v20, v2, v18
	v_cmp_lt_i32_e32 vcc_lo, 15, v21
	s_delay_alu instid0(VALU_DEP_2) | instskip(SKIP_1) | instid1(VALU_DEP_2)
	v_lshlrev_b32_e32 v2, 4, v20
	v_add_co_ci_u32_e64 v19, s13, 0, v19, vcc_lo
	v_lshl_add_u32 v18, v8, 9, v2
	s_delay_alu instid0(VALU_DEP_2) | instskip(NEXT) | instid1(VALU_DEP_2)
	v_sub_nc_u32_e32 v23, v19, v8
	v_sub_nc_u32_e32 v2, v9, v18
	s_delay_alu instid0(VALU_DEP_1)
	v_cmpx_lt_i32_e32 15, v2
	s_cbranch_execz .LBB4_10012
; %bb.10008:                            ;   in Loop: Header=BB4_9922 Depth=2
	s_cbranch_execnz .LBB4_10622
; %bb.10009:                            ;   in Loop: Header=BB4_9922 Depth=2
	ds_load_b64 v[8:9], v0
	v_add_nc_u32_e32 v18, v18, v10
	s_mov_b32 s40, 0
	s_delay_alu instid0(VALU_DEP_1)
	v_ashrrev_i32_e32 v19, 31, v18
.LBB4_10010:                            ;   Parent Loop BB4_51 Depth=1
                                        ;     Parent Loop BB4_9922 Depth=2
                                        ; =>    This Inner Loop Header: Depth=3
	s_waitcnt lgkmcnt(0)
	v_add_co_u32 v70, s13, v8, v18
	s_delay_alu instid0(VALU_DEP_1)
	v_add_co_ci_u32_e64 v71, s13, v9, v19, s13
	v_sub_nc_u32_e32 v2, v2, v101
	v_add_co_u32 v18, s14, v18, v117
	global_load_b128 v[66:69], v[70:71], off slc dlc
	v_sub_nc_u32_e32 v23, v23, v97
	v_cmp_gt_i32_e64 s13, 16, v2
	v_add_co_ci_u32_e64 v19, s14, v19, v118, s14
	s_delay_alu instid0(VALU_DEP_2)
	s_or_b32 s40, s13, s40
	s_waitcnt vmcnt(0)
	global_store_b128 v[70:71], v[66:69], off glc slc dlc
	s_and_not1_b32 exec_lo, exec_lo, s40
	s_cbranch_execnz .LBB4_10010
; %bb.10011:                            ;   in Loop: Header=BB4_9922 Depth=2
	s_or_b32 exec_lo, exec_lo, s40
.LBB4_10012:                            ;   in Loop: Header=BB4_9922 Depth=2
	s_delay_alu instid0(SALU_CYCLE_1) | instskip(SKIP_4) | instid1(VALU_DEP_2)
	s_or_b32 exec_lo, exec_lo, s39
	v_and_b32_e32 v8, 15, v17
	v_mov_b32_e32 v2, 0
	s_mov_b32 s14, 0
	s_mov_b32 s39, exec_lo
                                        ; implicit-def: $vgpr19
                                        ; implicit-def: $vgpr22
	v_cndmask_b32_e32 v18, v21, v8, vcc_lo
	s_delay_alu instid0(VALU_DEP_1)
	v_cmpx_ne_u32_e32 0, v18
; %bb.10013:                            ;   in Loop: Header=BB4_9922 Depth=2
	v_cmp_lt_i32_e64 s13, 0, v23
	v_sub_nc_u32_e32 v8, v21, v8
	s_mov_b32 s14, exec_lo
	s_delay_alu instid0(VALU_DEP_2) | instskip(NEXT) | instid1(VALU_DEP_1)
	v_cndmask_b32_e64 v2, 0, v97, s13
	v_sub_nc_u32_e32 v2, v2, v23
	s_delay_alu instid0(VALU_DEP_1) | instskip(NEXT) | instid1(VALU_DEP_1)
	v_lshl_add_u32 v19, v2, 5, v20
	v_ashrrev_i32_e32 v2, 31, v19
	s_delay_alu instid0(VALU_DEP_1) | instskip(NEXT) | instid1(VALU_DEP_1)
	v_lshrrev_b32_e32 v2, 27, v2
	v_dual_cndmask_b32 v8, 0, v8 :: v_dual_add_nc_u32 v9, v19, v2
	s_delay_alu instid0(VALU_DEP_1) | instskip(NEXT) | instid1(VALU_DEP_2)
	v_add3_u32 v2, v11, v10, v8
	v_ashrrev_i32_e32 v22, 5, v9
; %bb.10014:                            ;   in Loop: Header=BB4_9922 Depth=2
	s_or_b32 exec_lo, exec_lo, s39
	s_delay_alu instid0(SALU_CYCLE_1)
	s_and_b32 s13, s14, exec_lo
.LBB4_10015:                            ;   in Loop: Header=BB4_9922 Depth=2
	s_or_b32 exec_lo, exec_lo, s38
.LBB4_10016:                            ;   in Loop: Header=BB4_9922 Depth=2
	s_and_saveexec_b32 s14, s13
	s_cbranch_execz .LBB4_10028
; %bb.10017:                            ;   in Loop: Header=BB4_9922 Depth=2
	s_delay_alu instid0(VALU_DEP_1) | instskip(SKIP_1) | instid1(VALU_DEP_1)
	v_ashrrev_i32_e32 v8, 31, v18
	s_mov_b32 s13, exec_lo
	v_lshrrev_b32_e32 v8, 23, v8
	s_delay_alu instid0(VALU_DEP_1) | instskip(NEXT) | instid1(VALU_DEP_1)
	v_add_nc_u32_e32 v8, v18, v8
	v_ashrrev_i32_e32 v21, 9, v8
	s_delay_alu instid0(VALU_DEP_1) | instskip(NEXT) | instid1(VALU_DEP_1)
	v_sub_nc_u32_e32 v20, v21, v22
	v_cmpx_lt_i32_e32 0, v20
	s_cbranch_execz .LBB4_10022
; %bb.10018:                            ;   in Loop: Header=BB4_9922 Depth=2
	s_cbranch_execnz .LBB4_10556
; %bb.10019:                            ;   in Loop: Header=BB4_9922 Depth=2
	v_ashrrev_i32_e32 v8, 31, v19
	s_mov_b32 s38, 0
	s_delay_alu instid0(VALU_DEP_1) | instskip(NEXT) | instid1(VALU_DEP_1)
	v_lshrrev_b32_e32 v8, 27, v8
	v_add_nc_u32_e32 v10, v19, v8
	ds_load_b64 v[8:9], v0
	v_lshlrev_b32_e32 v11, 9, v22
	v_and_b32_e32 v10, 0xffffffe0, v10
	s_delay_alu instid0(VALU_DEP_1) | instskip(NEXT) | instid1(VALU_DEP_1)
	v_sub_nc_u32_e32 v10, v19, v10
	v_add3_u32 v22, v2, v10, v11
	s_delay_alu instid0(VALU_DEP_1)
	v_ashrrev_i32_e32 v23, 31, v22
	s_waitcnt lgkmcnt(0)
	v_dual_mov_b32 v11, v9 :: v_dual_mov_b32 v10, v8
.LBB4_10020:                            ;   Parent Loop BB4_51 Depth=1
                                        ;     Parent Loop BB4_9922 Depth=2
                                        ; =>    This Inner Loop Header: Depth=3
	s_delay_alu instid0(VALU_DEP_1) | instskip(NEXT) | instid1(VALU_DEP_2)
	v_add_co_u32 v66, vcc_lo, v22, v10
	v_add_co_ci_u32_e32 v67, vcc_lo, v23, v11, vcc_lo
	v_sub_nc_u32_e32 v20, v20, v97
	s_clause 0xf
	flat_load_u8 v68, v[66:67] slc dlc
	flat_load_u8 v69, v[66:67] offset:32 slc dlc
	flat_load_u8 v70, v[66:67] offset:64 slc dlc
	;; [unrolled: 1-line block ×15, first 2 shown]
	v_add_co_u32 v66, vcc_lo, v22, v8
	v_add_co_ci_u32_e32 v67, vcc_lo, v23, v9, vcc_lo
	v_add_co_u32 v10, vcc_lo, v10, v117
	v_add_co_ci_u32_e32 v11, vcc_lo, v11, v118, vcc_lo
	;; [unrolled: 2-line block ×3, first 2 shown]
	v_cmp_gt_i32_e32 vcc_lo, 1, v20
	s_waitcnt vmcnt(15) lgkmcnt(15)
	flat_store_b8 v[66:67], v68 glc slc dlc
	s_waitcnt vmcnt(14) lgkmcnt(15)
	flat_store_b8 v[66:67], v69 offset:32 glc slc dlc
	s_waitcnt vmcnt(13) lgkmcnt(15)
	flat_store_b8 v[66:67], v70 offset:64 glc slc dlc
	;; [unrolled: 2-line block ×15, first 2 shown]
	s_or_b32 s38, vcc_lo, s38
	s_delay_alu instid0(SALU_CYCLE_1)
	s_and_not1_b32 exec_lo, exec_lo, s38
	s_cbranch_execnz .LBB4_10020
; %bb.10021:                            ;   in Loop: Header=BB4_9922 Depth=2
	s_or_b32 exec_lo, exec_lo, s38
.LBB4_10022:                            ;   in Loop: Header=BB4_9922 Depth=2
	s_delay_alu instid0(SALU_CYCLE_1) | instskip(SKIP_2) | instid1(VALU_DEP_1)
	s_or_b32 exec_lo, exec_lo, s13
	v_lshlrev_b32_e32 v8, 9, v21
	s_mov_b32 s38, exec_lo
	v_cmpx_ne_u32_e64 v18, v8
	s_cbranch_execz .LBB4_10027
; %bb.10023:                            ;   in Loop: Header=BB4_9922 Depth=2
	v_ashrrev_i32_e32 v9, 31, v19
	v_lshlrev_b32_e32 v10, 5, v20
	s_delay_alu instid0(VALU_DEP_2) | instskip(NEXT) | instid1(VALU_DEP_1)
	v_lshrrev_b32_e32 v9, 27, v9
	v_add_nc_u32_e32 v9, v19, v9
	s_delay_alu instid0(VALU_DEP_1) | instskip(NEXT) | instid1(VALU_DEP_1)
	v_and_b32_e32 v9, 0xffffffe0, v9
	v_sub_nc_u32_e32 v9, v19, v9
	s_delay_alu instid0(VALU_DEP_1) | instskip(NEXT) | instid1(VALU_DEP_1)
	v_sub_nc_u32_e32 v9, v9, v10
	v_add_nc_u32_e32 v11, v8, v9
	s_delay_alu instid0(VALU_DEP_1) | instskip(NEXT) | instid1(VALU_DEP_1)
	v_sub_nc_u32_e32 v10, v18, v11
	v_cmp_lt_i32_e32 vcc_lo, 0, v10
	s_and_b32 exec_lo, exec_lo, vcc_lo
	s_cbranch_execz .LBB4_10027
; %bb.10024:                            ;   in Loop: Header=BB4_9922 Depth=2
	s_cbranch_execnz .LBB4_10616
; %bb.10025:                            ;   in Loop: Header=BB4_9922 Depth=2
	ds_load_b64 v[8:9], v0
	v_add_nc_u32_e32 v2, v11, v2
	s_mov_b32 s39, 0
	s_delay_alu instid0(VALU_DEP_1)
	v_ashrrev_i32_e32 v11, 31, v2
.LBB4_10026:                            ;   Parent Loop BB4_51 Depth=1
                                        ;     Parent Loop BB4_9922 Depth=2
                                        ; =>    This Inner Loop Header: Depth=3
	s_waitcnt lgkmcnt(0)
	v_add_co_u32 v18, vcc_lo, v8, v2
	s_delay_alu instid0(VALU_DEP_2)
	v_add_co_ci_u32_e32 v19, vcc_lo, v9, v11, vcc_lo
	v_sub_nc_u32_e32 v10, v10, v98
	v_add_co_u32 v2, s13, v2, v128
	flat_load_u8 v20, v[18:19] slc dlc
	v_add_co_ci_u32_e64 v11, s13, v11, v129, s13
	v_cmp_gt_i32_e32 vcc_lo, 1, v10
	s_or_b32 s39, vcc_lo, s39
	s_waitcnt vmcnt(0) lgkmcnt(0)
	flat_store_b8 v[18:19], v20 glc slc dlc
	s_and_not1_b32 exec_lo, exec_lo, s39
	s_cbranch_execnz .LBB4_10026
.LBB4_10027:                            ;   in Loop: Header=BB4_9922 Depth=2
	s_or_b32 exec_lo, exec_lo, s38
.LBB4_10028:                            ;   in Loop: Header=BB4_9922 Depth=2
	s_delay_alu instid0(SALU_CYCLE_1)
	s_or_b32 exec_lo, exec_lo, s14
.LBB4_10029:                            ;   in Loop: Header=BB4_9922 Depth=2
	s_and_saveexec_b32 s13, s3
	s_cbranch_execz .LBB4_10051
; %bb.10030:                            ;   in Loop: Header=BB4_9922 Depth=2
	s_and_saveexec_b32 s14, s4
	s_delay_alu instid0(SALU_CYCLE_1)
	s_xor_b32 s14, exec_lo, s14
	s_cbranch_execz .LBB4_10048
; %bb.10031:                            ;   in Loop: Header=BB4_9922 Depth=2
	s_and_saveexec_b32 s38, s1
	s_cbranch_execz .LBB4_10047
; %bb.10032:                            ;   in Loop: Header=BB4_9922 Depth=2
	s_mov_b32 s40, exec_lo
	s_mov_b32 s39, exec_lo
	v_mbcnt_lo_u32_b32 v2, s40, 0
	s_waitcnt lgkmcnt(0)
	s_waitcnt_vscnt null, 0x0
	buffer_gl1_inv
	buffer_gl0_inv
	v_cmpx_eq_u32_e32 0, v2
	s_cbranch_execz .LBB4_10034
; %bb.10033:                            ;   in Loop: Header=BB4_9922 Depth=2
	s_bcnt1_i32_b32 vcc_lo, s40
	s_delay_alu instid0(SALU_CYCLE_1)
	v_mov_b32_e32 v2, vcc_lo
	ds_add_u64 v0, v[2:3]
	s_cbranch_execnz .LBB4_10602
.LBB4_10034:                            ;   in Loop: Header=BB4_9922 Depth=2
	s_or_b32 exec_lo, exec_lo, s39
	s_cbranch_execnz .LBB4_10576
; %bb.10035:                            ;   in Loop: Header=BB4_9922 Depth=2
	ds_load_b64 v[8:9], v0
	v_add_co_u32 v48, vcc_lo, v48, v97
	v_add_co_ci_u32_e32 v49, vcc_lo, 0, v49, vcc_lo
	s_mov_b32 s39, exec_lo
	s_waitcnt lgkmcnt(0)
	s_delay_alu instid0(VALU_DEP_1)
	v_cmpx_lt_u64_e64 v[8:9], v[48:49]
	s_cbranch_execz .LBB4_10046
; %bb.10036:                            ;   in Loop: Header=BB4_9922 Depth=2
	s_mov_b32 s40, 0
	s_mov_b32 s43, 0
                                        ; implicit-def: $sgpr41
                                        ; implicit-def: $sgpr42
	s_branch .LBB4_10038
.LBB4_10037:                            ;   in Loop: Header=BB4_10038 Depth=3
	s_or_b32 exec_lo, exec_lo, s45
	s_delay_alu instid0(SALU_CYCLE_1) | instskip(NEXT) | instid1(SALU_CYCLE_1)
	s_and_b32 vcc_lo, exec_lo, vcc_lo
	s_or_b32 s40, vcc_lo, s40
	s_and_not1_b32 vcc_lo, s41, exec_lo
	s_and_b32 s41, s42, exec_lo
	s_delay_alu instid0(SALU_CYCLE_1)
	s_or_b32 s41, vcc_lo, s41
	s_and_not1_b32 exec_lo, exec_lo, s40
	s_cbranch_execz .LBB4_10044
.LBB4_10038:                            ;   Parent Loop BB4_51 Depth=1
                                        ;     Parent Loop BB4_9922 Depth=2
                                        ; =>    This Inner Loop Header: Depth=3
	s_add_i32 s43, s43, 1
                                        ; implicit-def: $sgpr45
	s_delay_alu instid0(SALU_CYCLE_1) | instskip(SKIP_1) | instid1(SALU_CYCLE_1)
	s_cmpk_lg_i32 s43, 0x2710
	s_cselect_b32 s44, -1, 0
	s_and_b32 vcc_lo, exec_lo, s44
	s_cbranch_vccnz .LBB4_10041
; %bb.10039:                            ;   in Loop: Header=BB4_10038 Depth=3
	s_cbranch_execnz .LBB4_10646
; %bb.10040:                            ;   in Loop: Header=BB4_10038 Depth=3
	ds_load_b64 v[8:9], v0
	s_and_not1_b32 s44, s44, exec_lo
	s_mov_b32 s43, 0
	s_mov_b32 s45, -1
	s_waitcnt lgkmcnt(0)
	flat_load_b32 v2, v[8:9] glc
	s_waitcnt vmcnt(0) lgkmcnt(0)
	buffer_gl1_inv
	buffer_gl0_inv
	v_cmp_eq_u32_e32 vcc_lo, 0, v2
	s_and_b32 vcc_lo, vcc_lo, exec_lo
	s_delay_alu instid0(SALU_CYCLE_1)
	s_or_b32 s44, s44, vcc_lo
.LBB4_10041:                            ;   in Loop: Header=BB4_10038 Depth=3
	s_and_not1_b32 s42, s42, exec_lo
	s_and_b32 s45, s45, exec_lo
	s_mov_b32 vcc_lo, -1
	s_or_b32 s42, s42, s45
	s_and_saveexec_b32 s45, s44
	s_cbranch_execz .LBB4_10037
; %bb.10042:                            ;   in Loop: Header=BB4_10038 Depth=3
	s_sleep 1
	s_cbranch_execnz .LBB4_10634
; %bb.10043:                            ;   in Loop: Header=BB4_10038 Depth=3
	ds_load_b64 v[8:9], v0
	s_and_not1_b32 s42, s42, exec_lo
	s_waitcnt lgkmcnt(0)
	v_cmp_ge_u64_e32 vcc_lo, v[8:9], v[48:49]
	s_or_not1_b32 vcc_lo, vcc_lo, exec_lo
	s_branch .LBB4_10037
.LBB4_10044:                            ;   in Loop: Header=BB4_9922 Depth=2
	s_or_b32 exec_lo, exec_lo, s40
	s_and_saveexec_b32 vcc_lo, s41
	s_delay_alu instid0(SALU_CYCLE_1)
	s_xor_b32 vcc_lo, exec_lo, vcc_lo
	s_cbranch_execz .LBB4_10046
; %bb.10045:                            ;   in Loop: Header=BB4_9922 Depth=2
	ds_store_b32 v0, v134
	s_cbranch_execnz .LBB4_10700
.LBB4_10046:                            ;   in Loop: Header=BB4_9922 Depth=2
	s_or_b32 exec_lo, exec_lo, s39
	;;#ASMSTART
	s_wakeup
	;;#ASMEND
.LBB4_10047:                            ;   in Loop: Header=BB4_9922 Depth=2
	s_or_b32 exec_lo, exec_lo, s38
.LBB4_10048:                            ;   in Loop: Header=BB4_9922 Depth=2
	s_and_not1_saveexec_b32 s14, s14
	s_cbranch_execz .LBB4_10050
; %bb.10049:                            ;   in Loop: Header=BB4_9922 Depth=2
	s_waitcnt lgkmcnt(0)
	s_waitcnt_vscnt null, 0x0
	buffer_gl1_inv
	buffer_gl0_inv
	s_barrier
.LBB4_10050:                            ;   in Loop: Header=BB4_9922 Depth=2
	s_or_b32 exec_lo, exec_lo, s14
.LBB4_10051:                            ;   in Loop: Header=BB4_9922 Depth=2
	s_delay_alu instid0(SALU_CYCLE_1) | instskip(SKIP_1) | instid1(SALU_CYCLE_1)
	s_or_b32 exec_lo, exec_lo, s13
	s_and_saveexec_b32 s13, s7
	s_xor_b32 s14, exec_lo, s13
	s_cbranch_execz .LBB4_10055
; %bb.10052:                            ;   in Loop: Header=BB4_9922 Depth=2
	v_and_b32_e32 v2, 16, v30
	v_cmp_lt_i32_e32 vcc_lo, 0, v17
	s_delay_alu instid0(VALU_DEP_2) | instskip(NEXT) | instid1(VALU_DEP_1)
	v_cmp_ne_u32_e64 s13, 0, v2
	s_and_b32 vcc_lo, s13, vcc_lo
	s_delay_alu instid0(SALU_CYCLE_1)
	s_and_saveexec_b32 s13, vcc_lo
	s_cbranch_execz .LBB4_10054
; %bb.10053:                            ;   in Loop: Header=BB4_9922 Depth=2
	s_waitcnt lgkmcnt(0)
	s_waitcnt_vscnt null, 0x0
	buffer_gl1_inv
	buffer_gl0_inv
.LBB4_10054:                            ;   in Loop: Header=BB4_9922 Depth=2
	s_or_b32 exec_lo, exec_lo, s13
.LBB4_10055:                            ;   in Loop: Header=BB4_9922 Depth=2
	s_and_not1_saveexec_b32 s13, s14
	s_cbranch_execz .LBB4_10077
; %bb.10056:                            ;   in Loop: Header=BB4_9922 Depth=2
	s_and_saveexec_b32 s14, s4
	s_delay_alu instid0(SALU_CYCLE_1)
	s_xor_b32 s14, exec_lo, s14
	s_cbranch_execz .LBB4_10074
; %bb.10057:                            ;   in Loop: Header=BB4_9922 Depth=2
	s_and_saveexec_b32 s38, s1
	s_cbranch_execz .LBB4_10073
; %bb.10058:                            ;   in Loop: Header=BB4_9922 Depth=2
	s_mov_b32 s40, exec_lo
	s_mov_b32 s39, exec_lo
	v_mbcnt_lo_u32_b32 v2, s40, 0
	;;#ASMSTART
	s_waitcnt lgkmcnt(0) vmcnt(0)
	;;#ASMEND
	s_delay_alu instid0(VALU_DEP_1)
	v_cmpx_eq_u32_e32 0, v2
	s_cbranch_execz .LBB4_10060
; %bb.10059:                            ;   in Loop: Header=BB4_9922 Depth=2
	s_bcnt1_i32_b32 vcc_lo, s40
	s_delay_alu instid0(SALU_CYCLE_1)
	v_mov_b32_e32 v2, vcc_lo
	ds_add_u64 v0, v[2:3]
	s_cbranch_execnz .LBB4_10606
.LBB4_10060:                            ;   in Loop: Header=BB4_9922 Depth=2
	s_or_b32 exec_lo, exec_lo, s39
	s_cbranch_execnz .LBB4_10586
; %bb.10061:                            ;   in Loop: Header=BB4_9922 Depth=2
	ds_load_b64 v[8:9], v0
	v_add_co_u32 v48, vcc_lo, v48, v97
	v_add_co_ci_u32_e32 v49, vcc_lo, 0, v49, vcc_lo
	s_mov_b32 s39, exec_lo
	s_waitcnt lgkmcnt(0)
	s_delay_alu instid0(VALU_DEP_1)
	v_cmpx_lt_u64_e64 v[8:9], v[48:49]
	s_cbranch_execz .LBB4_10072
; %bb.10062:                            ;   in Loop: Header=BB4_9922 Depth=2
	s_mov_b32 s40, 0
	s_mov_b32 s43, 0
                                        ; implicit-def: $sgpr41
                                        ; implicit-def: $sgpr42
	s_branch .LBB4_10064
.LBB4_10063:                            ;   in Loop: Header=BB4_10064 Depth=3
	s_or_b32 exec_lo, exec_lo, s45
	s_delay_alu instid0(SALU_CYCLE_1) | instskip(NEXT) | instid1(SALU_CYCLE_1)
	s_and_b32 vcc_lo, exec_lo, vcc_lo
	s_or_b32 s40, vcc_lo, s40
	s_and_not1_b32 vcc_lo, s41, exec_lo
	s_and_b32 s41, s42, exec_lo
	s_delay_alu instid0(SALU_CYCLE_1)
	s_or_b32 s41, vcc_lo, s41
	s_and_not1_b32 exec_lo, exec_lo, s40
	s_cbranch_execz .LBB4_10070
.LBB4_10064:                            ;   Parent Loop BB4_51 Depth=1
                                        ;     Parent Loop BB4_9922 Depth=2
                                        ; =>    This Inner Loop Header: Depth=3
	s_add_i32 s43, s43, 1
                                        ; implicit-def: $sgpr45
	s_delay_alu instid0(SALU_CYCLE_1) | instskip(SKIP_1) | instid1(SALU_CYCLE_1)
	s_cmpk_lg_i32 s43, 0x2710
	s_cselect_b32 s44, -1, 0
	s_and_b32 vcc_lo, exec_lo, s44
	s_cbranch_vccz .LBB4_10068
.LBB4_10065:                            ;   in Loop: Header=BB4_10064 Depth=3
	s_and_not1_b32 s42, s42, exec_lo
	s_and_b32 s45, s45, exec_lo
	s_mov_b32 vcc_lo, -1
	s_or_b32 s42, s42, s45
	s_and_saveexec_b32 s45, s44
	s_cbranch_execz .LBB4_10063
; %bb.10066:                            ;   in Loop: Header=BB4_10064 Depth=3
	s_sleep 1
	s_cbranch_execnz .LBB4_10640
; %bb.10067:                            ;   in Loop: Header=BB4_10064 Depth=3
	ds_load_b64 v[8:9], v0
	s_and_not1_b32 s42, s42, exec_lo
	s_waitcnt lgkmcnt(0)
	v_cmp_ge_u64_e32 vcc_lo, v[8:9], v[48:49]
	s_or_not1_b32 vcc_lo, vcc_lo, exec_lo
	s_branch .LBB4_10063
.LBB4_10068:                            ;   in Loop: Header=BB4_10064 Depth=3
	s_cbranch_execnz .LBB4_10654
; %bb.10069:                            ;   in Loop: Header=BB4_10064 Depth=3
	ds_load_b64 v[8:9], v0
	s_and_not1_b32 s44, s44, exec_lo
	s_mov_b32 s43, 0
	s_mov_b32 s45, -1
	s_waitcnt lgkmcnt(0)
	s_waitcnt_vscnt null, 0x0
	flat_load_b32 v2, v[8:9] glc
	s_waitcnt vmcnt(0) lgkmcnt(0)
	buffer_gl1_inv
	buffer_gl0_inv
	v_cmp_eq_u32_e32 vcc_lo, 0, v2
	s_and_b32 vcc_lo, vcc_lo, exec_lo
	s_delay_alu instid0(SALU_CYCLE_1)
	s_or_b32 s44, s44, vcc_lo
	s_branch .LBB4_10065
.LBB4_10070:                            ;   in Loop: Header=BB4_9922 Depth=2
	s_or_b32 exec_lo, exec_lo, s40
	s_and_saveexec_b32 vcc_lo, s41
	s_delay_alu instid0(SALU_CYCLE_1)
	s_xor_b32 vcc_lo, exec_lo, vcc_lo
	s_cbranch_execz .LBB4_10072
; %bb.10071:                            ;   in Loop: Header=BB4_9922 Depth=2
	ds_store_b32 v0, v134
	s_cbranch_execnz .LBB4_10702
.LBB4_10072:                            ;   in Loop: Header=BB4_9922 Depth=2
	s_or_b32 exec_lo, exec_lo, s39
	;;#ASMSTART
	s_wakeup
	;;#ASMEND
.LBB4_10073:                            ;   in Loop: Header=BB4_9922 Depth=2
	s_or_b32 exec_lo, exec_lo, s38
.LBB4_10074:                            ;   in Loop: Header=BB4_9922 Depth=2
	s_and_not1_saveexec_b32 s14, s14
	s_cbranch_execz .LBB4_10076
; %bb.10075:                            ;   in Loop: Header=BB4_9922 Depth=2
	;;#ASMSTART
	s_waitcnt lgkmcnt(0) vmcnt(0)
	;;#ASMEND
	s_waitcnt lgkmcnt(0)
	s_waitcnt_vscnt null, 0x0
	s_barrier
.LBB4_10076:                            ;   in Loop: Header=BB4_9922 Depth=2
	s_or_b32 exec_lo, exec_lo, s14
.LBB4_10077:                            ;   in Loop: Header=BB4_9922 Depth=2
	s_delay_alu instid0(SALU_CYCLE_1) | instskip(SKIP_2) | instid1(VALU_DEP_1)
	s_or_b32 exec_lo, exec_lo, s13
	v_and_b32_e32 v2, 32, v30
	s_mov_b32 s13, exec_lo
	v_cmpx_ne_u32_e32 0, v2
	s_cbranch_execz .LBB4_10079
; %bb.10078:                            ;   in Loop: Header=BB4_9922 Depth=2
	v_add_co_u32 v34, vcc_lo, v34, 2
	v_add_co_ci_u32_e32 v35, vcc_lo, 0, v35, vcc_lo
	s_waitcnt lgkmcnt(0)
	s_waitcnt_vscnt null, 0x0
	flat_store_b64 v[32:33], v[34:35]
.LBB4_10079:                            ;   in Loop: Header=BB4_9922 Depth=2
	s_or_b32 exec_lo, exec_lo, s13
	v_add_nc_u32_e32 v14, v13, v14
	s_xor_b32 s13, s17, -1
	v_mov_b32_e32 v2, s37
	s_mov_b32 s17, 0
	s_mov_b32 s37, 2
	v_cmp_ge_i32_e32 vcc_lo, v14, v12
	s_or_b32 s13, s13, vcc_lo
	s_delay_alu instid0(SALU_CYCLE_1) | instskip(NEXT) | instid1(SALU_CYCLE_1)
	s_and_b32 s13, exec_lo, s13
	s_or_b32 s16, s13, s16
	s_delay_alu instid0(SALU_CYCLE_1)
	s_and_not1_b32 exec_lo, exec_lo, s16
	s_cbranch_execnz .LBB4_9922
; %bb.10080:                            ;   in Loop: Header=BB4_51 Depth=1
	s_or_b32 exec_lo, exec_lo, s16
.LBB4_10081:                            ;   in Loop: Header=BB4_51 Depth=1
	s_delay_alu instid0(SALU_CYCLE_1) | instskip(NEXT) | instid1(SALU_CYCLE_1)
	s_or_b32 exec_lo, exec_lo, s15
	s_mov_b32 s14, exec_lo
	v_cmpx_gt_i32_e32 2, v2
	s_cbranch_execz .LBB4_10160
; %bb.10082:                            ;   in Loop: Header=BB4_51 Depth=1
	v_cmp_eq_u32_e64 s13, 0, v2
	s_mov_b32 s15, 0
.LBB4_10083:                            ;   Parent Loop BB4_51 Depth=1
                                        ; =>  This Loop Header: Depth=2
                                        ;       Child Loop BB4_10089 Depth 3
                                        ;       Child Loop BB4_10116 Depth 3
	;; [unrolled: 1-line block ×3, first 2 shown]
	v_and_b32_e32 v2, 4, v30
	s_mov_b32 s17, -1
	s_mov_b32 s16, exec_lo
	s_delay_alu instid0(VALU_DEP_1)
	v_cmpx_ne_u32_e32 0, v2
	s_cbranch_execz .LBB4_10097
; %bb.10084:                            ;   in Loop: Header=BB4_10083 Depth=2
	v_add_co_u32 v8, vcc_lo, v34, 2
	v_add_co_ci_u32_e32 v9, vcc_lo, 0, v35, vcc_lo
	v_mov_b32_e32 v2, 1
	s_mov_b32 s17, exec_lo
	s_delay_alu instid0(VALU_DEP_2)
	v_cmpx_lt_u64_e64 v[50:51], v[8:9]
	s_cbranch_execz .LBB4_10096
; %bb.10085:                            ;   in Loop: Header=BB4_10083 Depth=2
	v_mov_b32_e32 v2, 0
	s_mov_b32 s37, 0
                                        ; implicit-def: $sgpr38
	s_branch .LBB4_10089
.LBB4_10086:                            ;   in Loop: Header=BB4_10089 Depth=3
	s_or_b32 exec_lo, exec_lo, s42
	v_mov_b32_e32 v10, 0
	s_or_not1_b32 s41, s41, exec_lo
.LBB4_10087:                            ;   in Loop: Header=BB4_10089 Depth=3
	s_or_b32 exec_lo, exec_lo, s40
	s_delay_alu instid0(VALU_DEP_1) | instskip(SKIP_2) | instid1(SALU_CYCLE_1)
	v_mov_b32_e32 v2, v10
	s_and_not1_b32 vcc_lo, s38, exec_lo
	s_and_b32 s38, s41, exec_lo
	s_or_b32 s38, vcc_lo, s38
.LBB4_10088:                            ;   in Loop: Header=BB4_10089 Depth=3
	s_or_b32 exec_lo, exec_lo, s39
	s_waitcnt vmcnt(0) lgkmcnt(0)
	v_cmp_ge_u64_e32 vcc_lo, v[50:51], v[8:9]
	s_xor_b32 s39, s38, -1
	s_delay_alu instid0(SALU_CYCLE_1) | instskip(NEXT) | instid1(SALU_CYCLE_1)
	s_or_b32 vcc_lo, s39, vcc_lo
	s_and_b32 vcc_lo, exec_lo, vcc_lo
	s_delay_alu instid0(SALU_CYCLE_1) | instskip(NEXT) | instid1(SALU_CYCLE_1)
	s_or_b32 s37, vcc_lo, s37
	s_and_not1_b32 exec_lo, exec_lo, s37
	s_cbranch_execz .LBB4_10095
.LBB4_10089:                            ;   Parent Loop BB4_51 Depth=1
                                        ;     Parent Loop BB4_10083 Depth=2
                                        ; =>    This Inner Loop Header: Depth=3
	s_sleep 1
	flat_load_b64 v[50:51], v[32:33] glc
	v_and_b32_e32 v10, 64, v30
	s_and_not1_b32 s38, s38, exec_lo
	s_mov_b32 s39, exec_lo
	s_delay_alu instid0(VALU_DEP_1)
	v_cmpx_eq_u32_e32 0, v10
	s_cbranch_execz .LBB4_10088
; %bb.10090:                            ;   in Loop: Header=BB4_10089 Depth=3
	v_add_nc_u32_e32 v10, 1, v2
	s_mov_b32 s41, -1
	s_mov_b32 s40, exec_lo
	v_cmpx_lt_i32_e32 0x270e, v2
	s_cbranch_execz .LBB4_10087
; %bb.10091:                            ;   in Loop: Header=BB4_10089 Depth=3
	s_cbranch_execnz .LBB4_10374
; %bb.10092:                            ;   in Loop: Header=BB4_10089 Depth=3
	ds_load_b64 v[10:11], v0
	s_mov_b32 s42, exec_lo
	s_waitcnt vmcnt(0) lgkmcnt(0)
	s_waitcnt_vscnt null, 0x0
	flat_load_b32 v2, v[10:11] glc
	s_waitcnt vmcnt(0) lgkmcnt(0)
	buffer_gl1_inv
	buffer_gl0_inv
	v_cmpx_ne_u32_e32 0, v2
	s_cbranch_execz .LBB4_10086
; %bb.10093:                            ;   in Loop: Header=BB4_10089 Depth=3
	ds_store_b32 v0, v2
	s_cbranch_execnz .LBB4_10448
; %bb.10094:                            ;   in Loop: Header=BB4_10089 Depth=3
	v_or_b32_e32 v30, 64, v30
	s_xor_b32 s41, exec_lo, -1
	s_branch .LBB4_10086
.LBB4_10095:                            ;   in Loop: Header=BB4_10083 Depth=2
	s_or_b32 exec_lo, exec_lo, s37
	v_and_b32_e32 v2, 4, v30
.LBB4_10096:                            ;   in Loop: Header=BB4_10083 Depth=2
	s_or_b32 exec_lo, exec_lo, s17
	s_delay_alu instid0(VALU_DEP_1)
	v_cmp_eq_u32_e32 vcc_lo, 0, v2
	;;#ASMSTART
	s_wakeup
	;;#ASMEND
	s_or_not1_b32 s17, vcc_lo, exec_lo
.LBB4_10097:                            ;   in Loop: Header=BB4_10083 Depth=2
	s_or_b32 exec_lo, exec_lo, s16
	s_xor_b32 s13, s13, -1
	s_delay_alu instid0(SALU_CYCLE_1) | instskip(NEXT) | instid1(SALU_CYCLE_1)
	s_and_b32 s13, exec_lo, s13
	s_or_b32 s15, s13, s15
	s_xor_b32 s13, s17, -1
	s_delay_alu instid0(SALU_CYCLE_1)
	s_and_saveexec_b32 s16, s13
	s_cbranch_execz .LBB4_10107
; %bb.10098:                            ;   in Loop: Header=BB4_10083 Depth=2
	v_and_b32_e32 v2, 0x100, v30
	s_mov_b32 s13, -1
                                        ; implicit-def: $vgpr8_vgpr9
	s_delay_alu instid0(VALU_DEP_1)
	v_cmp_ne_u32_e32 vcc_lo, 0, v2
	v_and_b32_e32 v2, 7, v34
	s_and_saveexec_b32 s17, vcc_lo
	s_cbranch_execz .LBB4_10102
; %bb.10099:                            ;   in Loop: Header=BB4_10083 Depth=2
	s_delay_alu instid0(VALU_DEP_1) | instskip(SKIP_4) | instid1(VALU_DEP_1)
	v_mad_u64_u32 v[10:11], null, v2, 24, v[6:7]
	flat_load_b32 v8, v[10:11]
	s_waitcnt vmcnt(0) lgkmcnt(0)
	v_cmp_ne_u32_e32 vcc_lo, 1, v8
	v_cmp_eq_u32_e64 s13, 1, v8
                                        ; implicit-def: $vgpr8_vgpr9
	s_and_saveexec_b32 s37, s13
	s_cbranch_execz .LBB4_10101
; %bb.10100:                            ;   in Loop: Header=BB4_10083 Depth=2
	flat_load_b32 v8, v[10:11] offset:4 glc
	s_waitcnt vmcnt(0) lgkmcnt(0)
	v_ashrrev_i32_e32 v9, 31, v8
.LBB4_10101:                            ;   in Loop: Header=BB4_10083 Depth=2
	s_or_b32 exec_lo, exec_lo, s37
	s_delay_alu instid0(SALU_CYCLE_1)
	s_or_not1_b32 s13, vcc_lo, exec_lo
.LBB4_10102:                            ;   in Loop: Header=BB4_10083 Depth=2
	s_or_b32 exec_lo, exec_lo, s17
	s_and_saveexec_b32 s17, s13
; %bb.10103:                            ;   in Loop: Header=BB4_10083 Depth=2
	v_mad_i64_i32 v[8:9], null, v2, v86, 0
; %bb.10104:                            ;   in Loop: Header=BB4_10083 Depth=2
	s_or_b32 exec_lo, exec_lo, s17
	s_delay_alu instid0(VALU_DEP_1) | instskip(SKIP_1) | instid1(VALU_DEP_3)
	v_add_co_u32 v8, vcc_lo, v36, v8
	v_and_b32_e32 v2, 0x2000, v30
	v_add_co_ci_u32_e32 v9, vcc_lo, v37, v9, vcc_lo
	s_mov_b32 s13, exec_lo
	ds_store_b64 v0, v[8:9] offset:720
	v_cmpx_ne_u32_e32 0, v2
	s_cbranch_execz .LBB4_10106
; %bb.10105:                            ;   in Loop: Header=BB4_10083 Depth=2
	ds_load_b64 v[8:9], v0 offset:584
	s_waitcnt lgkmcnt(0)
	v_add_co_u32 v8, vcc_lo, v8, 1
	v_add_co_ci_u32_e32 v9, vcc_lo, 0, v9, vcc_lo
	ds_store_b64 v0, v[8:9] offset:584
.LBB4_10106:                            ;   in Loop: Header=BB4_10083 Depth=2
	s_or_b32 exec_lo, exec_lo, s13
	v_add_co_u32 v34, vcc_lo, v34, 2
	v_add_co_ci_u32_e32 v35, vcc_lo, 0, v35, vcc_lo
.LBB4_10107:                            ;   in Loop: Header=BB4_10083 Depth=2
	s_or_b32 exec_lo, exec_lo, s16
	s_and_saveexec_b32 s13, s3
	s_cbranch_execz .LBB4_10129
; %bb.10108:                            ;   in Loop: Header=BB4_10083 Depth=2
	s_and_saveexec_b32 s16, s4
	s_delay_alu instid0(SALU_CYCLE_1)
	s_xor_b32 s16, exec_lo, s16
	s_cbranch_execz .LBB4_10126
; %bb.10109:                            ;   in Loop: Header=BB4_10083 Depth=2
	s_and_saveexec_b32 s17, s1
	s_cbranch_execz .LBB4_10125
; %bb.10110:                            ;   in Loop: Header=BB4_10083 Depth=2
	s_mov_b32 s38, exec_lo
	s_mov_b32 s37, exec_lo
	v_mbcnt_lo_u32_b32 v2, s38, 0
	s_waitcnt vmcnt(0) lgkmcnt(0)
	s_waitcnt_vscnt null, 0x0
	buffer_gl1_inv
	buffer_gl0_inv
	v_cmpx_eq_u32_e32 0, v2
	s_cbranch_execz .LBB4_10112
; %bb.10111:                            ;   in Loop: Header=BB4_10083 Depth=2
	s_bcnt1_i32_b32 vcc_lo, s38
	s_delay_alu instid0(SALU_CYCLE_1)
	v_mov_b32_e32 v2, vcc_lo
	ds_add_u64 v0, v[2:3]
	s_cbranch_execnz .LBB4_10482
.LBB4_10112:                            ;   in Loop: Header=BB4_10083 Depth=2
	s_or_b32 exec_lo, exec_lo, s37
	s_cbranch_execnz .LBB4_10456
; %bb.10113:                            ;   in Loop: Header=BB4_10083 Depth=2
	ds_load_b64 v[8:9], v0
	v_add_co_u32 v48, vcc_lo, v48, v97
	v_add_co_ci_u32_e32 v49, vcc_lo, 0, v49, vcc_lo
	s_mov_b32 s37, exec_lo
	s_waitcnt lgkmcnt(0)
	s_delay_alu instid0(VALU_DEP_1)
	v_cmpx_lt_u64_e64 v[8:9], v[48:49]
	s_cbranch_execz .LBB4_10124
; %bb.10114:                            ;   in Loop: Header=BB4_10083 Depth=2
	s_mov_b32 s38, 0
	s_mov_b32 s41, 0
                                        ; implicit-def: $sgpr39
                                        ; implicit-def: $sgpr40
	s_branch .LBB4_10116
.LBB4_10115:                            ;   in Loop: Header=BB4_10116 Depth=3
	s_or_b32 exec_lo, exec_lo, s43
	s_delay_alu instid0(SALU_CYCLE_1) | instskip(NEXT) | instid1(SALU_CYCLE_1)
	s_and_b32 vcc_lo, exec_lo, vcc_lo
	s_or_b32 s38, vcc_lo, s38
	s_and_not1_b32 vcc_lo, s39, exec_lo
	s_and_b32 s39, s40, exec_lo
	s_delay_alu instid0(SALU_CYCLE_1)
	s_or_b32 s39, vcc_lo, s39
	s_and_not1_b32 exec_lo, exec_lo, s38
	s_cbranch_execz .LBB4_10122
.LBB4_10116:                            ;   Parent Loop BB4_51 Depth=1
                                        ;     Parent Loop BB4_10083 Depth=2
                                        ; =>    This Inner Loop Header: Depth=3
	s_add_i32 s41, s41, 1
                                        ; implicit-def: $sgpr43
	s_delay_alu instid0(SALU_CYCLE_1) | instskip(SKIP_1) | instid1(SALU_CYCLE_1)
	s_cmpk_lg_i32 s41, 0x2710
	s_cselect_b32 s42, -1, 0
	s_and_b32 vcc_lo, exec_lo, s42
	s_cbranch_vccz .LBB4_10120
.LBB4_10117:                            ;   in Loop: Header=BB4_10116 Depth=3
	s_and_not1_b32 s40, s40, exec_lo
	s_and_b32 s43, s43, exec_lo
	s_mov_b32 vcc_lo, -1
	s_or_b32 s40, s40, s43
	s_and_saveexec_b32 s43, s42
	s_cbranch_execz .LBB4_10115
; %bb.10118:                            ;   in Loop: Header=BB4_10116 Depth=3
	s_sleep 1
	s_cbranch_execnz .LBB4_10530
; %bb.10119:                            ;   in Loop: Header=BB4_10116 Depth=3
	ds_load_b64 v[8:9], v0
	s_and_not1_b32 s40, s40, exec_lo
	s_waitcnt lgkmcnt(0)
	v_cmp_ge_u64_e32 vcc_lo, v[8:9], v[48:49]
	s_or_not1_b32 vcc_lo, vcc_lo, exec_lo
	s_branch .LBB4_10115
.LBB4_10120:                            ;   in Loop: Header=BB4_10116 Depth=3
	s_cbranch_execnz .LBB4_10552
; %bb.10121:                            ;   in Loop: Header=BB4_10116 Depth=3
	ds_load_b64 v[8:9], v0
	s_and_not1_b32 s42, s42, exec_lo
	s_mov_b32 s41, 0
	s_mov_b32 s43, -1
	s_waitcnt lgkmcnt(0)
	flat_load_b32 v2, v[8:9] glc
	s_waitcnt vmcnt(0) lgkmcnt(0)
	buffer_gl1_inv
	buffer_gl0_inv
	v_cmp_eq_u32_e32 vcc_lo, 0, v2
	s_and_b32 vcc_lo, vcc_lo, exec_lo
	s_delay_alu instid0(SALU_CYCLE_1)
	s_or_b32 s42, s42, vcc_lo
	s_branch .LBB4_10117
.LBB4_10122:                            ;   in Loop: Header=BB4_10083 Depth=2
	s_or_b32 exec_lo, exec_lo, s38
	s_and_saveexec_b32 vcc_lo, s39
	s_delay_alu instid0(SALU_CYCLE_1)
	s_xor_b32 vcc_lo, exec_lo, vcc_lo
	s_cbranch_execz .LBB4_10124
; %bb.10123:                            ;   in Loop: Header=BB4_10083 Depth=2
	ds_store_b32 v0, v134
	s_cbranch_execnz .LBB4_10676
.LBB4_10124:                            ;   in Loop: Header=BB4_10083 Depth=2
	s_or_b32 exec_lo, exec_lo, s37
	;;#ASMSTART
	s_wakeup
	;;#ASMEND
.LBB4_10125:                            ;   in Loop: Header=BB4_10083 Depth=2
	s_or_b32 exec_lo, exec_lo, s17
.LBB4_10126:                            ;   in Loop: Header=BB4_10083 Depth=2
	s_and_not1_saveexec_b32 s16, s16
	s_cbranch_execz .LBB4_10128
; %bb.10127:                            ;   in Loop: Header=BB4_10083 Depth=2
	s_waitcnt vmcnt(0) lgkmcnt(0)
	s_waitcnt_vscnt null, 0x0
	buffer_gl1_inv
	buffer_gl0_inv
	s_barrier
.LBB4_10128:                            ;   in Loop: Header=BB4_10083 Depth=2
	s_or_b32 exec_lo, exec_lo, s16
.LBB4_10129:                            ;   in Loop: Header=BB4_10083 Depth=2
	s_delay_alu instid0(SALU_CYCLE_1) | instskip(SKIP_1) | instid1(VALU_DEP_1)
	s_or_b32 exec_lo, exec_lo, s13
	v_sub_nc_u32_e32 v2, v12, v14
	v_min_i32_e32 v13, v13, v2
	s_and_saveexec_b32 s13, s7
	s_delay_alu instid0(SALU_CYCLE_1)
	s_xor_b32 s16, exec_lo, s13
	s_cbranch_execz .LBB4_10134
; %bb.10130:                            ;   in Loop: Header=BB4_10083 Depth=2
	s_cbranch_execnz .LBB4_10370
; %bb.10131:                            ;   in Loop: Header=BB4_10083 Depth=2
	ds_load_b32 v2, v0
	v_cmp_lt_i32_e32 vcc_lo, 0, v13
	s_waitcnt lgkmcnt(0)
	v_readfirstlane_b32 s13, v2
	v_and_b32_e32 v2, 16, v30
	s_delay_alu instid0(VALU_DEP_2) | instskip(NEXT) | instid1(VALU_DEP_1)
	s_cmp_eq_u32 s13, 0
	v_cmp_ne_u32_e64 s13, 0, v2
	s_cselect_b32 s17, -1, 0
	s_delay_alu instid0(SALU_CYCLE_1)
	s_and_b32 s17, vcc_lo, s17
	s_delay_alu instid0(VALU_DEP_1) | instid1(SALU_CYCLE_1)
	s_and_b32 s17, s13, s17
	s_delay_alu instid0(SALU_CYCLE_1)
	s_and_saveexec_b32 s13, s17
	s_cbranch_execz .LBB4_10133
; %bb.10132:                            ;   in Loop: Header=BB4_10083 Depth=2
	s_waitcnt vmcnt(0)
	s_waitcnt_vscnt null, 0x0
	buffer_gl1_inv
	buffer_gl0_inv
.LBB4_10133:                            ;   in Loop: Header=BB4_10083 Depth=2
	s_or_b32 exec_lo, exec_lo, s13
.LBB4_10134:                            ;   in Loop: Header=BB4_10083 Depth=2
	s_and_not1_saveexec_b32 s13, s16
	s_cbranch_execz .LBB4_10156
; %bb.10135:                            ;   in Loop: Header=BB4_10083 Depth=2
	s_and_saveexec_b32 s16, s4
	s_delay_alu instid0(SALU_CYCLE_1)
	s_xor_b32 s16, exec_lo, s16
	s_cbranch_execz .LBB4_10153
; %bb.10136:                            ;   in Loop: Header=BB4_10083 Depth=2
	s_and_saveexec_b32 s17, s1
	s_cbranch_execz .LBB4_10152
; %bb.10137:                            ;   in Loop: Header=BB4_10083 Depth=2
	s_mov_b32 s38, exec_lo
	s_mov_b32 s37, exec_lo
	v_mbcnt_lo_u32_b32 v2, s38, 0
	;;#ASMSTART
	s_waitcnt lgkmcnt(0) vmcnt(0)
	;;#ASMEND
	s_delay_alu instid0(VALU_DEP_1)
	v_cmpx_eq_u32_e32 0, v2
	s_cbranch_execz .LBB4_10139
; %bb.10138:                            ;   in Loop: Header=BB4_10083 Depth=2
	s_bcnt1_i32_b32 vcc_lo, s38
	s_delay_alu instid0(SALU_CYCLE_1)
	v_mov_b32_e32 v2, vcc_lo
	ds_add_u64 v0, v[2:3]
	s_cbranch_execnz .LBB4_10510
.LBB4_10139:                            ;   in Loop: Header=BB4_10083 Depth=2
	s_or_b32 exec_lo, exec_lo, s37
	s_cbranch_execnz .LBB4_10480
; %bb.10140:                            ;   in Loop: Header=BB4_10083 Depth=2
	ds_load_b64 v[8:9], v0
	v_add_co_u32 v48, vcc_lo, v48, v97
	v_add_co_ci_u32_e32 v49, vcc_lo, 0, v49, vcc_lo
	s_mov_b32 s37, exec_lo
	s_waitcnt lgkmcnt(0)
	s_delay_alu instid0(VALU_DEP_1)
	v_cmpx_lt_u64_e64 v[8:9], v[48:49]
	s_cbranch_execz .LBB4_10151
; %bb.10141:                            ;   in Loop: Header=BB4_10083 Depth=2
	s_mov_b32 s38, 0
	s_mov_b32 s41, 0
                                        ; implicit-def: $sgpr39
                                        ; implicit-def: $sgpr40
	s_branch .LBB4_10143
.LBB4_10142:                            ;   in Loop: Header=BB4_10143 Depth=3
	s_or_b32 exec_lo, exec_lo, s43
	s_delay_alu instid0(SALU_CYCLE_1) | instskip(NEXT) | instid1(SALU_CYCLE_1)
	s_and_b32 vcc_lo, exec_lo, vcc_lo
	s_or_b32 s38, vcc_lo, s38
	s_and_not1_b32 vcc_lo, s39, exec_lo
	s_and_b32 s39, s40, exec_lo
	s_delay_alu instid0(SALU_CYCLE_1)
	s_or_b32 s39, vcc_lo, s39
	s_and_not1_b32 exec_lo, exec_lo, s38
	s_cbranch_execz .LBB4_10149
.LBB4_10143:                            ;   Parent Loop BB4_51 Depth=1
                                        ;     Parent Loop BB4_10083 Depth=2
                                        ; =>    This Inner Loop Header: Depth=3
	s_add_i32 s41, s41, 1
                                        ; implicit-def: $sgpr43
	s_delay_alu instid0(SALU_CYCLE_1) | instskip(SKIP_1) | instid1(SALU_CYCLE_1)
	s_cmpk_lg_i32 s41, 0x2710
	s_cselect_b32 s42, -1, 0
	s_and_b32 vcc_lo, exec_lo, s42
	s_cbranch_vccz .LBB4_10147
.LBB4_10144:                            ;   in Loop: Header=BB4_10143 Depth=3
	s_and_not1_b32 s40, s40, exec_lo
	s_and_b32 s43, s43, exec_lo
	s_mov_b32 vcc_lo, -1
	s_or_b32 s40, s40, s43
	s_and_saveexec_b32 s43, s42
	s_cbranch_execz .LBB4_10142
; %bb.10145:                            ;   in Loop: Header=BB4_10143 Depth=3
	s_sleep 1
	s_cbranch_execnz .LBB4_10564
; %bb.10146:                            ;   in Loop: Header=BB4_10143 Depth=3
	ds_load_b64 v[8:9], v0
	s_and_not1_b32 s40, s40, exec_lo
	s_waitcnt lgkmcnt(0)
	v_cmp_ge_u64_e32 vcc_lo, v[8:9], v[48:49]
	s_or_not1_b32 vcc_lo, vcc_lo, exec_lo
	s_branch .LBB4_10142
.LBB4_10147:                            ;   in Loop: Header=BB4_10143 Depth=3
	s_cbranch_execnz .LBB4_10584
; %bb.10148:                            ;   in Loop: Header=BB4_10143 Depth=3
	ds_load_b64 v[8:9], v0
	s_and_not1_b32 s42, s42, exec_lo
	s_mov_b32 s41, 0
	s_mov_b32 s43, -1
	s_waitcnt vmcnt(0) lgkmcnt(0)
	s_waitcnt_vscnt null, 0x0
	flat_load_b32 v2, v[8:9] glc
	s_waitcnt vmcnt(0) lgkmcnt(0)
	buffer_gl1_inv
	buffer_gl0_inv
	v_cmp_eq_u32_e32 vcc_lo, 0, v2
	s_and_b32 vcc_lo, vcc_lo, exec_lo
	s_delay_alu instid0(SALU_CYCLE_1)
	s_or_b32 s42, s42, vcc_lo
	s_branch .LBB4_10144
.LBB4_10149:                            ;   in Loop: Header=BB4_10083 Depth=2
	s_or_b32 exec_lo, exec_lo, s38
	s_and_saveexec_b32 vcc_lo, s39
	s_delay_alu instid0(SALU_CYCLE_1)
	s_xor_b32 vcc_lo, exec_lo, vcc_lo
	s_cbranch_execz .LBB4_10151
; %bb.10150:                            ;   in Loop: Header=BB4_10083 Depth=2
	ds_store_b32 v0, v134
	s_cbranch_execnz .LBB4_10690
.LBB4_10151:                            ;   in Loop: Header=BB4_10083 Depth=2
	s_or_b32 exec_lo, exec_lo, s37
	;;#ASMSTART
	s_wakeup
	;;#ASMEND
.LBB4_10152:                            ;   in Loop: Header=BB4_10083 Depth=2
	s_or_b32 exec_lo, exec_lo, s17
.LBB4_10153:                            ;   in Loop: Header=BB4_10083 Depth=2
	s_and_not1_saveexec_b32 s16, s16
	s_cbranch_execz .LBB4_10155
; %bb.10154:                            ;   in Loop: Header=BB4_10083 Depth=2
	;;#ASMSTART
	s_waitcnt lgkmcnt(0) vmcnt(0)
	;;#ASMEND
	s_waitcnt vmcnt(0) lgkmcnt(0)
	s_waitcnt_vscnt null, 0x0
	s_barrier
.LBB4_10155:                            ;   in Loop: Header=BB4_10083 Depth=2
	s_or_b32 exec_lo, exec_lo, s16
.LBB4_10156:                            ;   in Loop: Header=BB4_10083 Depth=2
	s_delay_alu instid0(SALU_CYCLE_1) | instskip(SKIP_2) | instid1(VALU_DEP_1)
	s_or_b32 exec_lo, exec_lo, s13
	v_and_b32_e32 v2, 32, v30
	s_mov_b32 s13, exec_lo
	v_cmpx_ne_u32_e32 0, v2
	s_cbranch_execz .LBB4_10158
; %bb.10157:                            ;   in Loop: Header=BB4_10083 Depth=2
	v_add_co_u32 v34, vcc_lo, v34, 2
	v_add_co_ci_u32_e32 v35, vcc_lo, 0, v35, vcc_lo
	s_waitcnt vmcnt(0) lgkmcnt(0)
	s_waitcnt_vscnt null, 0x0
	flat_store_b64 v[32:33], v[34:35]
.LBB4_10158:                            ;   in Loop: Header=BB4_10083 Depth=2
	s_or_b32 exec_lo, exec_lo, s13
	v_add_nc_u32_e32 v14, v13, v14
	s_mov_b32 s13, 0
	s_and_not1_b32 exec_lo, exec_lo, s15
	s_cbranch_execnz .LBB4_10083
; %bb.10159:                            ;   in Loop: Header=BB4_51 Depth=1
	s_or_b32 exec_lo, exec_lo, s15
.LBB4_10160:                            ;   in Loop: Header=BB4_51 Depth=1
	s_delay_alu instid0(SALU_CYCLE_1) | instskip(SKIP_2) | instid1(VALU_DEP_1)
	s_or_b32 exec_lo, exec_lo, s14
	v_add_co_u32 v54, vcc_lo, v54, v52
	v_add_co_ci_u32_e32 v55, vcc_lo, v55, v53, vcc_lo
	v_cmp_ge_i64_e32 vcc_lo, v[54:55], v[4:5]
	s_or_b32 s24, vcc_lo, s24
	s_delay_alu instid0(SALU_CYCLE_1)
	s_and_not1_b32 exec_lo, exec_lo, s24
	s_cbranch_execz .LBB4_10161
; %bb.10970:                            ;   in Loop: Header=BB4_51 Depth=1
	s_getpc_b64 s[48:49]
.Lpost_getpc262:
	s_add_u32 s48, s48, (.LBB4_51-.Lpost_getpc262)&4294967295
	s_addc_u32 s49, s49, (.LBB4_51-.Lpost_getpc262)>>32
	s_setpc_b64 s[48:49]
.LBB4_10161:
	s_or_b32 exec_lo, exec_lo, s24
.LBB4_10162:
	s_delay_alu instid0(SALU_CYCLE_1)
	s_or_b32 exec_lo, exec_lo, s20
; %bb.10163:
	v_and_b32_e32 v0, 0x800, v30
	s_mov_b32 s0, exec_lo
	s_delay_alu instid0(VALU_DEP_1)
	v_cmpx_eq_u32_e32 0, v0
	s_cbranch_execz .LBB4_10420
; %bb.10164:
	v_and_b32_e32 v0, 48, v30
	s_mov_b32 s1, exec_lo
	s_delay_alu instid0(VALU_DEP_1)
	v_cmpx_ne_u32_e32 0, v0
	s_cbranch_execz .LBB4_10166
; %bb.10165:
	flat_store_b64 v[28:29], v[34:35] offset:104
.LBB4_10166:
	s_or_b32 exec_lo, exec_lo, s1
	v_and_b32_e32 v0, 0x88, v30
	s_mov_b32 s1, exec_lo
	s_delay_alu instid0(VALU_DEP_1)
	v_cmpx_eq_u32_e32 0x88, v0
	s_cbranch_execz .LBB4_10216
; %bb.10167:
	v_add_nc_u32_e32 v0, 6, v34
	s_mov_b32 s2, 0
                                        ; implicit-def: $sgpr3
	s_delay_alu instid0(VALU_DEP_1) | instskip(NEXT) | instid1(VALU_DEP_1)
	v_and_b32_e32 v0, 7, v0
	v_mad_u64_u32 v[2:3], null, v0, 24, v[6:7]
	v_mov_b32_e32 v0, 0
	s_delay_alu instid0(VALU_DEP_2) | instskip(NEXT) | instid1(VALU_DEP_3)
	v_add_co_u32 v2, vcc_lo, v2, 8
	v_add_co_ci_u32_e32 v3, vcc_lo, 0, v3, vcc_lo
	s_branch .LBB4_10202
.LBB4_10168:
	s_trap 2
	s_sendmsg_rtn_b32 s0, sendmsg(MSG_RTN_GET_DOORBELL)
	s_mov_b32 ttmp2, m0
	s_waitcnt lgkmcnt(0)
	s_and_b32 s0, s0, 0x3ff
	s_delay_alu instid0(SALU_CYCLE_1) | instskip(NEXT) | instid1(SALU_CYCLE_1)
	s_bitset1_b32 s0, 10
	s_mov_b32 m0, s0
	s_sendmsg sendmsg(MSG_INTERRUPT)
	s_mov_b32 m0, ttmp2
.LBB4_10169:                            ; =>This Inner Loop Header: Depth=1
	s_sethalt 5
	s_branch .LBB4_10169
.LBB4_10170:
	v_bfe_u32 v9, v7, 8, 8
	v_not_b32_e32 v8, v8
	s_mov_b32 s1, exec_lo
                                        ; implicit-def: $vgpr14_vgpr15
                                        ; implicit-def: $vgpr24_vgpr25
                                        ; implicit-def: $vgpr4_vgpr5
	s_delay_alu instid0(VALU_DEP_2)
	v_cmpx_ne_u32_e64 v9, v6
	s_xor_b32 s1, exec_lo, s1
	s_cbranch_execz .LBB4_10172
; %bb.10171:
	s_clause 0x1
	flat_load_b128 v[9:12], v[2:3] offset:72
	flat_load_b64 v[4:5], v[2:3] offset:96
	v_add_nc_u32_e32 v6, v6, v8
                                        ; implicit-def: $vgpr8
	s_waitcnt vmcnt(0) lgkmcnt(0)
	v_lshrrev_b64 v[14:15], 12, v[4:5]
	v_dual_mov_b32 v4, v11 :: v_dual_mov_b32 v5, v12
	s_delay_alu instid0(VALU_DEP_3) | instskip(SKIP_2) | instid1(VALU_DEP_3)
	v_ashrrev_i32_e32 v7, 31, v6
	v_mad_u64_u32 v[24:25], null, v11, v6, v[9:10]
	v_mul_lo_u32 v6, v12, v6
                                        ; implicit-def: $vgpr9
	v_mul_lo_u32 v7, v11, v7
	s_delay_alu instid0(VALU_DEP_1)
	v_add3_u32 v25, v6, v25, v7
.LBB4_10172:
	s_and_not1_saveexec_b32 s1, s1
	s_cbranch_execz .LBB4_10174
; %bb.10173:
	s_clause 0x1
	flat_load_b128 v[10:13], v[2:3] offset:72
	flat_load_b128 v[4:7], v[2:3] offset:88
	s_waitcnt vmcnt(0) lgkmcnt(0)
	v_add_nc_u32_e32 v6, v9, v8
	s_delay_alu instid0(VALU_DEP_1) | instskip(NEXT) | instid1(VALU_DEP_1)
	v_ashrrev_i32_e32 v8, 31, v6
	v_mul_lo_u32 v8, v12, v8
	v_mad_u64_u32 v[24:25], null, v12, v6, v[10:11]
	v_mul_lo_u32 v6, v13, v6
	v_lshrrev_b32_e32 v14, 1, v7
	s_delay_alu instid0(VALU_DEP_2)
	v_add3_u32 v25, v6, v25, v8
.LBB4_10174:
	s_or_b32 exec_lo, exec_lo, s1
	s_and_not1_saveexec_b32 s0, s0
	s_cbranch_execnz .LBB4_10175
; %bb.10972:
	s_getpc_b64 s[48:49]
.Lpost_getpc263:
	s_add_u32 s48, s48, (.LBB4_3-.Lpost_getpc263)&4294967295
	s_addc_u32 s49, s49, (.LBB4_3-.Lpost_getpc263)>>32
	s_setpc_b64 s[48:49]
.LBB4_10175:
	s_clause 0x1
	flat_load_b64 v[6:7], v[2:3] offset:96
	flat_load_b64 v[4:5], v[2:3] offset:72
	v_mov_b32_e32 v24, 0
	v_mov_b32_e32 v25, 0
	s_waitcnt vmcnt(1) lgkmcnt(1)
	v_lshlrev_b64 v[14:15], 9, v[6:7]
	s_or_b32 exec_lo, exec_lo, s0
	s_cbranch_execnz .LBB4_10176
; %bb.10974:
	s_getpc_b64 s[48:49]
.Lpost_getpc264:
	s_add_u32 s48, s48, (.LBB4_4-.Lpost_getpc264)&4294967295
	s_addc_u32 s49, s49, (.LBB4_4-.Lpost_getpc264)>>32
	s_setpc_b64 s[48:49]
.LBB4_10176:
	s_trap 2
	s_sendmsg_rtn_b32 s0, sendmsg(MSG_RTN_GET_DOORBELL)
	s_mov_b32 ttmp2, m0
	s_waitcnt lgkmcnt(0)
	s_and_b32 s0, s0, 0x3ff
	s_delay_alu instid0(SALU_CYCLE_1) | instskip(NEXT) | instid1(SALU_CYCLE_1)
	s_bitset1_b32 s0, 10
	s_mov_b32 m0, s0
	s_sendmsg sendmsg(MSG_INTERRUPT)
	s_mov_b32 m0, ttmp2
.LBB4_10177:                            ; =>This Inner Loop Header: Depth=1
	s_sethalt 5
	s_branch .LBB4_10177
.LBB4_10178:
	s_trap 2
	s_sendmsg_rtn_b32 s0, sendmsg(MSG_RTN_GET_DOORBELL)
	s_mov_b32 ttmp2, m0
	s_waitcnt lgkmcnt(0)
	s_and_b32 s0, s0, 0x3ff
	s_delay_alu instid0(SALU_CYCLE_1) | instskip(NEXT) | instid1(SALU_CYCLE_1)
	s_bitset1_b32 s0, 10
	s_mov_b32 m0, s0
	s_sendmsg sendmsg(MSG_INTERRUPT)
	s_mov_b32 m0, ttmp2
.LBB4_10179:                            ; =>This Inner Loop Header: Depth=1
	s_sethalt 5
	s_branch .LBB4_10179
.LBB4_10180:
	s_trap 2
	s_sendmsg_rtn_b32 s0, sendmsg(MSG_RTN_GET_DOORBELL)
	s_mov_b32 ttmp2, m0
	s_waitcnt lgkmcnt(0)
	s_and_b32 s0, s0, 0x3ff
	s_delay_alu instid0(SALU_CYCLE_1) | instskip(NEXT) | instid1(SALU_CYCLE_1)
	s_bitset1_b32 s0, 10
	s_mov_b32 m0, s0
	s_sendmsg sendmsg(MSG_INTERRUPT)
	s_mov_b32 m0, ttmp2
.LBB4_10181:                            ; =>This Inner Loop Header: Depth=1
	s_sethalt 5
	s_branch .LBB4_10181
.LBB4_10182:
	s_trap 2
	s_sendmsg_rtn_b32 s0, sendmsg(MSG_RTN_GET_DOORBELL)
	s_mov_b32 ttmp2, m0
	s_waitcnt lgkmcnt(0)
	s_and_b32 s0, s0, 0x3ff
	s_delay_alu instid0(SALU_CYCLE_1) | instskip(NEXT) | instid1(SALU_CYCLE_1)
	s_bitset1_b32 s0, 10
	s_mov_b32 m0, s0
	s_sendmsg sendmsg(MSG_INTERRUPT)
	s_mov_b32 m0, ttmp2
.LBB4_10183:                            ; =>This Inner Loop Header: Depth=1
	s_sethalt 5
	s_branch .LBB4_10183
.LBB4_10184:
	s_trap 2
	s_sendmsg_rtn_b32 s0, sendmsg(MSG_RTN_GET_DOORBELL)
	s_mov_b32 ttmp2, m0
	s_waitcnt lgkmcnt(0)
	s_and_b32 s0, s0, 0x3ff
	s_delay_alu instid0(SALU_CYCLE_1) | instskip(NEXT) | instid1(SALU_CYCLE_1)
	s_bitset1_b32 s0, 10
	s_mov_b32 m0, s0
	s_sendmsg sendmsg(MSG_INTERRUPT)
	s_mov_b32 m0, ttmp2
.LBB4_10185:                            ; =>This Inner Loop Header: Depth=1
	s_sethalt 5
	s_branch .LBB4_10185
.LBB4_10186:
	s_trap 2
	s_sendmsg_rtn_b32 s0, sendmsg(MSG_RTN_GET_DOORBELL)
	s_mov_b32 ttmp2, m0
	s_waitcnt lgkmcnt(0)
	s_and_b32 s0, s0, 0x3ff
	s_delay_alu instid0(SALU_CYCLE_1) | instskip(NEXT) | instid1(SALU_CYCLE_1)
	s_bitset1_b32 s0, 10
	s_mov_b32 m0, s0
	s_sendmsg sendmsg(MSG_INTERRUPT)
	s_mov_b32 m0, ttmp2
.LBB4_10187:                            ; =>This Inner Loop Header: Depth=1
	s_sethalt 5
	s_branch .LBB4_10187
.LBB4_10188:
	s_trap 2
	s_sendmsg_rtn_b32 s0, sendmsg(MSG_RTN_GET_DOORBELL)
	s_mov_b32 ttmp2, m0
	s_waitcnt lgkmcnt(0)
	s_and_b32 s0, s0, 0x3ff
	s_delay_alu instid0(SALU_CYCLE_1) | instskip(NEXT) | instid1(SALU_CYCLE_1)
	s_bitset1_b32 s0, 10
	s_mov_b32 m0, s0
	s_sendmsg sendmsg(MSG_INTERRUPT)
	s_mov_b32 m0, ttmp2
.LBB4_10189:                            ; =>This Inner Loop Header: Depth=1
	s_sethalt 5
	s_branch .LBB4_10189
.LBB4_10190:
	s_trap 2
	s_sendmsg_rtn_b32 s0, sendmsg(MSG_RTN_GET_DOORBELL)
	s_mov_b32 ttmp2, m0
	s_waitcnt lgkmcnt(0)
	s_and_b32 s0, s0, 0x3ff
	s_delay_alu instid0(SALU_CYCLE_1) | instskip(NEXT) | instid1(SALU_CYCLE_1)
	s_bitset1_b32 s0, 10
	s_mov_b32 m0, s0
	s_sendmsg sendmsg(MSG_INTERRUPT)
	s_mov_b32 m0, ttmp2
.LBB4_10191:                            ; =>This Inner Loop Header: Depth=1
	s_sethalt 5
	s_branch .LBB4_10191
.LBB4_10192:
	s_trap 2
	s_sendmsg_rtn_b32 s0, sendmsg(MSG_RTN_GET_DOORBELL)
	s_mov_b32 ttmp2, m0
	s_waitcnt lgkmcnt(0)
	s_and_b32 s0, s0, 0x3ff
	s_delay_alu instid0(SALU_CYCLE_1) | instskip(NEXT) | instid1(SALU_CYCLE_1)
	s_bitset1_b32 s0, 10
	s_mov_b32 m0, s0
	s_sendmsg sendmsg(MSG_INTERRUPT)
	s_mov_b32 m0, ttmp2
.LBB4_10193:                            ; =>This Inner Loop Header: Depth=1
	s_sethalt 5
	s_branch .LBB4_10193
.LBB4_10194:
	s_trap 2
	s_sendmsg_rtn_b32 s0, sendmsg(MSG_RTN_GET_DOORBELL)
	s_mov_b32 ttmp2, m0
	s_waitcnt lgkmcnt(0)
	s_and_b32 s0, s0, 0x3ff
	s_delay_alu instid0(SALU_CYCLE_1) | instskip(NEXT) | instid1(SALU_CYCLE_1)
	s_bitset1_b32 s0, 10
	s_mov_b32 m0, s0
	s_sendmsg sendmsg(MSG_INTERRUPT)
	s_mov_b32 m0, ttmp2
.LBB4_10195:                            ; =>This Inner Loop Header: Depth=1
	s_sethalt 5
	s_branch .LBB4_10195
.LBB4_10196:
	s_trap 2
	s_sendmsg_rtn_b32 s0, sendmsg(MSG_RTN_GET_DOORBELL)
	s_mov_b32 ttmp2, m0
	s_waitcnt lgkmcnt(0)
	s_and_b32 s0, s0, 0x3ff
	s_delay_alu instid0(SALU_CYCLE_1) | instskip(NEXT) | instid1(SALU_CYCLE_1)
	s_bitset1_b32 s0, 10
	s_mov_b32 m0, s0
	s_sendmsg sendmsg(MSG_INTERRUPT)
	s_mov_b32 m0, ttmp2
.LBB4_10197:                            ; =>This Inner Loop Header: Depth=1
	s_sethalt 5
	s_branch .LBB4_10197
.LBB4_10198:                            ;   in Loop: Header=BB4_10202 Depth=1
	s_or_b32 exec_lo, exec_lo, s10
	v_mov_b32_e32 v4, 0
	s_or_not1_b32 s7, s7, exec_lo
.LBB4_10199:                            ;   in Loop: Header=BB4_10202 Depth=1
	s_or_b32 exec_lo, exec_lo, s6
	s_delay_alu instid0(VALU_DEP_1)
	v_mov_b32_e32 v0, v4
	s_and_b32 s6, s7, exec_lo
.LBB4_10200:                            ;   in Loop: Header=BB4_10202 Depth=1
	s_or_b32 exec_lo, exec_lo, s5
	s_xor_b32 s5, s6, -1
	s_and_not1_b32 s3, s3, exec_lo
	s_and_b32 s5, s5, exec_lo
	s_delay_alu instid0(SALU_CYCLE_1)
	s_or_b32 s3, s3, s5
.LBB4_10201:                            ;   in Loop: Header=BB4_10202 Depth=1
	s_or_b32 exec_lo, exec_lo, s4
	s_delay_alu instid0(SALU_CYCLE_1) | instskip(NEXT) | instid1(SALU_CYCLE_1)
	s_and_b32 s4, exec_lo, s3
	s_or_b32 s2, s4, s2
	s_delay_alu instid0(SALU_CYCLE_1)
	s_and_not1_b32 exec_lo, exec_lo, s2
	s_cbranch_execz .LBB4_10215
.LBB4_10202:                            ; =>This Inner Loop Header: Depth=1
	flat_load_b64 v[4:5], v[2:3] glc dlc
	s_waitcnt vmcnt(0)
	s_or_b32 s3, s3, exec_lo
	s_mov_b32 s4, exec_lo
	s_waitcnt lgkmcnt(0)
	v_cmpx_ne_u64_e32 -1, v[4:5]
	s_cbranch_execz .LBB4_10201
; %bb.10203:                            ;   in Loop: Header=BB4_10202 Depth=1
	v_and_b32_e32 v4, 64, v30
	s_mov_b32 s6, 0
	s_mov_b32 s5, exec_lo
	s_delay_alu instid0(VALU_DEP_1)
	v_cmpx_eq_u32_e32 0, v4
	s_cbranch_execz .LBB4_10200
; %bb.10204:                            ;   in Loop: Header=BB4_10202 Depth=1
	v_add_nc_u32_e32 v4, 1, v0
	s_mov_b32 s7, -1
	s_mov_b32 s6, exec_lo
	v_cmpx_lt_i32_e32 0x270e, v0
	s_cbranch_execz .LBB4_10199
; %bb.10205:                            ;   in Loop: Header=BB4_10202 Depth=1
	s_cbranch_execnz .LBB4_10209
; %bb.10206:                            ;   in Loop: Header=BB4_10202 Depth=1
	ds_load_b64 v[4:5], v0
	s_mov_b32 s10, exec_lo
	s_waitcnt lgkmcnt(0)
	s_waitcnt_vscnt null, 0x0
	flat_load_b32 v0, v[4:5] glc
	s_waitcnt vmcnt(0) lgkmcnt(0)
	buffer_gl1_inv
	buffer_gl0_inv
	v_cmpx_ne_u32_e32 0, v0
	s_cbranch_execz .LBB4_10198
; %bb.10207:                            ;   in Loop: Header=BB4_10202 Depth=1
	ds_store_b32 v0, v0
	s_cbranch_execnz .LBB4_10233
; %bb.10208:                            ;   in Loop: Header=BB4_10202 Depth=1
	v_or_b32_e32 v30, 64, v30
	s_xor_b32 s7, exec_lo, -1
	s_branch .LBB4_10198
.LBB4_10209:
	s_trap 2
	s_sendmsg_rtn_b32 s0, sendmsg(MSG_RTN_GET_DOORBELL)
	s_mov_b32 ttmp2, m0
	s_waitcnt lgkmcnt(0)
	s_and_b32 s0, s0, 0x3ff
	s_delay_alu instid0(SALU_CYCLE_1) | instskip(NEXT) | instid1(SALU_CYCLE_1)
	s_bitset1_b32 s0, 10
	s_mov_b32 m0, s0
	s_sendmsg sendmsg(MSG_INTERRUPT)
	s_mov_b32 m0, ttmp2
.LBB4_10210:                            ; =>This Inner Loop Header: Depth=1
	s_sethalt 5
	s_branch .LBB4_10210
.LBB4_10211:
	s_trap 2
	s_sendmsg_rtn_b32 s0, sendmsg(MSG_RTN_GET_DOORBELL)
	s_mov_b32 ttmp2, m0
	s_waitcnt lgkmcnt(0)
	s_and_b32 s0, s0, 0x3ff
	s_delay_alu instid0(SALU_CYCLE_1) | instskip(NEXT) | instid1(SALU_CYCLE_1)
	s_bitset1_b32 s0, 10
	s_mov_b32 m0, s0
	s_sendmsg sendmsg(MSG_INTERRUPT)
	s_mov_b32 m0, ttmp2
.LBB4_10212:                            ; =>This Inner Loop Header: Depth=1
	s_sethalt 5
	s_branch .LBB4_10212
.LBB4_10213:
	s_trap 2
	s_sendmsg_rtn_b32 s0, sendmsg(MSG_RTN_GET_DOORBELL)
	s_mov_b32 ttmp2, m0
	s_waitcnt lgkmcnt(0)
	s_and_b32 s0, s0, 0x3ff
	s_delay_alu instid0(SALU_CYCLE_1) | instskip(NEXT) | instid1(SALU_CYCLE_1)
	s_bitset1_b32 s0, 10
	s_mov_b32 m0, s0
	s_sendmsg sendmsg(MSG_INTERRUPT)
	s_mov_b32 m0, ttmp2
.LBB4_10214:                            ; =>This Inner Loop Header: Depth=1
	s_sethalt 5
	s_branch .LBB4_10214
.LBB4_10215:
	s_or_b32 exec_lo, exec_lo, s2
.LBB4_10216:
	s_delay_alu instid0(SALU_CYCLE_1) | instskip(SKIP_2) | instid1(VALU_DEP_1)
	s_or_b32 exec_lo, exec_lo, s1
	v_and_b32_e32 v0, 0x2000, v30
	s_mov_b32 s1, exec_lo
	v_cmpx_ne_u32_e32 0, v0
	s_cbranch_execz .LBB4_10219
; %bb.10217:
	s_cbranch_execnz .LBB4_10227
; %bb.10218:
	ds_load_b64 v[2:3], v0
	s_waitcnt lgkmcnt(0)
	flat_store_b64 v[26:27], v[2:3] offset:16
.LBB4_10219:
	s_or_b32 exec_lo, exec_lo, s1
	v_cmp_ne_u32_e32 vcc_lo, 32, v1
	s_and_b32 exec_lo, exec_lo, vcc_lo
	s_cbranch_execz .LBB4_10420
; %bb.10220:
	s_mov_b32 s1, exec_lo
	v_cmpx_ne_u32_e64 v87, v1
	s_xor_b32 s1, exec_lo, s1
	s_cbranch_execz .LBB4_10418
; %bb.10221:
	v_and_b32_e32 v0, 31, v31
	s_mov_b32 s2, exec_lo
	s_delay_alu instid0(VALU_DEP_1)
	v_cmpx_eq_u32_e32 0, v0
	s_cbranch_execz .LBB4_10417
; %bb.10222:
	s_mov_b32 s4, exec_lo
	s_mov_b32 s3, exec_lo
	v_mbcnt_lo_u32_b32 v0, s4, 0
	s_waitcnt vmcnt(0) lgkmcnt(0)
	s_waitcnt_vscnt null, 0x0
	buffer_gl1_inv
	buffer_gl0_inv
	v_cmpx_eq_u32_e32 0, v0
	s_cbranch_execz .LBB4_10224
; %bb.10223:
	s_bcnt1_i32_b32 s4, s4
	s_delay_alu instid0(SALU_CYCLE_1)
	v_dual_mov_b32 v3, 0 :: v_dual_mov_b32 v2, s4
	ds_add_u64 v0, v[2:3]
	s_cbranch_execnz .LBB4_10262
.LBB4_10224:
	s_or_b32 exec_lo, exec_lo, s3
	s_cbranch_execnz .LBB4_10241
; %bb.10225:
	v_ashrrev_i32_e32 v0, 31, v1
	s_mov_b32 s3, exec_lo
	s_delay_alu instid0(VALU_DEP_1) | instskip(NEXT) | instid1(VALU_DEP_1)
	v_lshrrev_b32_e32 v0, 27, v0
	v_add_nc_u32_e32 v0, v1, v0
	ds_load_b64 v[2:3], v0
	v_ashrrev_i32_e32 v0, 5, v0
	s_delay_alu instid0(VALU_DEP_1) | instskip(SKIP_1) | instid1(VALU_DEP_2)
	v_ashrrev_i32_e32 v1, 31, v0
	v_add_co_u32 v0, vcc_lo, v48, v0
	v_add_co_ci_u32_e32 v1, vcc_lo, v49, v1, vcc_lo
	s_waitcnt lgkmcnt(0)
	s_delay_alu instid0(VALU_DEP_1)
	v_cmpx_lt_u64_e64 v[2:3], v[0:1]
	s_cbranch_execz .LBB4_10416
; %bb.10226:
	s_mov_b32 s4, 0
	s_mov_b32 s7, 0
                                        ; implicit-def: $sgpr5
                                        ; implicit-def: $sgpr6
	s_branch .LBB4_10248
.LBB4_10227:
	s_trap 2
	s_sendmsg_rtn_b32 s0, sendmsg(MSG_RTN_GET_DOORBELL)
	s_mov_b32 ttmp2, m0
	s_waitcnt lgkmcnt(0)
	s_and_b32 s0, s0, 0x3ff
	s_delay_alu instid0(SALU_CYCLE_1) | instskip(NEXT) | instid1(SALU_CYCLE_1)
	s_bitset1_b32 s0, 10
	s_mov_b32 m0, s0
	s_sendmsg sendmsg(MSG_INTERRUPT)
	s_mov_b32 m0, ttmp2
.LBB4_10228:                            ; =>This Inner Loop Header: Depth=1
	s_sethalt 5
	s_branch .LBB4_10228
.LBB4_10229:
	s_trap 2
	s_sendmsg_rtn_b32 s0, sendmsg(MSG_RTN_GET_DOORBELL)
	s_mov_b32 ttmp2, m0
	s_waitcnt lgkmcnt(0)
	s_and_b32 s0, s0, 0x3ff
	s_delay_alu instid0(SALU_CYCLE_1) | instskip(NEXT) | instid1(SALU_CYCLE_1)
	s_bitset1_b32 s0, 10
	s_mov_b32 m0, s0
	s_sendmsg sendmsg(MSG_INTERRUPT)
	s_mov_b32 m0, ttmp2
.LBB4_10230:                            ; =>This Inner Loop Header: Depth=1
	s_sethalt 5
	s_branch .LBB4_10230
.LBB4_10231:
	s_trap 2
	s_sendmsg_rtn_b32 s0, sendmsg(MSG_RTN_GET_DOORBELL)
	s_mov_b32 ttmp2, m0
	s_waitcnt lgkmcnt(0)
	s_and_b32 s0, s0, 0x3ff
	s_delay_alu instid0(SALU_CYCLE_1) | instskip(NEXT) | instid1(SALU_CYCLE_1)
	s_bitset1_b32 s0, 10
	s_mov_b32 m0, s0
	s_sendmsg sendmsg(MSG_INTERRUPT)
	s_mov_b32 m0, ttmp2
.LBB4_10232:                            ; =>This Inner Loop Header: Depth=1
	s_sethalt 5
	s_branch .LBB4_10232
.LBB4_10233:
	s_trap 2
	s_sendmsg_rtn_b32 s0, sendmsg(MSG_RTN_GET_DOORBELL)
	s_mov_b32 ttmp2, m0
	s_waitcnt lgkmcnt(0)
	s_and_b32 s0, s0, 0x3ff
	s_delay_alu instid0(SALU_CYCLE_1) | instskip(NEXT) | instid1(SALU_CYCLE_1)
	s_bitset1_b32 s0, 10
	s_mov_b32 m0, s0
	s_sendmsg sendmsg(MSG_INTERRUPT)
	s_mov_b32 m0, ttmp2
.LBB4_10234:                            ; =>This Inner Loop Header: Depth=1
	s_sethalt 5
	s_branch .LBB4_10234
.LBB4_10235:
	s_trap 2
	s_sendmsg_rtn_b32 s0, sendmsg(MSG_RTN_GET_DOORBELL)
	s_mov_b32 ttmp2, m0
	s_waitcnt lgkmcnt(0)
	s_and_b32 s0, s0, 0x3ff
	s_delay_alu instid0(SALU_CYCLE_1) | instskip(NEXT) | instid1(SALU_CYCLE_1)
	s_bitset1_b32 s0, 10
	s_mov_b32 m0, s0
	s_sendmsg sendmsg(MSG_INTERRUPT)
	s_mov_b32 m0, ttmp2
.LBB4_10236:                            ; =>This Inner Loop Header: Depth=1
	s_sethalt 5
	s_branch .LBB4_10236
.LBB4_10237:
	s_trap 2
	s_sendmsg_rtn_b32 s0, sendmsg(MSG_RTN_GET_DOORBELL)
	s_mov_b32 ttmp2, m0
	s_waitcnt lgkmcnt(0)
	s_and_b32 s0, s0, 0x3ff
	s_delay_alu instid0(SALU_CYCLE_1) | instskip(NEXT) | instid1(SALU_CYCLE_1)
	s_bitset1_b32 s0, 10
	s_mov_b32 m0, s0
	s_sendmsg sendmsg(MSG_INTERRUPT)
	s_mov_b32 m0, ttmp2
.LBB4_10238:                            ; =>This Inner Loop Header: Depth=1
	s_sethalt 5
	s_branch .LBB4_10238
.LBB4_10239:
	s_trap 2
	s_sendmsg_rtn_b32 s0, sendmsg(MSG_RTN_GET_DOORBELL)
	s_mov_b32 ttmp2, m0
	s_waitcnt lgkmcnt(0)
	s_and_b32 s0, s0, 0x3ff
	s_delay_alu instid0(SALU_CYCLE_1) | instskip(NEXT) | instid1(SALU_CYCLE_1)
	s_bitset1_b32 s0, 10
	s_mov_b32 m0, s0
	s_sendmsg sendmsg(MSG_INTERRUPT)
	s_mov_b32 m0, ttmp2
.LBB4_10240:                            ; =>This Inner Loop Header: Depth=1
	s_sethalt 5
	s_branch .LBB4_10240
.LBB4_10241:
	s_trap 2
	s_sendmsg_rtn_b32 s0, sendmsg(MSG_RTN_GET_DOORBELL)
	s_mov_b32 ttmp2, m0
	s_waitcnt lgkmcnt(0)
	s_and_b32 s0, s0, 0x3ff
	s_delay_alu instid0(SALU_CYCLE_1) | instskip(NEXT) | instid1(SALU_CYCLE_1)
	s_bitset1_b32 s0, 10
	s_mov_b32 m0, s0
	s_sendmsg sendmsg(MSG_INTERRUPT)
	s_mov_b32 m0, ttmp2
.LBB4_10242:                            ; =>This Inner Loop Header: Depth=1
	s_sethalt 5
	s_branch .LBB4_10242
.LBB4_10243:
	s_trap 2
	s_sendmsg_rtn_b32 s0, sendmsg(MSG_RTN_GET_DOORBELL)
	s_mov_b32 ttmp2, m0
	s_waitcnt lgkmcnt(0)
	s_and_b32 s0, s0, 0x3ff
	s_delay_alu instid0(SALU_CYCLE_1) | instskip(NEXT) | instid1(SALU_CYCLE_1)
	s_bitset1_b32 s0, 10
	s_mov_b32 m0, s0
	s_sendmsg sendmsg(MSG_INTERRUPT)
	s_mov_b32 m0, ttmp2
.LBB4_10244:                            ; =>This Inner Loop Header: Depth=1
	s_sethalt 5
	s_branch .LBB4_10244
.LBB4_10245:
	s_trap 2
	s_sendmsg_rtn_b32 s0, sendmsg(MSG_RTN_GET_DOORBELL)
	s_mov_b32 ttmp2, m0
	s_waitcnt lgkmcnt(0)
	s_and_b32 s0, s0, 0x3ff
	s_delay_alu instid0(SALU_CYCLE_1) | instskip(NEXT) | instid1(SALU_CYCLE_1)
	s_bitset1_b32 s0, 10
	s_mov_b32 m0, s0
	s_sendmsg sendmsg(MSG_INTERRUPT)
	s_mov_b32 m0, ttmp2
.LBB4_10246:                            ; =>This Inner Loop Header: Depth=1
	s_sethalt 5
	s_branch .LBB4_10246
.LBB4_10247:                            ;   in Loop: Header=BB4_10248 Depth=1
	s_or_b32 exec_lo, exec_lo, s12
	s_delay_alu instid0(SALU_CYCLE_1) | instskip(NEXT) | instid1(SALU_CYCLE_1)
	s_and_b32 s10, exec_lo, s11
	s_or_b32 s4, s10, s4
	s_and_not1_b32 s5, s5, exec_lo
	s_and_b32 s10, s6, exec_lo
	s_delay_alu instid0(SALU_CYCLE_1)
	s_or_b32 s5, s5, s10
	s_and_not1_b32 exec_lo, exec_lo, s4
	s_cbranch_execz .LBB4_10414
.LBB4_10248:                            ; =>This Inner Loop Header: Depth=1
	s_add_i32 s7, s7, 1
                                        ; implicit-def: $sgpr11
	s_delay_alu instid0(SALU_CYCLE_1) | instskip(SKIP_1) | instid1(SALU_CYCLE_1)
	s_cmpk_lg_i32 s7, 0x2710
	s_cselect_b32 s10, -1, 0
	s_and_b32 vcc_lo, exec_lo, s10
	s_cbranch_vccz .LBB4_10252
.LBB4_10249:                            ;   in Loop: Header=BB4_10248 Depth=1
	s_and_not1_b32 s6, s6, exec_lo
	s_and_b32 s12, s11, exec_lo
	s_mov_b32 s11, -1
	s_or_b32 s6, s6, s12
	s_and_saveexec_b32 s12, s10
	s_cbranch_execz .LBB4_10247
; %bb.10250:                            ;   in Loop: Header=BB4_10248 Depth=1
	s_sleep 1
	s_cbranch_execnz .LBB4_10300
; %bb.10251:                            ;   in Loop: Header=BB4_10248 Depth=1
	ds_load_b64 v[2:3], v0
	s_and_not1_b32 s6, s6, exec_lo
	s_waitcnt lgkmcnt(0)
	v_cmp_ge_u64_e32 vcc_lo, v[2:3], v[0:1]
	s_or_not1_b32 s11, vcc_lo, exec_lo
	s_branch .LBB4_10247
.LBB4_10252:                            ;   in Loop: Header=BB4_10248 Depth=1
	s_cbranch_execnz .LBB4_10302
; %bb.10253:                            ;   in Loop: Header=BB4_10248 Depth=1
	ds_load_b64 v[2:3], v0
	s_and_not1_b32 s10, s10, exec_lo
	s_mov_b32 s7, 0
	s_mov_b32 s11, -1
	s_waitcnt lgkmcnt(0)
	flat_load_b32 v2, v[2:3] glc
	s_waitcnt vmcnt(0) lgkmcnt(0)
	buffer_gl1_inv
	buffer_gl0_inv
	v_cmp_eq_u32_e32 vcc_lo, 0, v2
	s_and_b32 s12, vcc_lo, exec_lo
	s_delay_alu instid0(SALU_CYCLE_1)
	s_or_b32 s10, s10, s12
	s_branch .LBB4_10249
.LBB4_10254:
	s_trap 2
	s_sendmsg_rtn_b32 s0, sendmsg(MSG_RTN_GET_DOORBELL)
	s_mov_b32 ttmp2, m0
	s_waitcnt lgkmcnt(0)
	s_and_b32 s0, s0, 0x3ff
	s_delay_alu instid0(SALU_CYCLE_1) | instskip(NEXT) | instid1(SALU_CYCLE_1)
	s_bitset1_b32 s0, 10
	s_mov_b32 m0, s0
	s_sendmsg sendmsg(MSG_INTERRUPT)
	s_mov_b32 m0, ttmp2
.LBB4_10255:                            ; =>This Inner Loop Header: Depth=1
	s_sethalt 5
	s_branch .LBB4_10255
.LBB4_10256:
	s_trap 2
	s_sendmsg_rtn_b32 s0, sendmsg(MSG_RTN_GET_DOORBELL)
	s_mov_b32 ttmp2, m0
	s_waitcnt lgkmcnt(0)
	s_and_b32 s0, s0, 0x3ff
	s_delay_alu instid0(SALU_CYCLE_1) | instskip(NEXT) | instid1(SALU_CYCLE_1)
	s_bitset1_b32 s0, 10
	s_mov_b32 m0, s0
	s_sendmsg sendmsg(MSG_INTERRUPT)
	s_mov_b32 m0, ttmp2
.LBB4_10257:                            ; =>This Inner Loop Header: Depth=1
	s_sethalt 5
	s_branch .LBB4_10257
.LBB4_10258:
	s_trap 2
	s_sendmsg_rtn_b32 s0, sendmsg(MSG_RTN_GET_DOORBELL)
	s_mov_b32 ttmp2, m0
	s_waitcnt lgkmcnt(0)
	s_and_b32 s0, s0, 0x3ff
	s_delay_alu instid0(SALU_CYCLE_1) | instskip(NEXT) | instid1(SALU_CYCLE_1)
	s_bitset1_b32 s0, 10
	s_mov_b32 m0, s0
	s_sendmsg sendmsg(MSG_INTERRUPT)
	s_mov_b32 m0, ttmp2
.LBB4_10259:                            ; =>This Inner Loop Header: Depth=1
	s_sethalt 5
	s_branch .LBB4_10259
.LBB4_10260:
	s_trap 2
	s_sendmsg_rtn_b32 s0, sendmsg(MSG_RTN_GET_DOORBELL)
	s_mov_b32 ttmp2, m0
	s_waitcnt lgkmcnt(0)
	s_and_b32 s0, s0, 0x3ff
	s_delay_alu instid0(SALU_CYCLE_1) | instskip(NEXT) | instid1(SALU_CYCLE_1)
	s_bitset1_b32 s0, 10
	s_mov_b32 m0, s0
	s_sendmsg sendmsg(MSG_INTERRUPT)
	s_mov_b32 m0, ttmp2
.LBB4_10261:                            ; =>This Inner Loop Header: Depth=1
	s_sethalt 5
	s_branch .LBB4_10261
.LBB4_10262:
	s_trap 2
	s_sendmsg_rtn_b32 s0, sendmsg(MSG_RTN_GET_DOORBELL)
	s_mov_b32 ttmp2, m0
	s_waitcnt lgkmcnt(0)
	s_and_b32 s0, s0, 0x3ff
	s_delay_alu instid0(SALU_CYCLE_1) | instskip(NEXT) | instid1(SALU_CYCLE_1)
	s_bitset1_b32 s0, 10
	s_mov_b32 m0, s0
	s_sendmsg sendmsg(MSG_INTERRUPT)
	s_mov_b32 m0, ttmp2
.LBB4_10263:                            ; =>This Inner Loop Header: Depth=1
	s_sethalt 5
	s_branch .LBB4_10263
.LBB4_10264:
	s_trap 2
	s_sendmsg_rtn_b32 s0, sendmsg(MSG_RTN_GET_DOORBELL)
	s_mov_b32 ttmp2, m0
	s_waitcnt lgkmcnt(0)
	s_and_b32 s0, s0, 0x3ff
	s_delay_alu instid0(SALU_CYCLE_1) | instskip(NEXT) | instid1(SALU_CYCLE_1)
	s_bitset1_b32 s0, 10
	s_mov_b32 m0, s0
	s_sendmsg sendmsg(MSG_INTERRUPT)
	s_mov_b32 m0, ttmp2
.LBB4_10265:                            ; =>This Inner Loop Header: Depth=1
	s_sethalt 5
	s_branch .LBB4_10265
.LBB4_10266:
	s_trap 2
	s_sendmsg_rtn_b32 s0, sendmsg(MSG_RTN_GET_DOORBELL)
	s_mov_b32 ttmp2, m0
	s_waitcnt lgkmcnt(0)
	s_and_b32 s0, s0, 0x3ff
	s_delay_alu instid0(SALU_CYCLE_1) | instskip(NEXT) | instid1(SALU_CYCLE_1)
	s_bitset1_b32 s0, 10
	s_mov_b32 m0, s0
	s_sendmsg sendmsg(MSG_INTERRUPT)
	s_mov_b32 m0, ttmp2
.LBB4_10267:                            ; =>This Inner Loop Header: Depth=1
	s_sethalt 5
	s_branch .LBB4_10267
.LBB4_10268:
	s_trap 2
	s_sendmsg_rtn_b32 s0, sendmsg(MSG_RTN_GET_DOORBELL)
	s_mov_b32 ttmp2, m0
	s_waitcnt lgkmcnt(0)
	s_and_b32 s0, s0, 0x3ff
	s_delay_alu instid0(SALU_CYCLE_1) | instskip(NEXT) | instid1(SALU_CYCLE_1)
	s_bitset1_b32 s0, 10
	s_mov_b32 m0, s0
	s_sendmsg sendmsg(MSG_INTERRUPT)
	s_mov_b32 m0, ttmp2
.LBB4_10269:                            ; =>This Inner Loop Header: Depth=1
	s_sethalt 5
	s_branch .LBB4_10269
.LBB4_10270:
	s_trap 2
	s_sendmsg_rtn_b32 s0, sendmsg(MSG_RTN_GET_DOORBELL)
	s_mov_b32 ttmp2, m0
	s_waitcnt lgkmcnt(0)
	s_and_b32 s0, s0, 0x3ff
	s_delay_alu instid0(SALU_CYCLE_1) | instskip(NEXT) | instid1(SALU_CYCLE_1)
	s_bitset1_b32 s0, 10
	s_mov_b32 m0, s0
	s_sendmsg sendmsg(MSG_INTERRUPT)
	s_mov_b32 m0, ttmp2
.LBB4_10271:                            ; =>This Inner Loop Header: Depth=1
	s_sethalt 5
	s_branch .LBB4_10271
.LBB4_10272:
	s_trap 2
	s_sendmsg_rtn_b32 s0, sendmsg(MSG_RTN_GET_DOORBELL)
	s_mov_b32 ttmp2, m0
	s_waitcnt lgkmcnt(0)
	s_and_b32 s0, s0, 0x3ff
	s_delay_alu instid0(SALU_CYCLE_1) | instskip(NEXT) | instid1(SALU_CYCLE_1)
	s_bitset1_b32 s0, 10
	s_mov_b32 m0, s0
	s_sendmsg sendmsg(MSG_INTERRUPT)
	s_mov_b32 m0, ttmp2
.LBB4_10273:                            ; =>This Inner Loop Header: Depth=1
	s_sethalt 5
	s_branch .LBB4_10273
.LBB4_10274:
	s_trap 2
	s_sendmsg_rtn_b32 s0, sendmsg(MSG_RTN_GET_DOORBELL)
	s_mov_b32 ttmp2, m0
	s_waitcnt lgkmcnt(0)
	s_and_b32 s0, s0, 0x3ff
	s_delay_alu instid0(SALU_CYCLE_1) | instskip(NEXT) | instid1(SALU_CYCLE_1)
	s_bitset1_b32 s0, 10
	s_mov_b32 m0, s0
	s_sendmsg sendmsg(MSG_INTERRUPT)
	s_mov_b32 m0, ttmp2
.LBB4_10275:                            ; =>This Inner Loop Header: Depth=1
	s_sethalt 5
	s_branch .LBB4_10275
.LBB4_10276:
	s_trap 2
	s_sendmsg_rtn_b32 s0, sendmsg(MSG_RTN_GET_DOORBELL)
	s_mov_b32 ttmp2, m0
	s_waitcnt lgkmcnt(0)
	s_and_b32 s0, s0, 0x3ff
	s_delay_alu instid0(SALU_CYCLE_1) | instskip(NEXT) | instid1(SALU_CYCLE_1)
	s_bitset1_b32 s0, 10
	s_mov_b32 m0, s0
	s_sendmsg sendmsg(MSG_INTERRUPT)
	s_mov_b32 m0, ttmp2
.LBB4_10277:                            ; =>This Inner Loop Header: Depth=1
	s_sethalt 5
	s_branch .LBB4_10277
.LBB4_10278:
	s_trap 2
	s_sendmsg_rtn_b32 s0, sendmsg(MSG_RTN_GET_DOORBELL)
	s_mov_b32 ttmp2, m0
	s_waitcnt lgkmcnt(0)
	s_and_b32 s0, s0, 0x3ff
	s_delay_alu instid0(SALU_CYCLE_1) | instskip(NEXT) | instid1(SALU_CYCLE_1)
	s_bitset1_b32 s0, 10
	s_mov_b32 m0, s0
	s_sendmsg sendmsg(MSG_INTERRUPT)
	s_mov_b32 m0, ttmp2
.LBB4_10279:                            ; =>This Inner Loop Header: Depth=1
	s_sethalt 5
	s_branch .LBB4_10279
.LBB4_10280:
	s_trap 2
	s_sendmsg_rtn_b32 s0, sendmsg(MSG_RTN_GET_DOORBELL)
	s_mov_b32 ttmp2, m0
	s_waitcnt lgkmcnt(0)
	s_and_b32 s0, s0, 0x3ff
	s_delay_alu instid0(SALU_CYCLE_1) | instskip(NEXT) | instid1(SALU_CYCLE_1)
	s_bitset1_b32 s0, 10
	s_mov_b32 m0, s0
	s_sendmsg sendmsg(MSG_INTERRUPT)
	s_mov_b32 m0, ttmp2
.LBB4_10281:                            ; =>This Inner Loop Header: Depth=1
	s_sethalt 5
	s_branch .LBB4_10281
.LBB4_10282:
	s_trap 2
	s_sendmsg_rtn_b32 s0, sendmsg(MSG_RTN_GET_DOORBELL)
	s_mov_b32 ttmp2, m0
	s_waitcnt lgkmcnt(0)
	s_and_b32 s0, s0, 0x3ff
	s_delay_alu instid0(SALU_CYCLE_1) | instskip(NEXT) | instid1(SALU_CYCLE_1)
	s_bitset1_b32 s0, 10
	s_mov_b32 m0, s0
	s_sendmsg sendmsg(MSG_INTERRUPT)
	s_mov_b32 m0, ttmp2
.LBB4_10283:                            ; =>This Inner Loop Header: Depth=1
	s_sethalt 5
	s_branch .LBB4_10283
.LBB4_10284:
	s_trap 2
	s_sendmsg_rtn_b32 s0, sendmsg(MSG_RTN_GET_DOORBELL)
	s_mov_b32 ttmp2, m0
	s_waitcnt lgkmcnt(0)
	s_and_b32 s0, s0, 0x3ff
	s_delay_alu instid0(SALU_CYCLE_1) | instskip(NEXT) | instid1(SALU_CYCLE_1)
	s_bitset1_b32 s0, 10
	s_mov_b32 m0, s0
	s_sendmsg sendmsg(MSG_INTERRUPT)
	s_mov_b32 m0, ttmp2
.LBB4_10285:                            ; =>This Inner Loop Header: Depth=1
	s_sethalt 5
	s_branch .LBB4_10285
.LBB4_10286:
	s_trap 2
	s_sendmsg_rtn_b32 s0, sendmsg(MSG_RTN_GET_DOORBELL)
	s_mov_b32 ttmp2, m0
	s_waitcnt lgkmcnt(0)
	s_and_b32 s0, s0, 0x3ff
	s_delay_alu instid0(SALU_CYCLE_1) | instskip(NEXT) | instid1(SALU_CYCLE_1)
	s_bitset1_b32 s0, 10
	s_mov_b32 m0, s0
	s_sendmsg sendmsg(MSG_INTERRUPT)
	s_mov_b32 m0, ttmp2
.LBB4_10287:                            ; =>This Inner Loop Header: Depth=1
	s_sethalt 5
	s_branch .LBB4_10287
.LBB4_10288:
	s_trap 2
	s_sendmsg_rtn_b32 s0, sendmsg(MSG_RTN_GET_DOORBELL)
	s_mov_b32 ttmp2, m0
	s_waitcnt lgkmcnt(0)
	s_and_b32 s0, s0, 0x3ff
	s_delay_alu instid0(SALU_CYCLE_1) | instskip(NEXT) | instid1(SALU_CYCLE_1)
	s_bitset1_b32 s0, 10
	s_mov_b32 m0, s0
	s_sendmsg sendmsg(MSG_INTERRUPT)
	s_mov_b32 m0, ttmp2
.LBB4_10289:                            ; =>This Inner Loop Header: Depth=1
	s_sethalt 5
	s_branch .LBB4_10289
.LBB4_10290:
	s_trap 2
	s_sendmsg_rtn_b32 s0, sendmsg(MSG_RTN_GET_DOORBELL)
	s_mov_b32 ttmp2, m0
	s_waitcnt lgkmcnt(0)
	s_and_b32 s0, s0, 0x3ff
	s_delay_alu instid0(SALU_CYCLE_1) | instskip(NEXT) | instid1(SALU_CYCLE_1)
	s_bitset1_b32 s0, 10
	s_mov_b32 m0, s0
	s_sendmsg sendmsg(MSG_INTERRUPT)
	s_mov_b32 m0, ttmp2
.LBB4_10291:                            ; =>This Inner Loop Header: Depth=1
	s_sethalt 5
	s_branch .LBB4_10291
.LBB4_10292:
	s_trap 2
	s_sendmsg_rtn_b32 s0, sendmsg(MSG_RTN_GET_DOORBELL)
	s_mov_b32 ttmp2, m0
	s_waitcnt lgkmcnt(0)
	s_and_b32 s0, s0, 0x3ff
	s_delay_alu instid0(SALU_CYCLE_1) | instskip(NEXT) | instid1(SALU_CYCLE_1)
	s_bitset1_b32 s0, 10
	s_mov_b32 m0, s0
	s_sendmsg sendmsg(MSG_INTERRUPT)
	s_mov_b32 m0, ttmp2
.LBB4_10293:                            ; =>This Inner Loop Header: Depth=1
	s_sethalt 5
	s_branch .LBB4_10293
.LBB4_10294:
	s_trap 2
	s_sendmsg_rtn_b32 s0, sendmsg(MSG_RTN_GET_DOORBELL)
	s_mov_b32 ttmp2, m0
	s_waitcnt lgkmcnt(0)
	s_and_b32 s0, s0, 0x3ff
	s_delay_alu instid0(SALU_CYCLE_1) | instskip(NEXT) | instid1(SALU_CYCLE_1)
	s_bitset1_b32 s0, 10
	s_mov_b32 m0, s0
	s_sendmsg sendmsg(MSG_INTERRUPT)
	s_mov_b32 m0, ttmp2
.LBB4_10295:                            ; =>This Inner Loop Header: Depth=1
	s_sethalt 5
	s_branch .LBB4_10295
.LBB4_10296:
	s_trap 2
	s_sendmsg_rtn_b32 s0, sendmsg(MSG_RTN_GET_DOORBELL)
	s_mov_b32 ttmp2, m0
	s_waitcnt lgkmcnt(0)
	s_and_b32 s0, s0, 0x3ff
	s_delay_alu instid0(SALU_CYCLE_1) | instskip(NEXT) | instid1(SALU_CYCLE_1)
	s_bitset1_b32 s0, 10
	s_mov_b32 m0, s0
	s_sendmsg sendmsg(MSG_INTERRUPT)
	s_mov_b32 m0, ttmp2
.LBB4_10297:                            ; =>This Inner Loop Header: Depth=1
	s_sethalt 5
	s_branch .LBB4_10297
.LBB4_10298:
	s_trap 2
	s_sendmsg_rtn_b32 s0, sendmsg(MSG_RTN_GET_DOORBELL)
	s_mov_b32 ttmp2, m0
	s_waitcnt lgkmcnt(0)
	s_and_b32 s0, s0, 0x3ff
	s_delay_alu instid0(SALU_CYCLE_1) | instskip(NEXT) | instid1(SALU_CYCLE_1)
	s_bitset1_b32 s0, 10
	s_mov_b32 m0, s0
	s_sendmsg sendmsg(MSG_INTERRUPT)
	s_mov_b32 m0, ttmp2
.LBB4_10299:                            ; =>This Inner Loop Header: Depth=1
	s_sethalt 5
	s_branch .LBB4_10299
.LBB4_10300:
	s_trap 2
	s_sendmsg_rtn_b32 s0, sendmsg(MSG_RTN_GET_DOORBELL)
	s_mov_b32 ttmp2, m0
	s_waitcnt lgkmcnt(0)
	s_and_b32 s0, s0, 0x3ff
	s_delay_alu instid0(SALU_CYCLE_1) | instskip(NEXT) | instid1(SALU_CYCLE_1)
	s_bitset1_b32 s0, 10
	s_mov_b32 m0, s0
	s_sendmsg sendmsg(MSG_INTERRUPT)
	s_mov_b32 m0, ttmp2
.LBB4_10301:                            ; =>This Inner Loop Header: Depth=1
	s_sethalt 5
	s_branch .LBB4_10301
.LBB4_10302:
	s_trap 2
	s_sendmsg_rtn_b32 s0, sendmsg(MSG_RTN_GET_DOORBELL)
	s_mov_b32 ttmp2, m0
	s_waitcnt lgkmcnt(0)
	s_and_b32 s0, s0, 0x3ff
	s_delay_alu instid0(SALU_CYCLE_1) | instskip(NEXT) | instid1(SALU_CYCLE_1)
	s_bitset1_b32 s0, 10
	s_mov_b32 m0, s0
	s_sendmsg sendmsg(MSG_INTERRUPT)
	s_mov_b32 m0, ttmp2
.LBB4_10303:                            ; =>This Inner Loop Header: Depth=1
	s_sethalt 5
	s_branch .LBB4_10303
.LBB4_10304:
	s_trap 2
	s_sendmsg_rtn_b32 s0, sendmsg(MSG_RTN_GET_DOORBELL)
	s_mov_b32 ttmp2, m0
	s_waitcnt lgkmcnt(0)
	s_and_b32 s0, s0, 0x3ff
	s_delay_alu instid0(SALU_CYCLE_1) | instskip(NEXT) | instid1(SALU_CYCLE_1)
	s_bitset1_b32 s0, 10
	s_mov_b32 m0, s0
	s_sendmsg sendmsg(MSG_INTERRUPT)
	s_mov_b32 m0, ttmp2
.LBB4_10305:                            ; =>This Inner Loop Header: Depth=1
	s_sethalt 5
	s_branch .LBB4_10305
.LBB4_10306:
	s_trap 2
	s_sendmsg_rtn_b32 s0, sendmsg(MSG_RTN_GET_DOORBELL)
	s_mov_b32 ttmp2, m0
	s_waitcnt lgkmcnt(0)
	s_and_b32 s0, s0, 0x3ff
	s_delay_alu instid0(SALU_CYCLE_1) | instskip(NEXT) | instid1(SALU_CYCLE_1)
	s_bitset1_b32 s0, 10
	s_mov_b32 m0, s0
	s_sendmsg sendmsg(MSG_INTERRUPT)
	s_mov_b32 m0, ttmp2
.LBB4_10307:                            ; =>This Inner Loop Header: Depth=1
	s_sethalt 5
	s_branch .LBB4_10307
.LBB4_10308:
	s_trap 2
	s_sendmsg_rtn_b32 s0, sendmsg(MSG_RTN_GET_DOORBELL)
	s_mov_b32 ttmp2, m0
	s_waitcnt lgkmcnt(0)
	s_and_b32 s0, s0, 0x3ff
	s_delay_alu instid0(SALU_CYCLE_1) | instskip(NEXT) | instid1(SALU_CYCLE_1)
	s_bitset1_b32 s0, 10
	s_mov_b32 m0, s0
	s_sendmsg sendmsg(MSG_INTERRUPT)
	s_mov_b32 m0, ttmp2
.LBB4_10309:                            ; =>This Inner Loop Header: Depth=1
	s_sethalt 5
	s_branch .LBB4_10309
.LBB4_10310:
	s_trap 2
	s_sendmsg_rtn_b32 s0, sendmsg(MSG_RTN_GET_DOORBELL)
	s_mov_b32 ttmp2, m0
	s_waitcnt lgkmcnt(0)
	s_and_b32 s0, s0, 0x3ff
	s_delay_alu instid0(SALU_CYCLE_1) | instskip(NEXT) | instid1(SALU_CYCLE_1)
	s_bitset1_b32 s0, 10
	s_mov_b32 m0, s0
	s_sendmsg sendmsg(MSG_INTERRUPT)
	s_mov_b32 m0, ttmp2
.LBB4_10311:                            ; =>This Inner Loop Header: Depth=1
	s_sethalt 5
	s_branch .LBB4_10311
.LBB4_10312:
	s_trap 2
	s_sendmsg_rtn_b32 s0, sendmsg(MSG_RTN_GET_DOORBELL)
	s_mov_b32 ttmp2, m0
	s_waitcnt lgkmcnt(0)
	s_and_b32 s0, s0, 0x3ff
	s_delay_alu instid0(SALU_CYCLE_1) | instskip(NEXT) | instid1(SALU_CYCLE_1)
	s_bitset1_b32 s0, 10
	s_mov_b32 m0, s0
	s_sendmsg sendmsg(MSG_INTERRUPT)
	s_mov_b32 m0, ttmp2
.LBB4_10313:                            ; =>This Inner Loop Header: Depth=1
	s_sethalt 5
	s_branch .LBB4_10313
.LBB4_10314:
	s_trap 2
	s_sendmsg_rtn_b32 s0, sendmsg(MSG_RTN_GET_DOORBELL)
	s_mov_b32 ttmp2, m0
	s_waitcnt lgkmcnt(0)
	s_and_b32 s0, s0, 0x3ff
	s_delay_alu instid0(SALU_CYCLE_1) | instskip(NEXT) | instid1(SALU_CYCLE_1)
	s_bitset1_b32 s0, 10
	s_mov_b32 m0, s0
	s_sendmsg sendmsg(MSG_INTERRUPT)
	s_mov_b32 m0, ttmp2
.LBB4_10315:                            ; =>This Inner Loop Header: Depth=1
	s_sethalt 5
	s_branch .LBB4_10315
.LBB4_10316:
	s_trap 2
	s_sendmsg_rtn_b32 s0, sendmsg(MSG_RTN_GET_DOORBELL)
	s_mov_b32 ttmp2, m0
	s_waitcnt lgkmcnt(0)
	s_and_b32 s0, s0, 0x3ff
	s_delay_alu instid0(SALU_CYCLE_1) | instskip(NEXT) | instid1(SALU_CYCLE_1)
	s_bitset1_b32 s0, 10
	s_mov_b32 m0, s0
	s_sendmsg sendmsg(MSG_INTERRUPT)
	s_mov_b32 m0, ttmp2
.LBB4_10317:                            ; =>This Inner Loop Header: Depth=1
	s_sethalt 5
	s_branch .LBB4_10317
.LBB4_10318:
	s_trap 2
	s_sendmsg_rtn_b32 s0, sendmsg(MSG_RTN_GET_DOORBELL)
	s_mov_b32 ttmp2, m0
	s_waitcnt lgkmcnt(0)
	s_and_b32 s0, s0, 0x3ff
	s_delay_alu instid0(SALU_CYCLE_1) | instskip(NEXT) | instid1(SALU_CYCLE_1)
	s_bitset1_b32 s0, 10
	s_mov_b32 m0, s0
	s_sendmsg sendmsg(MSG_INTERRUPT)
	s_mov_b32 m0, ttmp2
.LBB4_10319:                            ; =>This Inner Loop Header: Depth=1
	s_sethalt 5
	s_branch .LBB4_10319
.LBB4_10320:
	s_trap 2
	s_sendmsg_rtn_b32 s0, sendmsg(MSG_RTN_GET_DOORBELL)
	s_mov_b32 ttmp2, m0
	s_waitcnt lgkmcnt(0)
	s_and_b32 s0, s0, 0x3ff
	s_delay_alu instid0(SALU_CYCLE_1) | instskip(NEXT) | instid1(SALU_CYCLE_1)
	s_bitset1_b32 s0, 10
	s_mov_b32 m0, s0
	s_sendmsg sendmsg(MSG_INTERRUPT)
	s_mov_b32 m0, ttmp2
.LBB4_10321:                            ; =>This Inner Loop Header: Depth=1
	s_sethalt 5
	s_branch .LBB4_10321
.LBB4_10322:
	s_trap 2
	s_sendmsg_rtn_b32 s0, sendmsg(MSG_RTN_GET_DOORBELL)
	s_mov_b32 ttmp2, m0
	s_waitcnt lgkmcnt(0)
	s_and_b32 s0, s0, 0x3ff
	s_delay_alu instid0(SALU_CYCLE_1) | instskip(NEXT) | instid1(SALU_CYCLE_1)
	s_bitset1_b32 s0, 10
	s_mov_b32 m0, s0
	s_sendmsg sendmsg(MSG_INTERRUPT)
	s_mov_b32 m0, ttmp2
.LBB4_10323:                            ; =>This Inner Loop Header: Depth=1
	s_sethalt 5
	s_branch .LBB4_10323
.LBB4_10324:
	s_trap 2
	s_sendmsg_rtn_b32 s0, sendmsg(MSG_RTN_GET_DOORBELL)
	s_mov_b32 ttmp2, m0
	s_waitcnt lgkmcnt(0)
	s_and_b32 s0, s0, 0x3ff
	s_delay_alu instid0(SALU_CYCLE_1) | instskip(NEXT) | instid1(SALU_CYCLE_1)
	s_bitset1_b32 s0, 10
	s_mov_b32 m0, s0
	s_sendmsg sendmsg(MSG_INTERRUPT)
	s_mov_b32 m0, ttmp2
.LBB4_10325:                            ; =>This Inner Loop Header: Depth=1
	s_sethalt 5
	s_branch .LBB4_10325
.LBB4_10326:
	s_trap 2
	s_sendmsg_rtn_b32 s0, sendmsg(MSG_RTN_GET_DOORBELL)
	s_mov_b32 ttmp2, m0
	s_waitcnt lgkmcnt(0)
	s_and_b32 s0, s0, 0x3ff
	s_delay_alu instid0(SALU_CYCLE_1) | instskip(NEXT) | instid1(SALU_CYCLE_1)
	s_bitset1_b32 s0, 10
	s_mov_b32 m0, s0
	s_sendmsg sendmsg(MSG_INTERRUPT)
	s_mov_b32 m0, ttmp2
.LBB4_10327:                            ; =>This Inner Loop Header: Depth=1
	s_sethalt 5
	s_branch .LBB4_10327
.LBB4_10328:
	s_trap 2
	s_sendmsg_rtn_b32 s0, sendmsg(MSG_RTN_GET_DOORBELL)
	s_mov_b32 ttmp2, m0
	s_waitcnt lgkmcnt(0)
	s_and_b32 s0, s0, 0x3ff
	s_delay_alu instid0(SALU_CYCLE_1) | instskip(NEXT) | instid1(SALU_CYCLE_1)
	s_bitset1_b32 s0, 10
	s_mov_b32 m0, s0
	s_sendmsg sendmsg(MSG_INTERRUPT)
	s_mov_b32 m0, ttmp2
.LBB4_10329:                            ; =>This Inner Loop Header: Depth=1
	s_sethalt 5
	s_branch .LBB4_10329
.LBB4_10330:
	s_trap 2
	s_sendmsg_rtn_b32 s0, sendmsg(MSG_RTN_GET_DOORBELL)
	s_mov_b32 ttmp2, m0
	s_waitcnt lgkmcnt(0)
	s_and_b32 s0, s0, 0x3ff
	s_delay_alu instid0(SALU_CYCLE_1) | instskip(NEXT) | instid1(SALU_CYCLE_1)
	s_bitset1_b32 s0, 10
	s_mov_b32 m0, s0
	s_sendmsg sendmsg(MSG_INTERRUPT)
	s_mov_b32 m0, ttmp2
.LBB4_10331:                            ; =>This Inner Loop Header: Depth=1
	s_sethalt 5
	s_branch .LBB4_10331
.LBB4_10332:
	s_trap 2
	s_sendmsg_rtn_b32 s0, sendmsg(MSG_RTN_GET_DOORBELL)
	s_mov_b32 ttmp2, m0
	s_waitcnt lgkmcnt(0)
	s_and_b32 s0, s0, 0x3ff
	s_delay_alu instid0(SALU_CYCLE_1) | instskip(NEXT) | instid1(SALU_CYCLE_1)
	s_bitset1_b32 s0, 10
	s_mov_b32 m0, s0
	s_sendmsg sendmsg(MSG_INTERRUPT)
	s_mov_b32 m0, ttmp2
.LBB4_10333:                            ; =>This Inner Loop Header: Depth=1
	s_sethalt 5
	s_branch .LBB4_10333
.LBB4_10334:
	s_trap 2
	s_sendmsg_rtn_b32 s0, sendmsg(MSG_RTN_GET_DOORBELL)
	s_mov_b32 ttmp2, m0
	s_waitcnt lgkmcnt(0)
	s_and_b32 s0, s0, 0x3ff
	s_delay_alu instid0(SALU_CYCLE_1) | instskip(NEXT) | instid1(SALU_CYCLE_1)
	s_bitset1_b32 s0, 10
	s_mov_b32 m0, s0
	s_sendmsg sendmsg(MSG_INTERRUPT)
	s_mov_b32 m0, ttmp2
.LBB4_10335:                            ; =>This Inner Loop Header: Depth=1
	s_sethalt 5
	s_branch .LBB4_10335
.LBB4_10336:
	s_trap 2
	s_sendmsg_rtn_b32 s0, sendmsg(MSG_RTN_GET_DOORBELL)
	s_mov_b32 ttmp2, m0
	s_waitcnt lgkmcnt(0)
	s_and_b32 s0, s0, 0x3ff
	s_delay_alu instid0(SALU_CYCLE_1) | instskip(NEXT) | instid1(SALU_CYCLE_1)
	s_bitset1_b32 s0, 10
	s_mov_b32 m0, s0
	s_sendmsg sendmsg(MSG_INTERRUPT)
	s_mov_b32 m0, ttmp2
.LBB4_10337:                            ; =>This Inner Loop Header: Depth=1
	s_sethalt 5
	s_branch .LBB4_10337
.LBB4_10338:
	s_trap 2
	s_sendmsg_rtn_b32 s0, sendmsg(MSG_RTN_GET_DOORBELL)
	s_mov_b32 ttmp2, m0
	s_waitcnt lgkmcnt(0)
	s_and_b32 s0, s0, 0x3ff
	s_delay_alu instid0(SALU_CYCLE_1) | instskip(NEXT) | instid1(SALU_CYCLE_1)
	s_bitset1_b32 s0, 10
	s_mov_b32 m0, s0
	s_sendmsg sendmsg(MSG_INTERRUPT)
	s_mov_b32 m0, ttmp2
.LBB4_10339:                            ; =>This Inner Loop Header: Depth=1
	s_sethalt 5
	s_branch .LBB4_10339
.LBB4_10340:
	s_trap 2
	s_sendmsg_rtn_b32 s0, sendmsg(MSG_RTN_GET_DOORBELL)
	s_mov_b32 ttmp2, m0
	s_waitcnt lgkmcnt(0)
	s_and_b32 s0, s0, 0x3ff
	s_delay_alu instid0(SALU_CYCLE_1) | instskip(NEXT) | instid1(SALU_CYCLE_1)
	s_bitset1_b32 s0, 10
	s_mov_b32 m0, s0
	s_sendmsg sendmsg(MSG_INTERRUPT)
	s_mov_b32 m0, ttmp2
.LBB4_10341:                            ; =>This Inner Loop Header: Depth=1
	s_sethalt 5
	s_branch .LBB4_10341
.LBB4_10342:
	s_trap 2
	s_sendmsg_rtn_b32 s0, sendmsg(MSG_RTN_GET_DOORBELL)
	s_mov_b32 ttmp2, m0
	s_waitcnt lgkmcnt(0)
	s_and_b32 s0, s0, 0x3ff
	s_delay_alu instid0(SALU_CYCLE_1) | instskip(NEXT) | instid1(SALU_CYCLE_1)
	s_bitset1_b32 s0, 10
	s_mov_b32 m0, s0
	s_sendmsg sendmsg(MSG_INTERRUPT)
	s_mov_b32 m0, ttmp2
.LBB4_10343:                            ; =>This Inner Loop Header: Depth=1
	s_sethalt 5
	s_branch .LBB4_10343
.LBB4_10344:
	s_trap 2
	s_sendmsg_rtn_b32 s0, sendmsg(MSG_RTN_GET_DOORBELL)
	s_mov_b32 ttmp2, m0
	s_waitcnt lgkmcnt(0)
	s_and_b32 s0, s0, 0x3ff
	s_delay_alu instid0(SALU_CYCLE_1) | instskip(NEXT) | instid1(SALU_CYCLE_1)
	s_bitset1_b32 s0, 10
	s_mov_b32 m0, s0
	s_sendmsg sendmsg(MSG_INTERRUPT)
	s_mov_b32 m0, ttmp2
.LBB4_10345:                            ; =>This Inner Loop Header: Depth=1
	s_sethalt 5
	s_branch .LBB4_10345
.LBB4_10346:
	s_trap 2
	s_sendmsg_rtn_b32 s0, sendmsg(MSG_RTN_GET_DOORBELL)
	s_mov_b32 ttmp2, m0
	s_waitcnt lgkmcnt(0)
	s_and_b32 s0, s0, 0x3ff
	s_delay_alu instid0(SALU_CYCLE_1) | instskip(NEXT) | instid1(SALU_CYCLE_1)
	s_bitset1_b32 s0, 10
	s_mov_b32 m0, s0
	s_sendmsg sendmsg(MSG_INTERRUPT)
	s_mov_b32 m0, ttmp2
.LBB4_10347:                            ; =>This Inner Loop Header: Depth=1
	s_sethalt 5
	s_branch .LBB4_10347
.LBB4_10348:
	s_trap 2
	s_sendmsg_rtn_b32 s0, sendmsg(MSG_RTN_GET_DOORBELL)
	s_mov_b32 ttmp2, m0
	s_waitcnt lgkmcnt(0)
	s_and_b32 s0, s0, 0x3ff
	s_delay_alu instid0(SALU_CYCLE_1) | instskip(NEXT) | instid1(SALU_CYCLE_1)
	s_bitset1_b32 s0, 10
	s_mov_b32 m0, s0
	s_sendmsg sendmsg(MSG_INTERRUPT)
	s_mov_b32 m0, ttmp2
.LBB4_10349:                            ; =>This Inner Loop Header: Depth=1
	s_sethalt 5
	s_branch .LBB4_10349
.LBB4_10350:
	s_trap 2
	s_sendmsg_rtn_b32 s0, sendmsg(MSG_RTN_GET_DOORBELL)
	s_mov_b32 ttmp2, m0
	s_waitcnt lgkmcnt(0)
	s_and_b32 s0, s0, 0x3ff
	s_delay_alu instid0(SALU_CYCLE_1) | instskip(NEXT) | instid1(SALU_CYCLE_1)
	s_bitset1_b32 s0, 10
	s_mov_b32 m0, s0
	s_sendmsg sendmsg(MSG_INTERRUPT)
	s_mov_b32 m0, ttmp2
.LBB4_10351:                            ; =>This Inner Loop Header: Depth=1
	s_sethalt 5
	s_branch .LBB4_10351
.LBB4_10352:
	s_trap 2
	s_sendmsg_rtn_b32 s0, sendmsg(MSG_RTN_GET_DOORBELL)
	s_mov_b32 ttmp2, m0
	s_waitcnt lgkmcnt(0)
	s_and_b32 s0, s0, 0x3ff
	s_delay_alu instid0(SALU_CYCLE_1) | instskip(NEXT) | instid1(SALU_CYCLE_1)
	s_bitset1_b32 s0, 10
	s_mov_b32 m0, s0
	s_sendmsg sendmsg(MSG_INTERRUPT)
	s_mov_b32 m0, ttmp2
.LBB4_10353:                            ; =>This Inner Loop Header: Depth=1
	s_sethalt 5
	s_branch .LBB4_10353
.LBB4_10354:
	s_trap 2
	s_sendmsg_rtn_b32 s0, sendmsg(MSG_RTN_GET_DOORBELL)
	s_mov_b32 ttmp2, m0
	s_waitcnt lgkmcnt(0)
	s_and_b32 s0, s0, 0x3ff
	s_delay_alu instid0(SALU_CYCLE_1) | instskip(NEXT) | instid1(SALU_CYCLE_1)
	s_bitset1_b32 s0, 10
	s_mov_b32 m0, s0
	s_sendmsg sendmsg(MSG_INTERRUPT)
	s_mov_b32 m0, ttmp2
.LBB4_10355:                            ; =>This Inner Loop Header: Depth=1
	s_sethalt 5
	s_branch .LBB4_10355
.LBB4_10356:
	s_trap 2
	s_sendmsg_rtn_b32 s0, sendmsg(MSG_RTN_GET_DOORBELL)
	s_mov_b32 ttmp2, m0
	s_waitcnt lgkmcnt(0)
	s_and_b32 s0, s0, 0x3ff
	s_delay_alu instid0(SALU_CYCLE_1) | instskip(NEXT) | instid1(SALU_CYCLE_1)
	s_bitset1_b32 s0, 10
	s_mov_b32 m0, s0
	s_sendmsg sendmsg(MSG_INTERRUPT)
	s_mov_b32 m0, ttmp2
.LBB4_10357:                            ; =>This Inner Loop Header: Depth=1
	s_sethalt 5
	s_branch .LBB4_10357
.LBB4_10358:
	s_trap 2
	s_sendmsg_rtn_b32 s0, sendmsg(MSG_RTN_GET_DOORBELL)
	s_mov_b32 ttmp2, m0
	s_waitcnt lgkmcnt(0)
	s_and_b32 s0, s0, 0x3ff
	s_delay_alu instid0(SALU_CYCLE_1) | instskip(NEXT) | instid1(SALU_CYCLE_1)
	s_bitset1_b32 s0, 10
	s_mov_b32 m0, s0
	s_sendmsg sendmsg(MSG_INTERRUPT)
	s_mov_b32 m0, ttmp2
.LBB4_10359:                            ; =>This Inner Loop Header: Depth=1
	s_sethalt 5
	s_branch .LBB4_10359
.LBB4_10360:
	s_trap 2
	s_sendmsg_rtn_b32 s0, sendmsg(MSG_RTN_GET_DOORBELL)
	s_mov_b32 ttmp2, m0
	s_waitcnt lgkmcnt(0)
	s_and_b32 s0, s0, 0x3ff
	s_delay_alu instid0(SALU_CYCLE_1) | instskip(NEXT) | instid1(SALU_CYCLE_1)
	s_bitset1_b32 s0, 10
	s_mov_b32 m0, s0
	s_sendmsg sendmsg(MSG_INTERRUPT)
	s_mov_b32 m0, ttmp2
.LBB4_10361:                            ; =>This Inner Loop Header: Depth=1
	s_sethalt 5
	s_branch .LBB4_10361
.LBB4_10362:
	s_trap 2
	s_sendmsg_rtn_b32 s0, sendmsg(MSG_RTN_GET_DOORBELL)
	s_mov_b32 ttmp2, m0
	s_waitcnt lgkmcnt(0)
	s_and_b32 s0, s0, 0x3ff
	s_delay_alu instid0(SALU_CYCLE_1) | instskip(NEXT) | instid1(SALU_CYCLE_1)
	s_bitset1_b32 s0, 10
	s_mov_b32 m0, s0
	s_sendmsg sendmsg(MSG_INTERRUPT)
	s_mov_b32 m0, ttmp2
.LBB4_10363:                            ; =>This Inner Loop Header: Depth=1
	s_sethalt 5
	s_branch .LBB4_10363
.LBB4_10364:
	s_trap 2
	s_sendmsg_rtn_b32 s0, sendmsg(MSG_RTN_GET_DOORBELL)
	s_mov_b32 ttmp2, m0
	s_waitcnt lgkmcnt(0)
	s_and_b32 s0, s0, 0x3ff
	s_delay_alu instid0(SALU_CYCLE_1) | instskip(NEXT) | instid1(SALU_CYCLE_1)
	s_bitset1_b32 s0, 10
	s_mov_b32 m0, s0
	s_sendmsg sendmsg(MSG_INTERRUPT)
	s_mov_b32 m0, ttmp2
.LBB4_10365:                            ; =>This Inner Loop Header: Depth=1
	s_sethalt 5
	s_branch .LBB4_10365
.LBB4_10366:
	s_trap 2
	s_sendmsg_rtn_b32 s0, sendmsg(MSG_RTN_GET_DOORBELL)
	s_mov_b32 ttmp2, m0
	s_waitcnt lgkmcnt(0)
	s_and_b32 s0, s0, 0x3ff
	s_delay_alu instid0(SALU_CYCLE_1) | instskip(NEXT) | instid1(SALU_CYCLE_1)
	s_bitset1_b32 s0, 10
	s_mov_b32 m0, s0
	s_sendmsg sendmsg(MSG_INTERRUPT)
	s_mov_b32 m0, ttmp2
.LBB4_10367:                            ; =>This Inner Loop Header: Depth=1
	s_sethalt 5
	s_branch .LBB4_10367
.LBB4_10368:
	s_trap 2
	s_sendmsg_rtn_b32 s0, sendmsg(MSG_RTN_GET_DOORBELL)
	s_mov_b32 ttmp2, m0
	s_waitcnt lgkmcnt(0)
	s_and_b32 s0, s0, 0x3ff
	s_delay_alu instid0(SALU_CYCLE_1) | instskip(NEXT) | instid1(SALU_CYCLE_1)
	s_bitset1_b32 s0, 10
	s_mov_b32 m0, s0
	s_sendmsg sendmsg(MSG_INTERRUPT)
	s_mov_b32 m0, ttmp2
.LBB4_10369:                            ; =>This Inner Loop Header: Depth=1
	s_sethalt 5
	s_branch .LBB4_10369
.LBB4_10370:
	s_trap 2
	s_sendmsg_rtn_b32 s0, sendmsg(MSG_RTN_GET_DOORBELL)
	s_mov_b32 ttmp2, m0
	s_waitcnt lgkmcnt(0)
	s_and_b32 s0, s0, 0x3ff
	s_delay_alu instid0(SALU_CYCLE_1) | instskip(NEXT) | instid1(SALU_CYCLE_1)
	s_bitset1_b32 s0, 10
	s_mov_b32 m0, s0
	s_sendmsg sendmsg(MSG_INTERRUPT)
	s_mov_b32 m0, ttmp2
.LBB4_10371:                            ; =>This Inner Loop Header: Depth=1
	s_sethalt 5
	s_branch .LBB4_10371
.LBB4_10372:
	s_trap 2
	s_sendmsg_rtn_b32 s0, sendmsg(MSG_RTN_GET_DOORBELL)
	s_mov_b32 ttmp2, m0
	s_waitcnt lgkmcnt(0)
	s_and_b32 s0, s0, 0x3ff
	s_delay_alu instid0(SALU_CYCLE_1) | instskip(NEXT) | instid1(SALU_CYCLE_1)
	s_bitset1_b32 s0, 10
	s_mov_b32 m0, s0
	s_sendmsg sendmsg(MSG_INTERRUPT)
	s_mov_b32 m0, ttmp2
.LBB4_10373:                            ; =>This Inner Loop Header: Depth=1
	s_sethalt 5
	s_branch .LBB4_10373
.LBB4_10374:
	s_trap 2
	s_sendmsg_rtn_b32 s0, sendmsg(MSG_RTN_GET_DOORBELL)
	s_mov_b32 ttmp2, m0
	s_waitcnt lgkmcnt(0)
	s_and_b32 s0, s0, 0x3ff
	s_delay_alu instid0(SALU_CYCLE_1) | instskip(NEXT) | instid1(SALU_CYCLE_1)
	s_bitset1_b32 s0, 10
	s_mov_b32 m0, s0
	s_sendmsg sendmsg(MSG_INTERRUPT)
	s_mov_b32 m0, ttmp2
.LBB4_10375:                            ; =>This Inner Loop Header: Depth=1
	s_sethalt 5
	s_branch .LBB4_10375
.LBB4_10376:
	s_trap 2
	s_sendmsg_rtn_b32 s0, sendmsg(MSG_RTN_GET_DOORBELL)
	s_mov_b32 ttmp2, m0
	s_waitcnt lgkmcnt(0)
	s_and_b32 s0, s0, 0x3ff
	s_delay_alu instid0(SALU_CYCLE_1) | instskip(NEXT) | instid1(SALU_CYCLE_1)
	s_bitset1_b32 s0, 10
	s_mov_b32 m0, s0
	s_sendmsg sendmsg(MSG_INTERRUPT)
	s_mov_b32 m0, ttmp2
.LBB4_10377:                            ; =>This Inner Loop Header: Depth=1
	s_sethalt 5
	s_branch .LBB4_10377
.LBB4_10378:
	s_trap 2
	s_sendmsg_rtn_b32 s0, sendmsg(MSG_RTN_GET_DOORBELL)
	s_mov_b32 ttmp2, m0
	s_waitcnt lgkmcnt(0)
	s_and_b32 s0, s0, 0x3ff
	s_delay_alu instid0(SALU_CYCLE_1) | instskip(NEXT) | instid1(SALU_CYCLE_1)
	s_bitset1_b32 s0, 10
	s_mov_b32 m0, s0
	s_sendmsg sendmsg(MSG_INTERRUPT)
	s_mov_b32 m0, ttmp2
.LBB4_10379:                            ; =>This Inner Loop Header: Depth=1
	s_sethalt 5
	s_branch .LBB4_10379
.LBB4_10380:
	s_trap 2
	s_sendmsg_rtn_b32 s0, sendmsg(MSG_RTN_GET_DOORBELL)
	s_mov_b32 ttmp2, m0
	s_waitcnt lgkmcnt(0)
	s_and_b32 s0, s0, 0x3ff
	s_delay_alu instid0(SALU_CYCLE_1) | instskip(NEXT) | instid1(SALU_CYCLE_1)
	s_bitset1_b32 s0, 10
	s_mov_b32 m0, s0
	s_sendmsg sendmsg(MSG_INTERRUPT)
	s_mov_b32 m0, ttmp2
.LBB4_10381:                            ; =>This Inner Loop Header: Depth=1
	s_sethalt 5
	s_branch .LBB4_10381
.LBB4_10382:
	s_trap 2
	s_sendmsg_rtn_b32 s0, sendmsg(MSG_RTN_GET_DOORBELL)
	s_mov_b32 ttmp2, m0
	s_waitcnt lgkmcnt(0)
	s_and_b32 s0, s0, 0x3ff
	s_delay_alu instid0(SALU_CYCLE_1) | instskip(NEXT) | instid1(SALU_CYCLE_1)
	s_bitset1_b32 s0, 10
	s_mov_b32 m0, s0
	s_sendmsg sendmsg(MSG_INTERRUPT)
	s_mov_b32 m0, ttmp2
.LBB4_10383:                            ; =>This Inner Loop Header: Depth=1
	s_sethalt 5
	s_branch .LBB4_10383
.LBB4_10384:
	s_trap 2
	s_sendmsg_rtn_b32 s0, sendmsg(MSG_RTN_GET_DOORBELL)
	s_mov_b32 ttmp2, m0
	s_waitcnt lgkmcnt(0)
	s_and_b32 s0, s0, 0x3ff
	s_delay_alu instid0(SALU_CYCLE_1) | instskip(NEXT) | instid1(SALU_CYCLE_1)
	s_bitset1_b32 s0, 10
	s_mov_b32 m0, s0
	s_sendmsg sendmsg(MSG_INTERRUPT)
	s_mov_b32 m0, ttmp2
.LBB4_10385:                            ; =>This Inner Loop Header: Depth=1
	s_sethalt 5
	s_branch .LBB4_10385
.LBB4_10386:
	s_trap 2
	s_sendmsg_rtn_b32 s0, sendmsg(MSG_RTN_GET_DOORBELL)
	s_mov_b32 ttmp2, m0
	s_waitcnt lgkmcnt(0)
	s_and_b32 s0, s0, 0x3ff
	s_delay_alu instid0(SALU_CYCLE_1) | instskip(NEXT) | instid1(SALU_CYCLE_1)
	s_bitset1_b32 s0, 10
	s_mov_b32 m0, s0
	s_sendmsg sendmsg(MSG_INTERRUPT)
	s_mov_b32 m0, ttmp2
.LBB4_10387:                            ; =>This Inner Loop Header: Depth=1
	s_sethalt 5
	s_branch .LBB4_10387
.LBB4_10388:
	s_trap 2
	s_sendmsg_rtn_b32 s0, sendmsg(MSG_RTN_GET_DOORBELL)
	s_mov_b32 ttmp2, m0
	s_waitcnt lgkmcnt(0)
	s_and_b32 s0, s0, 0x3ff
	s_delay_alu instid0(SALU_CYCLE_1) | instskip(NEXT) | instid1(SALU_CYCLE_1)
	s_bitset1_b32 s0, 10
	s_mov_b32 m0, s0
	s_sendmsg sendmsg(MSG_INTERRUPT)
	s_mov_b32 m0, ttmp2
.LBB4_10389:                            ; =>This Inner Loop Header: Depth=1
	s_sethalt 5
	s_branch .LBB4_10389
.LBB4_10390:
	s_trap 2
	s_sendmsg_rtn_b32 s0, sendmsg(MSG_RTN_GET_DOORBELL)
	s_mov_b32 ttmp2, m0
	s_waitcnt lgkmcnt(0)
	s_and_b32 s0, s0, 0x3ff
	s_delay_alu instid0(SALU_CYCLE_1) | instskip(NEXT) | instid1(SALU_CYCLE_1)
	s_bitset1_b32 s0, 10
	s_mov_b32 m0, s0
	s_sendmsg sendmsg(MSG_INTERRUPT)
	s_mov_b32 m0, ttmp2
.LBB4_10391:                            ; =>This Inner Loop Header: Depth=1
	s_sethalt 5
	s_branch .LBB4_10391
.LBB4_10392:
	s_trap 2
	s_sendmsg_rtn_b32 s0, sendmsg(MSG_RTN_GET_DOORBELL)
	s_mov_b32 ttmp2, m0
	s_waitcnt lgkmcnt(0)
	s_and_b32 s0, s0, 0x3ff
	s_delay_alu instid0(SALU_CYCLE_1) | instskip(NEXT) | instid1(SALU_CYCLE_1)
	s_bitset1_b32 s0, 10
	s_mov_b32 m0, s0
	s_sendmsg sendmsg(MSG_INTERRUPT)
	s_mov_b32 m0, ttmp2
.LBB4_10393:                            ; =>This Inner Loop Header: Depth=1
	s_sethalt 5
	s_branch .LBB4_10393
.LBB4_10394:
	s_trap 2
	s_sendmsg_rtn_b32 s0, sendmsg(MSG_RTN_GET_DOORBELL)
	s_mov_b32 ttmp2, m0
	s_waitcnt lgkmcnt(0)
	s_and_b32 s0, s0, 0x3ff
	s_delay_alu instid0(SALU_CYCLE_1) | instskip(NEXT) | instid1(SALU_CYCLE_1)
	s_bitset1_b32 s0, 10
	s_mov_b32 m0, s0
	s_sendmsg sendmsg(MSG_INTERRUPT)
	s_mov_b32 m0, ttmp2
.LBB4_10395:                            ; =>This Inner Loop Header: Depth=1
	s_sethalt 5
	s_branch .LBB4_10395
.LBB4_10396:
	s_trap 2
	s_sendmsg_rtn_b32 s0, sendmsg(MSG_RTN_GET_DOORBELL)
	s_mov_b32 ttmp2, m0
	s_waitcnt lgkmcnt(0)
	s_and_b32 s0, s0, 0x3ff
	s_delay_alu instid0(SALU_CYCLE_1) | instskip(NEXT) | instid1(SALU_CYCLE_1)
	s_bitset1_b32 s0, 10
	s_mov_b32 m0, s0
	s_sendmsg sendmsg(MSG_INTERRUPT)
	s_mov_b32 m0, ttmp2
.LBB4_10397:                            ; =>This Inner Loop Header: Depth=1
	s_sethalt 5
	s_branch .LBB4_10397
.LBB4_10398:
	s_trap 2
	s_sendmsg_rtn_b32 s0, sendmsg(MSG_RTN_GET_DOORBELL)
	s_mov_b32 ttmp2, m0
	s_waitcnt lgkmcnt(0)
	s_and_b32 s0, s0, 0x3ff
	s_delay_alu instid0(SALU_CYCLE_1) | instskip(NEXT) | instid1(SALU_CYCLE_1)
	s_bitset1_b32 s0, 10
	s_mov_b32 m0, s0
	s_sendmsg sendmsg(MSG_INTERRUPT)
	s_mov_b32 m0, ttmp2
.LBB4_10399:                            ; =>This Inner Loop Header: Depth=1
	s_sethalt 5
	s_branch .LBB4_10399
.LBB4_10400:
	s_trap 2
	s_sendmsg_rtn_b32 s0, sendmsg(MSG_RTN_GET_DOORBELL)
	s_mov_b32 ttmp2, m0
	s_waitcnt lgkmcnt(0)
	s_and_b32 s0, s0, 0x3ff
	s_delay_alu instid0(SALU_CYCLE_1) | instskip(NEXT) | instid1(SALU_CYCLE_1)
	s_bitset1_b32 s0, 10
	s_mov_b32 m0, s0
	s_sendmsg sendmsg(MSG_INTERRUPT)
	s_mov_b32 m0, ttmp2
.LBB4_10401:                            ; =>This Inner Loop Header: Depth=1
	s_sethalt 5
	s_branch .LBB4_10401
.LBB4_10402:
	s_trap 2
	s_sendmsg_rtn_b32 s0, sendmsg(MSG_RTN_GET_DOORBELL)
	s_mov_b32 ttmp2, m0
	s_waitcnt lgkmcnt(0)
	s_and_b32 s0, s0, 0x3ff
	s_delay_alu instid0(SALU_CYCLE_1) | instskip(NEXT) | instid1(SALU_CYCLE_1)
	s_bitset1_b32 s0, 10
	s_mov_b32 m0, s0
	s_sendmsg sendmsg(MSG_INTERRUPT)
	s_mov_b32 m0, ttmp2
.LBB4_10403:                            ; =>This Inner Loop Header: Depth=1
	s_sethalt 5
	s_branch .LBB4_10403
.LBB4_10404:
	s_trap 2
	s_sendmsg_rtn_b32 s0, sendmsg(MSG_RTN_GET_DOORBELL)
	s_mov_b32 ttmp2, m0
	s_waitcnt lgkmcnt(0)
	s_and_b32 s0, s0, 0x3ff
	s_delay_alu instid0(SALU_CYCLE_1) | instskip(NEXT) | instid1(SALU_CYCLE_1)
	s_bitset1_b32 s0, 10
	s_mov_b32 m0, s0
	s_sendmsg sendmsg(MSG_INTERRUPT)
	s_mov_b32 m0, ttmp2
.LBB4_10405:                            ; =>This Inner Loop Header: Depth=1
	s_sethalt 5
	s_branch .LBB4_10405
.LBB4_10406:
	s_trap 2
	s_sendmsg_rtn_b32 s0, sendmsg(MSG_RTN_GET_DOORBELL)
	s_mov_b32 ttmp2, m0
	s_waitcnt lgkmcnt(0)
	s_and_b32 s0, s0, 0x3ff
	s_delay_alu instid0(SALU_CYCLE_1) | instskip(NEXT) | instid1(SALU_CYCLE_1)
	s_bitset1_b32 s0, 10
	s_mov_b32 m0, s0
	s_sendmsg sendmsg(MSG_INTERRUPT)
	s_mov_b32 m0, ttmp2
.LBB4_10407:                            ; =>This Inner Loop Header: Depth=1
	s_sethalt 5
	s_branch .LBB4_10407
.LBB4_10408:
	s_trap 2
	s_sendmsg_rtn_b32 s0, sendmsg(MSG_RTN_GET_DOORBELL)
	s_mov_b32 ttmp2, m0
	s_waitcnt lgkmcnt(0)
	s_and_b32 s0, s0, 0x3ff
	s_delay_alu instid0(SALU_CYCLE_1) | instskip(NEXT) | instid1(SALU_CYCLE_1)
	s_bitset1_b32 s0, 10
	s_mov_b32 m0, s0
	s_sendmsg sendmsg(MSG_INTERRUPT)
	s_mov_b32 m0, ttmp2
.LBB4_10409:                            ; =>This Inner Loop Header: Depth=1
	s_sethalt 5
	s_branch .LBB4_10409
.LBB4_10410:
	s_trap 2
	s_sendmsg_rtn_b32 s0, sendmsg(MSG_RTN_GET_DOORBELL)
	s_mov_b32 ttmp2, m0
	s_waitcnt lgkmcnt(0)
	s_and_b32 s0, s0, 0x3ff
	s_delay_alu instid0(SALU_CYCLE_1) | instskip(NEXT) | instid1(SALU_CYCLE_1)
	s_bitset1_b32 s0, 10
	s_mov_b32 m0, s0
	s_sendmsg sendmsg(MSG_INTERRUPT)
	s_mov_b32 m0, ttmp2
.LBB4_10411:                            ; =>This Inner Loop Header: Depth=1
	s_sethalt 5
	s_branch .LBB4_10411
.LBB4_10412:
	s_trap 2
	s_sendmsg_rtn_b32 s0, sendmsg(MSG_RTN_GET_DOORBELL)
	s_mov_b32 ttmp2, m0
	s_waitcnt lgkmcnt(0)
	s_and_b32 s0, s0, 0x3ff
	s_delay_alu instid0(SALU_CYCLE_1) | instskip(NEXT) | instid1(SALU_CYCLE_1)
	s_bitset1_b32 s0, 10
	s_mov_b32 m0, s0
	s_sendmsg sendmsg(MSG_INTERRUPT)
	s_mov_b32 m0, ttmp2
.LBB4_10413:                            ; =>This Inner Loop Header: Depth=1
	s_sethalt 5
	s_branch .LBB4_10413
.LBB4_10414:
	s_or_b32 exec_lo, exec_lo, s4
	s_and_saveexec_b32 s4, s5
	s_delay_alu instid0(SALU_CYCLE_1)
	s_xor_b32 s4, exec_lo, s4
	s_cbranch_execz .LBB4_10416
; %bb.10415:
	v_mov_b32_e32 v0, 1
	ds_store_b32 v0, v0
	s_cbranch_execnz .LBB4_10504
.LBB4_10416:
	s_or_b32 exec_lo, exec_lo, s3
	;;#ASMSTART
	s_wakeup
	;;#ASMEND
.LBB4_10417:
	s_or_b32 exec_lo, exec_lo, s2
.LBB4_10418:
	s_and_not1_saveexec_b32 s1, s1
	s_cbranch_execz .LBB4_10420
; %bb.10419:
	s_waitcnt vmcnt(0) lgkmcnt(0)
	s_waitcnt_vscnt null, 0x0
	buffer_gl1_inv
	buffer_gl0_inv
	s_barrier
.LBB4_10420:
	s_or_b32 exec_lo, exec_lo, s0
.LBB4_10421:
	s_and_not1_saveexec_b32 s21, s18
	s_cbranch_execz .LBB4_10423
; %bb.10422:
	s_getpc_b64 s[0:1]
	s_add_u32 s0, s0, __PRETTY_FUNCTION__._ZN10PrimitivesI11rccl_float810FuncMinMaxIS0_E12FanSymmetricILi1EELi0E11ProtoSimpleILi2ELi2ELi0ELi2ELi0ELi0EELi0ELb0ELi0ELi0ELi0EEC2EiiPKiS9_PKvPvmhhhP15ncclDevWorkCollP14ncclDevWorkP2pii@rel32@lo+4
	s_addc_u32 s1, s1, __PRETTY_FUNCTION__._ZN10PrimitivesI11rccl_float810FuncMinMaxIS0_E12FanSymmetricILi1EELi0E11ProtoSimpleILi2ELi2ELi0ELi2ELi0ELi0EELi0ELb0ELi0ELi0ELi0EEC2EiiPKiS9_PKvPvmhhhP15ncclDevWorkCollP14ncclDevWorkP2pii@rel32@hi+12
	s_delay_alu instid0(SALU_CYCLE_1) | instskip(SKIP_3) | instid1(SALU_CYCLE_1)
	v_dual_mov_b32 v0, s0 :: v_dual_mov_b32 v1, s1
	s_getpc_b64 s[2:3]
	s_add_u32 s2, s2, __assert_fail@rel32@lo+4
	s_addc_u32 s3, s3, __assert_fail@rel32@hi+12
	s_swappc_b64 s[30:31], s[2:3]
	; divergent unreachable
.LBB4_10423:
	s_or_b32 exec_lo, exec_lo, s21
	s_clause 0x6
	scratch_load_b32 v46, off, s33
	scratch_load_b32 v45, off, s33 offset:4
	scratch_load_b32 v44, off, s33 offset:8
	scratch_load_b32 v43, off, s33 offset:12
	scratch_load_b32 v42, off, s33 offset:16
	scratch_load_b32 v41, off, s33 offset:20
	scratch_load_b32 v40, off, s33 offset:24
	v_readlane_b32 s30, v47, 13
	v_readlane_b32 s31, v47, 14
	;; [unrolled: 1-line block ×16, first 2 shown]
	s_or_saveexec_b32 s1, -1
	s_clause 0x1
	scratch_load_b32 v47, off, s33 offset:28
	scratch_load_b32 v56, off, s33 offset:32
	s_mov_b32 exec_lo, s1
	s_addk_i32 s32, 0xffd0
	s_mov_b32 s33, s0
	s_waitcnt vmcnt(0) lgkmcnt(0)
	s_setpc_b64 s[30:31]
.LBB4_10424:
	s_trap 2
	s_sendmsg_rtn_b32 s0, sendmsg(MSG_RTN_GET_DOORBELL)
	s_mov_b32 ttmp2, m0
	s_waitcnt lgkmcnt(0)
	s_and_b32 s0, s0, 0x3ff
	s_delay_alu instid0(SALU_CYCLE_1) | instskip(NEXT) | instid1(SALU_CYCLE_1)
	s_bitset1_b32 s0, 10
	s_mov_b32 m0, s0
	s_sendmsg sendmsg(MSG_INTERRUPT)
	s_mov_b32 m0, ttmp2
.LBB4_10425:                            ; =>This Inner Loop Header: Depth=1
	s_sethalt 5
	s_branch .LBB4_10425
.LBB4_10426:
	s_trap 2
	s_sendmsg_rtn_b32 s0, sendmsg(MSG_RTN_GET_DOORBELL)
	s_mov_b32 ttmp2, m0
	s_waitcnt lgkmcnt(0)
	s_and_b32 s0, s0, 0x3ff
	s_delay_alu instid0(SALU_CYCLE_1) | instskip(NEXT) | instid1(SALU_CYCLE_1)
	s_bitset1_b32 s0, 10
	s_mov_b32 m0, s0
	s_sendmsg sendmsg(MSG_INTERRUPT)
	s_mov_b32 m0, ttmp2
.LBB4_10427:                            ; =>This Inner Loop Header: Depth=1
	s_sethalt 5
	s_branch .LBB4_10427
.LBB4_10428:
	s_trap 2
	s_sendmsg_rtn_b32 s0, sendmsg(MSG_RTN_GET_DOORBELL)
	s_mov_b32 ttmp2, m0
	s_waitcnt lgkmcnt(0)
	s_and_b32 s0, s0, 0x3ff
	s_delay_alu instid0(SALU_CYCLE_1) | instskip(NEXT) | instid1(SALU_CYCLE_1)
	s_bitset1_b32 s0, 10
	s_mov_b32 m0, s0
	s_sendmsg sendmsg(MSG_INTERRUPT)
	s_mov_b32 m0, ttmp2
.LBB4_10429:                            ; =>This Inner Loop Header: Depth=1
	s_sethalt 5
	s_branch .LBB4_10429
.LBB4_10430:
	s_trap 2
	s_sendmsg_rtn_b32 s0, sendmsg(MSG_RTN_GET_DOORBELL)
	s_mov_b32 ttmp2, m0
	s_waitcnt lgkmcnt(0)
	s_and_b32 s0, s0, 0x3ff
	s_delay_alu instid0(SALU_CYCLE_1) | instskip(NEXT) | instid1(SALU_CYCLE_1)
	s_bitset1_b32 s0, 10
	s_mov_b32 m0, s0
	s_sendmsg sendmsg(MSG_INTERRUPT)
	s_mov_b32 m0, ttmp2
.LBB4_10431:                            ; =>This Inner Loop Header: Depth=1
	s_sethalt 5
	s_branch .LBB4_10431
.LBB4_10432:
	s_trap 2
	s_sendmsg_rtn_b32 s0, sendmsg(MSG_RTN_GET_DOORBELL)
	s_mov_b32 ttmp2, m0
	s_waitcnt lgkmcnt(0)
	s_and_b32 s0, s0, 0x3ff
	s_delay_alu instid0(SALU_CYCLE_1) | instskip(NEXT) | instid1(SALU_CYCLE_1)
	s_bitset1_b32 s0, 10
	s_mov_b32 m0, s0
	s_sendmsg sendmsg(MSG_INTERRUPT)
	s_mov_b32 m0, ttmp2
.LBB4_10433:                            ; =>This Inner Loop Header: Depth=1
	s_sethalt 5
	s_branch .LBB4_10433
.LBB4_10434:
	s_trap 2
	s_sendmsg_rtn_b32 s0, sendmsg(MSG_RTN_GET_DOORBELL)
	s_mov_b32 ttmp2, m0
	s_waitcnt lgkmcnt(0)
	s_and_b32 s0, s0, 0x3ff
	s_delay_alu instid0(SALU_CYCLE_1) | instskip(NEXT) | instid1(SALU_CYCLE_1)
	s_bitset1_b32 s0, 10
	s_mov_b32 m0, s0
	s_sendmsg sendmsg(MSG_INTERRUPT)
	s_mov_b32 m0, ttmp2
.LBB4_10435:                            ; =>This Inner Loop Header: Depth=1
	s_sethalt 5
	s_branch .LBB4_10435
.LBB4_10436:
	s_trap 2
	s_sendmsg_rtn_b32 s0, sendmsg(MSG_RTN_GET_DOORBELL)
	s_mov_b32 ttmp2, m0
	s_waitcnt lgkmcnt(0)
	s_and_b32 s0, s0, 0x3ff
	s_delay_alu instid0(SALU_CYCLE_1) | instskip(NEXT) | instid1(SALU_CYCLE_1)
	s_bitset1_b32 s0, 10
	s_mov_b32 m0, s0
	s_sendmsg sendmsg(MSG_INTERRUPT)
	s_mov_b32 m0, ttmp2
.LBB4_10437:                            ; =>This Inner Loop Header: Depth=1
	s_sethalt 5
	s_branch .LBB4_10437
.LBB4_10438:
	s_trap 2
	s_sendmsg_rtn_b32 s0, sendmsg(MSG_RTN_GET_DOORBELL)
	s_mov_b32 ttmp2, m0
	s_waitcnt lgkmcnt(0)
	s_and_b32 s0, s0, 0x3ff
	s_delay_alu instid0(SALU_CYCLE_1) | instskip(NEXT) | instid1(SALU_CYCLE_1)
	s_bitset1_b32 s0, 10
	s_mov_b32 m0, s0
	s_sendmsg sendmsg(MSG_INTERRUPT)
	s_mov_b32 m0, ttmp2
.LBB4_10439:                            ; =>This Inner Loop Header: Depth=1
	s_sethalt 5
	s_branch .LBB4_10439
.LBB4_10440:
	s_trap 2
	s_sendmsg_rtn_b32 s0, sendmsg(MSG_RTN_GET_DOORBELL)
	s_mov_b32 ttmp2, m0
	s_waitcnt lgkmcnt(0)
	s_and_b32 s0, s0, 0x3ff
	s_delay_alu instid0(SALU_CYCLE_1) | instskip(NEXT) | instid1(SALU_CYCLE_1)
	s_bitset1_b32 s0, 10
	s_mov_b32 m0, s0
	s_sendmsg sendmsg(MSG_INTERRUPT)
	s_mov_b32 m0, ttmp2
.LBB4_10441:                            ; =>This Inner Loop Header: Depth=1
	s_sethalt 5
	s_branch .LBB4_10441
.LBB4_10442:
	s_trap 2
	s_sendmsg_rtn_b32 s0, sendmsg(MSG_RTN_GET_DOORBELL)
	s_mov_b32 ttmp2, m0
	s_waitcnt lgkmcnt(0)
	s_and_b32 s0, s0, 0x3ff
	s_delay_alu instid0(SALU_CYCLE_1) | instskip(NEXT) | instid1(SALU_CYCLE_1)
	s_bitset1_b32 s0, 10
	s_mov_b32 m0, s0
	s_sendmsg sendmsg(MSG_INTERRUPT)
	s_mov_b32 m0, ttmp2
.LBB4_10443:                            ; =>This Inner Loop Header: Depth=1
	s_sethalt 5
	s_branch .LBB4_10443
.LBB4_10444:
	s_trap 2
	s_sendmsg_rtn_b32 s0, sendmsg(MSG_RTN_GET_DOORBELL)
	s_mov_b32 ttmp2, m0
	s_waitcnt lgkmcnt(0)
	s_and_b32 s0, s0, 0x3ff
	s_delay_alu instid0(SALU_CYCLE_1) | instskip(NEXT) | instid1(SALU_CYCLE_1)
	s_bitset1_b32 s0, 10
	s_mov_b32 m0, s0
	s_sendmsg sendmsg(MSG_INTERRUPT)
	s_mov_b32 m0, ttmp2
.LBB4_10445:                            ; =>This Inner Loop Header: Depth=1
	s_sethalt 5
	s_branch .LBB4_10445
.LBB4_10446:
	s_trap 2
	s_sendmsg_rtn_b32 s0, sendmsg(MSG_RTN_GET_DOORBELL)
	s_mov_b32 ttmp2, m0
	s_waitcnt lgkmcnt(0)
	s_and_b32 s0, s0, 0x3ff
	s_delay_alu instid0(SALU_CYCLE_1) | instskip(NEXT) | instid1(SALU_CYCLE_1)
	s_bitset1_b32 s0, 10
	s_mov_b32 m0, s0
	s_sendmsg sendmsg(MSG_INTERRUPT)
	s_mov_b32 m0, ttmp2
.LBB4_10447:                            ; =>This Inner Loop Header: Depth=1
	s_sethalt 5
	s_branch .LBB4_10447
.LBB4_10448:
	s_trap 2
	s_sendmsg_rtn_b32 s0, sendmsg(MSG_RTN_GET_DOORBELL)
	s_mov_b32 ttmp2, m0
	s_waitcnt lgkmcnt(0)
	s_and_b32 s0, s0, 0x3ff
	s_delay_alu instid0(SALU_CYCLE_1) | instskip(NEXT) | instid1(SALU_CYCLE_1)
	s_bitset1_b32 s0, 10
	s_mov_b32 m0, s0
	s_sendmsg sendmsg(MSG_INTERRUPT)
	s_mov_b32 m0, ttmp2
.LBB4_10449:                            ; =>This Inner Loop Header: Depth=1
	s_sethalt 5
	s_branch .LBB4_10449
.LBB4_10450:
	s_trap 2
	s_sendmsg_rtn_b32 s0, sendmsg(MSG_RTN_GET_DOORBELL)
	s_mov_b32 ttmp2, m0
	s_waitcnt lgkmcnt(0)
	s_and_b32 s0, s0, 0x3ff
	s_delay_alu instid0(SALU_CYCLE_1) | instskip(NEXT) | instid1(SALU_CYCLE_1)
	s_bitset1_b32 s0, 10
	s_mov_b32 m0, s0
	s_sendmsg sendmsg(MSG_INTERRUPT)
	s_mov_b32 m0, ttmp2
.LBB4_10451:                            ; =>This Inner Loop Header: Depth=1
	s_sethalt 5
	s_branch .LBB4_10451
.LBB4_10452:
	s_trap 2
	s_sendmsg_rtn_b32 s0, sendmsg(MSG_RTN_GET_DOORBELL)
	s_mov_b32 ttmp2, m0
	s_waitcnt lgkmcnt(0)
	s_and_b32 s0, s0, 0x3ff
	s_delay_alu instid0(SALU_CYCLE_1) | instskip(NEXT) | instid1(SALU_CYCLE_1)
	s_bitset1_b32 s0, 10
	s_mov_b32 m0, s0
	s_sendmsg sendmsg(MSG_INTERRUPT)
	s_mov_b32 m0, ttmp2
.LBB4_10453:                            ; =>This Inner Loop Header: Depth=1
	s_sethalt 5
	s_branch .LBB4_10453
.LBB4_10454:
	s_trap 2
	s_sendmsg_rtn_b32 s0, sendmsg(MSG_RTN_GET_DOORBELL)
	s_mov_b32 ttmp2, m0
	s_waitcnt lgkmcnt(0)
	s_and_b32 s0, s0, 0x3ff
	s_delay_alu instid0(SALU_CYCLE_1) | instskip(NEXT) | instid1(SALU_CYCLE_1)
	s_bitset1_b32 s0, 10
	s_mov_b32 m0, s0
	s_sendmsg sendmsg(MSG_INTERRUPT)
	s_mov_b32 m0, ttmp2
.LBB4_10455:                            ; =>This Inner Loop Header: Depth=1
	s_sethalt 5
	s_branch .LBB4_10455
.LBB4_10456:
	s_trap 2
	s_sendmsg_rtn_b32 s0, sendmsg(MSG_RTN_GET_DOORBELL)
	s_mov_b32 ttmp2, m0
	s_waitcnt lgkmcnt(0)
	s_and_b32 s0, s0, 0x3ff
	s_delay_alu instid0(SALU_CYCLE_1) | instskip(NEXT) | instid1(SALU_CYCLE_1)
	s_bitset1_b32 s0, 10
	s_mov_b32 m0, s0
	s_sendmsg sendmsg(MSG_INTERRUPT)
	s_mov_b32 m0, ttmp2
.LBB4_10457:                            ; =>This Inner Loop Header: Depth=1
	s_sethalt 5
	s_branch .LBB4_10457
.LBB4_10458:
	s_trap 2
	s_sendmsg_rtn_b32 s0, sendmsg(MSG_RTN_GET_DOORBELL)
	s_mov_b32 ttmp2, m0
	s_waitcnt lgkmcnt(0)
	s_and_b32 s0, s0, 0x3ff
	s_delay_alu instid0(SALU_CYCLE_1) | instskip(NEXT) | instid1(SALU_CYCLE_1)
	s_bitset1_b32 s0, 10
	s_mov_b32 m0, s0
	s_sendmsg sendmsg(MSG_INTERRUPT)
	s_mov_b32 m0, ttmp2
.LBB4_10459:                            ; =>This Inner Loop Header: Depth=1
	s_sethalt 5
	s_branch .LBB4_10459
.LBB4_10460:
	s_trap 2
	s_sendmsg_rtn_b32 s0, sendmsg(MSG_RTN_GET_DOORBELL)
	s_mov_b32 ttmp2, m0
	s_waitcnt lgkmcnt(0)
	s_and_b32 s0, s0, 0x3ff
	s_delay_alu instid0(SALU_CYCLE_1) | instskip(NEXT) | instid1(SALU_CYCLE_1)
	s_bitset1_b32 s0, 10
	s_mov_b32 m0, s0
	s_sendmsg sendmsg(MSG_INTERRUPT)
	s_mov_b32 m0, ttmp2
.LBB4_10461:                            ; =>This Inner Loop Header: Depth=1
	s_sethalt 5
	s_branch .LBB4_10461
.LBB4_10462:
	s_trap 2
	s_sendmsg_rtn_b32 s0, sendmsg(MSG_RTN_GET_DOORBELL)
	s_mov_b32 ttmp2, m0
	s_waitcnt lgkmcnt(0)
	s_and_b32 s0, s0, 0x3ff
	s_delay_alu instid0(SALU_CYCLE_1) | instskip(NEXT) | instid1(SALU_CYCLE_1)
	s_bitset1_b32 s0, 10
	s_mov_b32 m0, s0
	s_sendmsg sendmsg(MSG_INTERRUPT)
	s_mov_b32 m0, ttmp2
.LBB4_10463:                            ; =>This Inner Loop Header: Depth=1
	s_sethalt 5
	s_branch .LBB4_10463
.LBB4_10464:
	s_trap 2
	s_sendmsg_rtn_b32 s0, sendmsg(MSG_RTN_GET_DOORBELL)
	s_mov_b32 ttmp2, m0
	s_waitcnt lgkmcnt(0)
	s_and_b32 s0, s0, 0x3ff
	s_delay_alu instid0(SALU_CYCLE_1) | instskip(NEXT) | instid1(SALU_CYCLE_1)
	s_bitset1_b32 s0, 10
	s_mov_b32 m0, s0
	s_sendmsg sendmsg(MSG_INTERRUPT)
	s_mov_b32 m0, ttmp2
.LBB4_10465:                            ; =>This Inner Loop Header: Depth=1
	s_sethalt 5
	s_branch .LBB4_10465
.LBB4_10466:
	s_trap 2
	s_sendmsg_rtn_b32 s0, sendmsg(MSG_RTN_GET_DOORBELL)
	s_mov_b32 ttmp2, m0
	s_waitcnt lgkmcnt(0)
	s_and_b32 s0, s0, 0x3ff
	s_delay_alu instid0(SALU_CYCLE_1) | instskip(NEXT) | instid1(SALU_CYCLE_1)
	s_bitset1_b32 s0, 10
	s_mov_b32 m0, s0
	s_sendmsg sendmsg(MSG_INTERRUPT)
	s_mov_b32 m0, ttmp2
.LBB4_10467:                            ; =>This Inner Loop Header: Depth=1
	s_sethalt 5
	s_branch .LBB4_10467
.LBB4_10468:
	s_trap 2
	s_sendmsg_rtn_b32 s0, sendmsg(MSG_RTN_GET_DOORBELL)
	s_mov_b32 ttmp2, m0
	s_waitcnt lgkmcnt(0)
	s_and_b32 s0, s0, 0x3ff
	s_delay_alu instid0(SALU_CYCLE_1) | instskip(NEXT) | instid1(SALU_CYCLE_1)
	s_bitset1_b32 s0, 10
	s_mov_b32 m0, s0
	s_sendmsg sendmsg(MSG_INTERRUPT)
	s_mov_b32 m0, ttmp2
.LBB4_10469:                            ; =>This Inner Loop Header: Depth=1
	s_sethalt 5
	s_branch .LBB4_10469
.LBB4_10470:
	s_trap 2
	s_sendmsg_rtn_b32 s0, sendmsg(MSG_RTN_GET_DOORBELL)
	s_mov_b32 ttmp2, m0
	s_waitcnt lgkmcnt(0)
	s_and_b32 s0, s0, 0x3ff
	s_delay_alu instid0(SALU_CYCLE_1) | instskip(NEXT) | instid1(SALU_CYCLE_1)
	s_bitset1_b32 s0, 10
	s_mov_b32 m0, s0
	s_sendmsg sendmsg(MSG_INTERRUPT)
	s_mov_b32 m0, ttmp2
.LBB4_10471:                            ; =>This Inner Loop Header: Depth=1
	s_sethalt 5
	s_branch .LBB4_10471
.LBB4_10472:
	s_trap 2
	s_sendmsg_rtn_b32 s0, sendmsg(MSG_RTN_GET_DOORBELL)
	s_mov_b32 ttmp2, m0
	s_waitcnt lgkmcnt(0)
	s_and_b32 s0, s0, 0x3ff
	s_delay_alu instid0(SALU_CYCLE_1) | instskip(NEXT) | instid1(SALU_CYCLE_1)
	s_bitset1_b32 s0, 10
	s_mov_b32 m0, s0
	s_sendmsg sendmsg(MSG_INTERRUPT)
	s_mov_b32 m0, ttmp2
.LBB4_10473:                            ; =>This Inner Loop Header: Depth=1
	s_sethalt 5
	s_branch .LBB4_10473
.LBB4_10474:
	s_trap 2
	s_sendmsg_rtn_b32 s0, sendmsg(MSG_RTN_GET_DOORBELL)
	s_mov_b32 ttmp2, m0
	s_waitcnt lgkmcnt(0)
	s_and_b32 s0, s0, 0x3ff
	s_delay_alu instid0(SALU_CYCLE_1) | instskip(NEXT) | instid1(SALU_CYCLE_1)
	s_bitset1_b32 s0, 10
	s_mov_b32 m0, s0
	s_sendmsg sendmsg(MSG_INTERRUPT)
	s_mov_b32 m0, ttmp2
.LBB4_10475:                            ; =>This Inner Loop Header: Depth=1
	s_sethalt 5
	s_branch .LBB4_10475
.LBB4_10476:
	s_trap 2
	s_sendmsg_rtn_b32 s0, sendmsg(MSG_RTN_GET_DOORBELL)
	s_mov_b32 ttmp2, m0
	s_waitcnt lgkmcnt(0)
	s_and_b32 s0, s0, 0x3ff
	s_delay_alu instid0(SALU_CYCLE_1) | instskip(NEXT) | instid1(SALU_CYCLE_1)
	s_bitset1_b32 s0, 10
	s_mov_b32 m0, s0
	s_sendmsg sendmsg(MSG_INTERRUPT)
	s_mov_b32 m0, ttmp2
.LBB4_10477:                            ; =>This Inner Loop Header: Depth=1
	s_sethalt 5
	s_branch .LBB4_10477
.LBB4_10478:
	s_trap 2
	s_sendmsg_rtn_b32 s0, sendmsg(MSG_RTN_GET_DOORBELL)
	s_mov_b32 ttmp2, m0
	s_waitcnt lgkmcnt(0)
	s_and_b32 s0, s0, 0x3ff
	s_delay_alu instid0(SALU_CYCLE_1) | instskip(NEXT) | instid1(SALU_CYCLE_1)
	s_bitset1_b32 s0, 10
	s_mov_b32 m0, s0
	s_sendmsg sendmsg(MSG_INTERRUPT)
	s_mov_b32 m0, ttmp2
.LBB4_10479:                            ; =>This Inner Loop Header: Depth=1
	s_sethalt 5
	s_branch .LBB4_10479
.LBB4_10480:
	s_trap 2
	s_sendmsg_rtn_b32 s0, sendmsg(MSG_RTN_GET_DOORBELL)
	s_mov_b32 ttmp2, m0
	s_waitcnt lgkmcnt(0)
	s_and_b32 s0, s0, 0x3ff
	s_delay_alu instid0(SALU_CYCLE_1) | instskip(NEXT) | instid1(SALU_CYCLE_1)
	s_bitset1_b32 s0, 10
	s_mov_b32 m0, s0
	s_sendmsg sendmsg(MSG_INTERRUPT)
	s_mov_b32 m0, ttmp2
.LBB4_10481:                            ; =>This Inner Loop Header: Depth=1
	s_sethalt 5
	s_branch .LBB4_10481
.LBB4_10482:
	s_trap 2
	s_sendmsg_rtn_b32 s0, sendmsg(MSG_RTN_GET_DOORBELL)
	s_mov_b32 ttmp2, m0
	s_waitcnt lgkmcnt(0)
	s_and_b32 s0, s0, 0x3ff
	s_delay_alu instid0(SALU_CYCLE_1) | instskip(NEXT) | instid1(SALU_CYCLE_1)
	s_bitset1_b32 s0, 10
	s_mov_b32 m0, s0
	s_sendmsg sendmsg(MSG_INTERRUPT)
	s_mov_b32 m0, ttmp2
.LBB4_10483:                            ; =>This Inner Loop Header: Depth=1
	s_sethalt 5
	s_branch .LBB4_10483
.LBB4_10484:
	s_trap 2
	s_sendmsg_rtn_b32 s0, sendmsg(MSG_RTN_GET_DOORBELL)
	s_mov_b32 ttmp2, m0
	s_waitcnt lgkmcnt(0)
	s_and_b32 s0, s0, 0x3ff
	s_delay_alu instid0(SALU_CYCLE_1) | instskip(NEXT) | instid1(SALU_CYCLE_1)
	s_bitset1_b32 s0, 10
	s_mov_b32 m0, s0
	s_sendmsg sendmsg(MSG_INTERRUPT)
	s_mov_b32 m0, ttmp2
.LBB4_10485:                            ; =>This Inner Loop Header: Depth=1
	s_sethalt 5
	s_branch .LBB4_10485
.LBB4_10486:
	s_trap 2
	s_sendmsg_rtn_b32 s0, sendmsg(MSG_RTN_GET_DOORBELL)
	s_mov_b32 ttmp2, m0
	s_waitcnt lgkmcnt(0)
	s_and_b32 s0, s0, 0x3ff
	s_delay_alu instid0(SALU_CYCLE_1) | instskip(NEXT) | instid1(SALU_CYCLE_1)
	s_bitset1_b32 s0, 10
	s_mov_b32 m0, s0
	s_sendmsg sendmsg(MSG_INTERRUPT)
	s_mov_b32 m0, ttmp2
.LBB4_10487:                            ; =>This Inner Loop Header: Depth=1
	s_sethalt 5
	s_branch .LBB4_10487
.LBB4_10488:
	s_trap 2
	s_sendmsg_rtn_b32 s0, sendmsg(MSG_RTN_GET_DOORBELL)
	s_mov_b32 ttmp2, m0
	s_waitcnt lgkmcnt(0)
	s_and_b32 s0, s0, 0x3ff
	s_delay_alu instid0(SALU_CYCLE_1) | instskip(NEXT) | instid1(SALU_CYCLE_1)
	s_bitset1_b32 s0, 10
	s_mov_b32 m0, s0
	s_sendmsg sendmsg(MSG_INTERRUPT)
	s_mov_b32 m0, ttmp2
.LBB4_10489:                            ; =>This Inner Loop Header: Depth=1
	s_sethalt 5
	s_branch .LBB4_10489
.LBB4_10490:
	s_trap 2
	s_sendmsg_rtn_b32 s0, sendmsg(MSG_RTN_GET_DOORBELL)
	s_mov_b32 ttmp2, m0
	s_waitcnt lgkmcnt(0)
	s_and_b32 s0, s0, 0x3ff
	s_delay_alu instid0(SALU_CYCLE_1) | instskip(NEXT) | instid1(SALU_CYCLE_1)
	s_bitset1_b32 s0, 10
	s_mov_b32 m0, s0
	s_sendmsg sendmsg(MSG_INTERRUPT)
	s_mov_b32 m0, ttmp2
.LBB4_10491:                            ; =>This Inner Loop Header: Depth=1
	s_sethalt 5
	s_branch .LBB4_10491
.LBB4_10492:
	s_trap 2
	s_sendmsg_rtn_b32 s0, sendmsg(MSG_RTN_GET_DOORBELL)
	s_mov_b32 ttmp2, m0
	s_waitcnt lgkmcnt(0)
	s_and_b32 s0, s0, 0x3ff
	s_delay_alu instid0(SALU_CYCLE_1) | instskip(NEXT) | instid1(SALU_CYCLE_1)
	s_bitset1_b32 s0, 10
	s_mov_b32 m0, s0
	s_sendmsg sendmsg(MSG_INTERRUPT)
	s_mov_b32 m0, ttmp2
.LBB4_10493:                            ; =>This Inner Loop Header: Depth=1
	s_sethalt 5
	s_branch .LBB4_10493
.LBB4_10494:
	s_trap 2
	s_sendmsg_rtn_b32 s0, sendmsg(MSG_RTN_GET_DOORBELL)
	s_mov_b32 ttmp2, m0
	s_waitcnt lgkmcnt(0)
	s_and_b32 s0, s0, 0x3ff
	s_delay_alu instid0(SALU_CYCLE_1) | instskip(NEXT) | instid1(SALU_CYCLE_1)
	s_bitset1_b32 s0, 10
	s_mov_b32 m0, s0
	s_sendmsg sendmsg(MSG_INTERRUPT)
	s_mov_b32 m0, ttmp2
.LBB4_10495:                            ; =>This Inner Loop Header: Depth=1
	s_sethalt 5
	s_branch .LBB4_10495
.LBB4_10496:
	s_trap 2
	s_sendmsg_rtn_b32 s0, sendmsg(MSG_RTN_GET_DOORBELL)
	s_mov_b32 ttmp2, m0
	s_waitcnt lgkmcnt(0)
	s_and_b32 s0, s0, 0x3ff
	s_delay_alu instid0(SALU_CYCLE_1) | instskip(NEXT) | instid1(SALU_CYCLE_1)
	s_bitset1_b32 s0, 10
	s_mov_b32 m0, s0
	s_sendmsg sendmsg(MSG_INTERRUPT)
	s_mov_b32 m0, ttmp2
.LBB4_10497:                            ; =>This Inner Loop Header: Depth=1
	s_sethalt 5
	s_branch .LBB4_10497
.LBB4_10498:
	s_trap 2
	s_sendmsg_rtn_b32 s0, sendmsg(MSG_RTN_GET_DOORBELL)
	s_mov_b32 ttmp2, m0
	s_waitcnt lgkmcnt(0)
	s_and_b32 s0, s0, 0x3ff
	s_delay_alu instid0(SALU_CYCLE_1) | instskip(NEXT) | instid1(SALU_CYCLE_1)
	s_bitset1_b32 s0, 10
	s_mov_b32 m0, s0
	s_sendmsg sendmsg(MSG_INTERRUPT)
	s_mov_b32 m0, ttmp2
.LBB4_10499:                            ; =>This Inner Loop Header: Depth=1
	s_sethalt 5
	s_branch .LBB4_10499
.LBB4_10500:
	s_trap 2
	s_sendmsg_rtn_b32 s0, sendmsg(MSG_RTN_GET_DOORBELL)
	s_mov_b32 ttmp2, m0
	s_waitcnt lgkmcnt(0)
	s_and_b32 s0, s0, 0x3ff
	s_delay_alu instid0(SALU_CYCLE_1) | instskip(NEXT) | instid1(SALU_CYCLE_1)
	s_bitset1_b32 s0, 10
	s_mov_b32 m0, s0
	s_sendmsg sendmsg(MSG_INTERRUPT)
	s_mov_b32 m0, ttmp2
.LBB4_10501:                            ; =>This Inner Loop Header: Depth=1
	s_sethalt 5
	s_branch .LBB4_10501
.LBB4_10502:
	s_trap 2
	s_sendmsg_rtn_b32 s0, sendmsg(MSG_RTN_GET_DOORBELL)
	s_mov_b32 ttmp2, m0
	s_waitcnt lgkmcnt(0)
	s_and_b32 s0, s0, 0x3ff
	s_delay_alu instid0(SALU_CYCLE_1) | instskip(NEXT) | instid1(SALU_CYCLE_1)
	s_bitset1_b32 s0, 10
	s_mov_b32 m0, s0
	s_sendmsg sendmsg(MSG_INTERRUPT)
	s_mov_b32 m0, ttmp2
.LBB4_10503:                            ; =>This Inner Loop Header: Depth=1
	s_sethalt 5
	s_branch .LBB4_10503
.LBB4_10504:
	s_trap 2
	s_sendmsg_rtn_b32 s0, sendmsg(MSG_RTN_GET_DOORBELL)
	s_mov_b32 ttmp2, m0
	s_waitcnt lgkmcnt(0)
	s_and_b32 s0, s0, 0x3ff
	s_delay_alu instid0(SALU_CYCLE_1) | instskip(NEXT) | instid1(SALU_CYCLE_1)
	s_bitset1_b32 s0, 10
	s_mov_b32 m0, s0
	s_sendmsg sendmsg(MSG_INTERRUPT)
	s_mov_b32 m0, ttmp2
.LBB4_10505:                            ; =>This Inner Loop Header: Depth=1
	s_sethalt 5
	s_branch .LBB4_10505
.LBB4_10506:
	s_trap 2
	s_sendmsg_rtn_b32 s0, sendmsg(MSG_RTN_GET_DOORBELL)
	s_mov_b32 ttmp2, m0
	s_waitcnt lgkmcnt(0)
	s_and_b32 s0, s0, 0x3ff
	s_delay_alu instid0(SALU_CYCLE_1) | instskip(NEXT) | instid1(SALU_CYCLE_1)
	s_bitset1_b32 s0, 10
	s_mov_b32 m0, s0
	s_sendmsg sendmsg(MSG_INTERRUPT)
	s_mov_b32 m0, ttmp2
.LBB4_10507:                            ; =>This Inner Loop Header: Depth=1
	s_sethalt 5
	s_branch .LBB4_10507
.LBB4_10508:
	s_trap 2
	s_sendmsg_rtn_b32 s0, sendmsg(MSG_RTN_GET_DOORBELL)
	s_mov_b32 ttmp2, m0
	s_waitcnt lgkmcnt(0)
	s_and_b32 s0, s0, 0x3ff
	s_delay_alu instid0(SALU_CYCLE_1) | instskip(NEXT) | instid1(SALU_CYCLE_1)
	s_bitset1_b32 s0, 10
	s_mov_b32 m0, s0
	s_sendmsg sendmsg(MSG_INTERRUPT)
	s_mov_b32 m0, ttmp2
.LBB4_10509:                            ; =>This Inner Loop Header: Depth=1
	s_sethalt 5
	s_branch .LBB4_10509
.LBB4_10510:
	s_trap 2
	s_sendmsg_rtn_b32 s0, sendmsg(MSG_RTN_GET_DOORBELL)
	s_mov_b32 ttmp2, m0
	s_waitcnt lgkmcnt(0)
	s_and_b32 s0, s0, 0x3ff
	s_delay_alu instid0(SALU_CYCLE_1) | instskip(NEXT) | instid1(SALU_CYCLE_1)
	s_bitset1_b32 s0, 10
	s_mov_b32 m0, s0
	s_sendmsg sendmsg(MSG_INTERRUPT)
	s_mov_b32 m0, ttmp2
.LBB4_10511:                            ; =>This Inner Loop Header: Depth=1
	s_sethalt 5
	s_branch .LBB4_10511
.LBB4_10512:
	s_trap 2
	s_sendmsg_rtn_b32 s0, sendmsg(MSG_RTN_GET_DOORBELL)
	s_mov_b32 ttmp2, m0
	s_waitcnt lgkmcnt(0)
	s_and_b32 s0, s0, 0x3ff
	s_delay_alu instid0(SALU_CYCLE_1) | instskip(NEXT) | instid1(SALU_CYCLE_1)
	s_bitset1_b32 s0, 10
	s_mov_b32 m0, s0
	s_sendmsg sendmsg(MSG_INTERRUPT)
	s_mov_b32 m0, ttmp2
.LBB4_10513:                            ; =>This Inner Loop Header: Depth=1
	s_sethalt 5
	s_branch .LBB4_10513
.LBB4_10514:
	s_trap 2
	s_sendmsg_rtn_b32 s0, sendmsg(MSG_RTN_GET_DOORBELL)
	s_mov_b32 ttmp2, m0
	s_waitcnt lgkmcnt(0)
	s_and_b32 s0, s0, 0x3ff
	s_delay_alu instid0(SALU_CYCLE_1) | instskip(NEXT) | instid1(SALU_CYCLE_1)
	s_bitset1_b32 s0, 10
	s_mov_b32 m0, s0
	s_sendmsg sendmsg(MSG_INTERRUPT)
	s_mov_b32 m0, ttmp2
.LBB4_10515:                            ; =>This Inner Loop Header: Depth=1
	s_sethalt 5
	s_branch .LBB4_10515
.LBB4_10516:
	s_trap 2
	s_sendmsg_rtn_b32 s0, sendmsg(MSG_RTN_GET_DOORBELL)
	s_mov_b32 ttmp2, m0
	s_waitcnt lgkmcnt(0)
	s_and_b32 s0, s0, 0x3ff
	s_delay_alu instid0(SALU_CYCLE_1) | instskip(NEXT) | instid1(SALU_CYCLE_1)
	s_bitset1_b32 s0, 10
	s_mov_b32 m0, s0
	s_sendmsg sendmsg(MSG_INTERRUPT)
	s_mov_b32 m0, ttmp2
.LBB4_10517:                            ; =>This Inner Loop Header: Depth=1
	s_sethalt 5
	s_branch .LBB4_10517
.LBB4_10518:
	s_trap 2
	s_sendmsg_rtn_b32 s0, sendmsg(MSG_RTN_GET_DOORBELL)
	s_mov_b32 ttmp2, m0
	s_waitcnt lgkmcnt(0)
	s_and_b32 s0, s0, 0x3ff
	s_delay_alu instid0(SALU_CYCLE_1) | instskip(NEXT) | instid1(SALU_CYCLE_1)
	s_bitset1_b32 s0, 10
	s_mov_b32 m0, s0
	s_sendmsg sendmsg(MSG_INTERRUPT)
	s_mov_b32 m0, ttmp2
.LBB4_10519:                            ; =>This Inner Loop Header: Depth=1
	s_sethalt 5
	s_branch .LBB4_10519
.LBB4_10520:
	s_trap 2
	s_sendmsg_rtn_b32 s0, sendmsg(MSG_RTN_GET_DOORBELL)
	s_mov_b32 ttmp2, m0
	s_waitcnt lgkmcnt(0)
	s_and_b32 s0, s0, 0x3ff
	s_delay_alu instid0(SALU_CYCLE_1) | instskip(NEXT) | instid1(SALU_CYCLE_1)
	s_bitset1_b32 s0, 10
	s_mov_b32 m0, s0
	s_sendmsg sendmsg(MSG_INTERRUPT)
	s_mov_b32 m0, ttmp2
.LBB4_10521:                            ; =>This Inner Loop Header: Depth=1
	s_sethalt 5
	s_branch .LBB4_10521
.LBB4_10522:
	s_trap 2
	s_sendmsg_rtn_b32 s0, sendmsg(MSG_RTN_GET_DOORBELL)
	s_mov_b32 ttmp2, m0
	s_waitcnt lgkmcnt(0)
	s_and_b32 s0, s0, 0x3ff
	s_delay_alu instid0(SALU_CYCLE_1) | instskip(NEXT) | instid1(SALU_CYCLE_1)
	s_bitset1_b32 s0, 10
	s_mov_b32 m0, s0
	s_sendmsg sendmsg(MSG_INTERRUPT)
	s_mov_b32 m0, ttmp2
.LBB4_10523:                            ; =>This Inner Loop Header: Depth=1
	s_sethalt 5
	s_branch .LBB4_10523
.LBB4_10524:
	s_trap 2
	s_sendmsg_rtn_b32 s0, sendmsg(MSG_RTN_GET_DOORBELL)
	s_mov_b32 ttmp2, m0
	s_waitcnt lgkmcnt(0)
	s_and_b32 s0, s0, 0x3ff
	s_delay_alu instid0(SALU_CYCLE_1) | instskip(NEXT) | instid1(SALU_CYCLE_1)
	s_bitset1_b32 s0, 10
	s_mov_b32 m0, s0
	s_sendmsg sendmsg(MSG_INTERRUPT)
	s_mov_b32 m0, ttmp2
.LBB4_10525:                            ; =>This Inner Loop Header: Depth=1
	s_sethalt 5
	s_branch .LBB4_10525
.LBB4_10526:
	s_trap 2
	s_sendmsg_rtn_b32 s0, sendmsg(MSG_RTN_GET_DOORBELL)
	s_mov_b32 ttmp2, m0
	s_waitcnt lgkmcnt(0)
	s_and_b32 s0, s0, 0x3ff
	s_delay_alu instid0(SALU_CYCLE_1) | instskip(NEXT) | instid1(SALU_CYCLE_1)
	s_bitset1_b32 s0, 10
	s_mov_b32 m0, s0
	s_sendmsg sendmsg(MSG_INTERRUPT)
	s_mov_b32 m0, ttmp2
.LBB4_10527:                            ; =>This Inner Loop Header: Depth=1
	s_sethalt 5
	s_branch .LBB4_10527
.LBB4_10528:
	s_trap 2
	s_sendmsg_rtn_b32 s0, sendmsg(MSG_RTN_GET_DOORBELL)
	s_mov_b32 ttmp2, m0
	s_waitcnt lgkmcnt(0)
	s_and_b32 s0, s0, 0x3ff
	s_delay_alu instid0(SALU_CYCLE_1) | instskip(NEXT) | instid1(SALU_CYCLE_1)
	s_bitset1_b32 s0, 10
	s_mov_b32 m0, s0
	s_sendmsg sendmsg(MSG_INTERRUPT)
	s_mov_b32 m0, ttmp2
.LBB4_10529:                            ; =>This Inner Loop Header: Depth=1
	s_sethalt 5
	s_branch .LBB4_10529
.LBB4_10530:
	s_trap 2
	s_sendmsg_rtn_b32 s0, sendmsg(MSG_RTN_GET_DOORBELL)
	s_mov_b32 ttmp2, m0
	s_waitcnt lgkmcnt(0)
	s_and_b32 s0, s0, 0x3ff
	s_delay_alu instid0(SALU_CYCLE_1) | instskip(NEXT) | instid1(SALU_CYCLE_1)
	s_bitset1_b32 s0, 10
	s_mov_b32 m0, s0
	s_sendmsg sendmsg(MSG_INTERRUPT)
	s_mov_b32 m0, ttmp2
.LBB4_10531:                            ; =>This Inner Loop Header: Depth=1
	s_sethalt 5
	s_branch .LBB4_10531
.LBB4_10532:
	s_trap 2
	s_sendmsg_rtn_b32 s0, sendmsg(MSG_RTN_GET_DOORBELL)
	s_mov_b32 ttmp2, m0
	s_waitcnt lgkmcnt(0)
	s_and_b32 s0, s0, 0x3ff
	s_delay_alu instid0(SALU_CYCLE_1) | instskip(NEXT) | instid1(SALU_CYCLE_1)
	s_bitset1_b32 s0, 10
	s_mov_b32 m0, s0
	s_sendmsg sendmsg(MSG_INTERRUPT)
	s_mov_b32 m0, ttmp2
.LBB4_10533:                            ; =>This Inner Loop Header: Depth=1
	s_sethalt 5
	s_branch .LBB4_10533
.LBB4_10534:
	s_trap 2
	s_sendmsg_rtn_b32 s0, sendmsg(MSG_RTN_GET_DOORBELL)
	s_mov_b32 ttmp2, m0
	s_waitcnt lgkmcnt(0)
	s_and_b32 s0, s0, 0x3ff
	s_delay_alu instid0(SALU_CYCLE_1) | instskip(NEXT) | instid1(SALU_CYCLE_1)
	s_bitset1_b32 s0, 10
	s_mov_b32 m0, s0
	s_sendmsg sendmsg(MSG_INTERRUPT)
	s_mov_b32 m0, ttmp2
.LBB4_10535:                            ; =>This Inner Loop Header: Depth=1
	s_sethalt 5
	s_branch .LBB4_10535
.LBB4_10536:
	s_trap 2
	s_sendmsg_rtn_b32 s0, sendmsg(MSG_RTN_GET_DOORBELL)
	s_mov_b32 ttmp2, m0
	s_waitcnt lgkmcnt(0)
	s_and_b32 s0, s0, 0x3ff
	s_delay_alu instid0(SALU_CYCLE_1) | instskip(NEXT) | instid1(SALU_CYCLE_1)
	s_bitset1_b32 s0, 10
	s_mov_b32 m0, s0
	s_sendmsg sendmsg(MSG_INTERRUPT)
	s_mov_b32 m0, ttmp2
.LBB4_10537:                            ; =>This Inner Loop Header: Depth=1
	s_sethalt 5
	s_branch .LBB4_10537
.LBB4_10538:
	s_trap 2
	s_sendmsg_rtn_b32 s0, sendmsg(MSG_RTN_GET_DOORBELL)
	s_mov_b32 ttmp2, m0
	s_waitcnt lgkmcnt(0)
	s_and_b32 s0, s0, 0x3ff
	s_delay_alu instid0(SALU_CYCLE_1) | instskip(NEXT) | instid1(SALU_CYCLE_1)
	s_bitset1_b32 s0, 10
	s_mov_b32 m0, s0
	s_sendmsg sendmsg(MSG_INTERRUPT)
	s_mov_b32 m0, ttmp2
.LBB4_10539:                            ; =>This Inner Loop Header: Depth=1
	s_sethalt 5
	s_branch .LBB4_10539
.LBB4_10540:
	s_trap 2
	s_sendmsg_rtn_b32 s0, sendmsg(MSG_RTN_GET_DOORBELL)
	s_mov_b32 ttmp2, m0
	s_waitcnt lgkmcnt(0)
	s_and_b32 s0, s0, 0x3ff
	s_delay_alu instid0(SALU_CYCLE_1) | instskip(NEXT) | instid1(SALU_CYCLE_1)
	s_bitset1_b32 s0, 10
	s_mov_b32 m0, s0
	s_sendmsg sendmsg(MSG_INTERRUPT)
	s_mov_b32 m0, ttmp2
.LBB4_10541:                            ; =>This Inner Loop Header: Depth=1
	s_sethalt 5
	s_branch .LBB4_10541
.LBB4_10542:
	s_trap 2
	s_sendmsg_rtn_b32 s0, sendmsg(MSG_RTN_GET_DOORBELL)
	s_mov_b32 ttmp2, m0
	s_waitcnt lgkmcnt(0)
	s_and_b32 s0, s0, 0x3ff
	s_delay_alu instid0(SALU_CYCLE_1) | instskip(NEXT) | instid1(SALU_CYCLE_1)
	s_bitset1_b32 s0, 10
	s_mov_b32 m0, s0
	s_sendmsg sendmsg(MSG_INTERRUPT)
	s_mov_b32 m0, ttmp2
.LBB4_10543:                            ; =>This Inner Loop Header: Depth=1
	s_sethalt 5
	s_branch .LBB4_10543
.LBB4_10544:
	s_trap 2
	s_sendmsg_rtn_b32 s0, sendmsg(MSG_RTN_GET_DOORBELL)
	s_mov_b32 ttmp2, m0
	s_waitcnt lgkmcnt(0)
	s_and_b32 s0, s0, 0x3ff
	s_delay_alu instid0(SALU_CYCLE_1) | instskip(NEXT) | instid1(SALU_CYCLE_1)
	s_bitset1_b32 s0, 10
	s_mov_b32 m0, s0
	s_sendmsg sendmsg(MSG_INTERRUPT)
	s_mov_b32 m0, ttmp2
.LBB4_10545:                            ; =>This Inner Loop Header: Depth=1
	s_sethalt 5
	s_branch .LBB4_10545
.LBB4_10546:
	s_trap 2
	s_sendmsg_rtn_b32 s0, sendmsg(MSG_RTN_GET_DOORBELL)
	s_mov_b32 ttmp2, m0
	s_waitcnt lgkmcnt(0)
	s_and_b32 s0, s0, 0x3ff
	s_delay_alu instid0(SALU_CYCLE_1) | instskip(NEXT) | instid1(SALU_CYCLE_1)
	s_bitset1_b32 s0, 10
	s_mov_b32 m0, s0
	s_sendmsg sendmsg(MSG_INTERRUPT)
	s_mov_b32 m0, ttmp2
.LBB4_10547:                            ; =>This Inner Loop Header: Depth=1
	s_sethalt 5
	s_branch .LBB4_10547
.LBB4_10548:
	s_trap 2
	s_sendmsg_rtn_b32 s0, sendmsg(MSG_RTN_GET_DOORBELL)
	s_mov_b32 ttmp2, m0
	s_waitcnt lgkmcnt(0)
	s_and_b32 s0, s0, 0x3ff
	s_delay_alu instid0(SALU_CYCLE_1) | instskip(NEXT) | instid1(SALU_CYCLE_1)
	s_bitset1_b32 s0, 10
	s_mov_b32 m0, s0
	s_sendmsg sendmsg(MSG_INTERRUPT)
	s_mov_b32 m0, ttmp2
.LBB4_10549:                            ; =>This Inner Loop Header: Depth=1
	s_sethalt 5
	s_branch .LBB4_10549
.LBB4_10550:
	s_trap 2
	s_sendmsg_rtn_b32 s0, sendmsg(MSG_RTN_GET_DOORBELL)
	s_mov_b32 ttmp2, m0
	s_waitcnt lgkmcnt(0)
	s_and_b32 s0, s0, 0x3ff
	s_delay_alu instid0(SALU_CYCLE_1) | instskip(NEXT) | instid1(SALU_CYCLE_1)
	s_bitset1_b32 s0, 10
	s_mov_b32 m0, s0
	s_sendmsg sendmsg(MSG_INTERRUPT)
	s_mov_b32 m0, ttmp2
.LBB4_10551:                            ; =>This Inner Loop Header: Depth=1
	s_sethalt 5
	s_branch .LBB4_10551
.LBB4_10552:
	s_trap 2
	s_sendmsg_rtn_b32 s0, sendmsg(MSG_RTN_GET_DOORBELL)
	s_mov_b32 ttmp2, m0
	s_waitcnt lgkmcnt(0)
	s_and_b32 s0, s0, 0x3ff
	s_delay_alu instid0(SALU_CYCLE_1) | instskip(NEXT) | instid1(SALU_CYCLE_1)
	s_bitset1_b32 s0, 10
	s_mov_b32 m0, s0
	s_sendmsg sendmsg(MSG_INTERRUPT)
	s_mov_b32 m0, ttmp2
.LBB4_10553:                            ; =>This Inner Loop Header: Depth=1
	s_sethalt 5
	s_branch .LBB4_10553
.LBB4_10554:
	s_trap 2
	s_sendmsg_rtn_b32 s0, sendmsg(MSG_RTN_GET_DOORBELL)
	s_mov_b32 ttmp2, m0
	s_waitcnt lgkmcnt(0)
	s_and_b32 s0, s0, 0x3ff
	s_delay_alu instid0(SALU_CYCLE_1) | instskip(NEXT) | instid1(SALU_CYCLE_1)
	s_bitset1_b32 s0, 10
	s_mov_b32 m0, s0
	s_sendmsg sendmsg(MSG_INTERRUPT)
	s_mov_b32 m0, ttmp2
.LBB4_10555:                            ; =>This Inner Loop Header: Depth=1
	s_sethalt 5
	s_branch .LBB4_10555
.LBB4_10556:
	s_trap 2
	s_sendmsg_rtn_b32 s0, sendmsg(MSG_RTN_GET_DOORBELL)
	s_mov_b32 ttmp2, m0
	s_waitcnt lgkmcnt(0)
	s_and_b32 s0, s0, 0x3ff
	s_delay_alu instid0(SALU_CYCLE_1) | instskip(NEXT) | instid1(SALU_CYCLE_1)
	s_bitset1_b32 s0, 10
	s_mov_b32 m0, s0
	s_sendmsg sendmsg(MSG_INTERRUPT)
	s_mov_b32 m0, ttmp2
.LBB4_10557:                            ; =>This Inner Loop Header: Depth=1
	s_sethalt 5
	s_branch .LBB4_10557
.LBB4_10558:
	s_trap 2
	s_sendmsg_rtn_b32 s0, sendmsg(MSG_RTN_GET_DOORBELL)
	s_mov_b32 ttmp2, m0
	s_waitcnt lgkmcnt(0)
	s_and_b32 s0, s0, 0x3ff
	s_delay_alu instid0(SALU_CYCLE_1) | instskip(NEXT) | instid1(SALU_CYCLE_1)
	s_bitset1_b32 s0, 10
	s_mov_b32 m0, s0
	s_sendmsg sendmsg(MSG_INTERRUPT)
	s_mov_b32 m0, ttmp2
.LBB4_10559:                            ; =>This Inner Loop Header: Depth=1
	s_sethalt 5
	s_branch .LBB4_10559
.LBB4_10560:
	s_trap 2
	s_sendmsg_rtn_b32 s0, sendmsg(MSG_RTN_GET_DOORBELL)
	s_mov_b32 ttmp2, m0
	s_waitcnt lgkmcnt(0)
	s_and_b32 s0, s0, 0x3ff
	s_delay_alu instid0(SALU_CYCLE_1) | instskip(NEXT) | instid1(SALU_CYCLE_1)
	s_bitset1_b32 s0, 10
	s_mov_b32 m0, s0
	s_sendmsg sendmsg(MSG_INTERRUPT)
	s_mov_b32 m0, ttmp2
.LBB4_10561:                            ; =>This Inner Loop Header: Depth=1
	s_sethalt 5
	s_branch .LBB4_10561
.LBB4_10562:
	s_trap 2
	s_sendmsg_rtn_b32 s0, sendmsg(MSG_RTN_GET_DOORBELL)
	s_mov_b32 ttmp2, m0
	s_waitcnt lgkmcnt(0)
	s_and_b32 s0, s0, 0x3ff
	s_delay_alu instid0(SALU_CYCLE_1) | instskip(NEXT) | instid1(SALU_CYCLE_1)
	s_bitset1_b32 s0, 10
	s_mov_b32 m0, s0
	s_sendmsg sendmsg(MSG_INTERRUPT)
	s_mov_b32 m0, ttmp2
.LBB4_10563:                            ; =>This Inner Loop Header: Depth=1
	s_sethalt 5
	s_branch .LBB4_10563
.LBB4_10564:
	s_trap 2
	s_sendmsg_rtn_b32 s0, sendmsg(MSG_RTN_GET_DOORBELL)
	s_mov_b32 ttmp2, m0
	s_waitcnt lgkmcnt(0)
	s_and_b32 s0, s0, 0x3ff
	s_delay_alu instid0(SALU_CYCLE_1) | instskip(NEXT) | instid1(SALU_CYCLE_1)
	s_bitset1_b32 s0, 10
	s_mov_b32 m0, s0
	s_sendmsg sendmsg(MSG_INTERRUPT)
	s_mov_b32 m0, ttmp2
.LBB4_10565:                            ; =>This Inner Loop Header: Depth=1
	s_sethalt 5
	s_branch .LBB4_10565
.LBB4_10566:
	s_trap 2
	s_sendmsg_rtn_b32 s0, sendmsg(MSG_RTN_GET_DOORBELL)
	s_mov_b32 ttmp2, m0
	s_waitcnt lgkmcnt(0)
	s_and_b32 s0, s0, 0x3ff
	s_delay_alu instid0(SALU_CYCLE_1) | instskip(NEXT) | instid1(SALU_CYCLE_1)
	s_bitset1_b32 s0, 10
	s_mov_b32 m0, s0
	s_sendmsg sendmsg(MSG_INTERRUPT)
	s_mov_b32 m0, ttmp2
.LBB4_10567:                            ; =>This Inner Loop Header: Depth=1
	s_sethalt 5
	s_branch .LBB4_10567
.LBB4_10568:
	s_trap 2
	s_sendmsg_rtn_b32 s0, sendmsg(MSG_RTN_GET_DOORBELL)
	s_mov_b32 ttmp2, m0
	s_waitcnt lgkmcnt(0)
	s_and_b32 s0, s0, 0x3ff
	s_delay_alu instid0(SALU_CYCLE_1) | instskip(NEXT) | instid1(SALU_CYCLE_1)
	s_bitset1_b32 s0, 10
	s_mov_b32 m0, s0
	s_sendmsg sendmsg(MSG_INTERRUPT)
	s_mov_b32 m0, ttmp2
.LBB4_10569:                            ; =>This Inner Loop Header: Depth=1
	s_sethalt 5
	s_branch .LBB4_10569
.LBB4_10570:
	s_trap 2
	s_sendmsg_rtn_b32 s0, sendmsg(MSG_RTN_GET_DOORBELL)
	s_mov_b32 ttmp2, m0
	s_waitcnt lgkmcnt(0)
	s_and_b32 s0, s0, 0x3ff
	s_delay_alu instid0(SALU_CYCLE_1) | instskip(NEXT) | instid1(SALU_CYCLE_1)
	s_bitset1_b32 s0, 10
	s_mov_b32 m0, s0
	s_sendmsg sendmsg(MSG_INTERRUPT)
	s_mov_b32 m0, ttmp2
.LBB4_10571:                            ; =>This Inner Loop Header: Depth=1
	s_sethalt 5
	s_branch .LBB4_10571
.LBB4_10572:
	s_trap 2
	s_sendmsg_rtn_b32 s0, sendmsg(MSG_RTN_GET_DOORBELL)
	s_mov_b32 ttmp2, m0
	s_waitcnt lgkmcnt(0)
	s_and_b32 s0, s0, 0x3ff
	s_delay_alu instid0(SALU_CYCLE_1) | instskip(NEXT) | instid1(SALU_CYCLE_1)
	s_bitset1_b32 s0, 10
	s_mov_b32 m0, s0
	s_sendmsg sendmsg(MSG_INTERRUPT)
	s_mov_b32 m0, ttmp2
.LBB4_10573:                            ; =>This Inner Loop Header: Depth=1
	s_sethalt 5
	s_branch .LBB4_10573
.LBB4_10574:
	s_trap 2
	s_sendmsg_rtn_b32 s0, sendmsg(MSG_RTN_GET_DOORBELL)
	s_mov_b32 ttmp2, m0
	s_waitcnt lgkmcnt(0)
	s_and_b32 s0, s0, 0x3ff
	s_delay_alu instid0(SALU_CYCLE_1) | instskip(NEXT) | instid1(SALU_CYCLE_1)
	s_bitset1_b32 s0, 10
	s_mov_b32 m0, s0
	s_sendmsg sendmsg(MSG_INTERRUPT)
	s_mov_b32 m0, ttmp2
.LBB4_10575:                            ; =>This Inner Loop Header: Depth=1
	s_sethalt 5
	s_branch .LBB4_10575
.LBB4_10576:
	s_trap 2
	s_sendmsg_rtn_b32 s0, sendmsg(MSG_RTN_GET_DOORBELL)
	s_mov_b32 ttmp2, m0
	s_waitcnt lgkmcnt(0)
	s_and_b32 s0, s0, 0x3ff
	s_delay_alu instid0(SALU_CYCLE_1) | instskip(NEXT) | instid1(SALU_CYCLE_1)
	s_bitset1_b32 s0, 10
	s_mov_b32 m0, s0
	s_sendmsg sendmsg(MSG_INTERRUPT)
	s_mov_b32 m0, ttmp2
.LBB4_10577:                            ; =>This Inner Loop Header: Depth=1
	s_sethalt 5
	s_branch .LBB4_10577
.LBB4_10578:
	s_trap 2
	s_sendmsg_rtn_b32 s0, sendmsg(MSG_RTN_GET_DOORBELL)
	s_mov_b32 ttmp2, m0
	s_waitcnt lgkmcnt(0)
	s_and_b32 s0, s0, 0x3ff
	s_delay_alu instid0(SALU_CYCLE_1) | instskip(NEXT) | instid1(SALU_CYCLE_1)
	s_bitset1_b32 s0, 10
	s_mov_b32 m0, s0
	s_sendmsg sendmsg(MSG_INTERRUPT)
	s_mov_b32 m0, ttmp2
.LBB4_10579:                            ; =>This Inner Loop Header: Depth=1
	s_sethalt 5
	s_branch .LBB4_10579
.LBB4_10580:
	s_trap 2
	s_sendmsg_rtn_b32 s0, sendmsg(MSG_RTN_GET_DOORBELL)
	s_mov_b32 ttmp2, m0
	s_waitcnt lgkmcnt(0)
	s_and_b32 s0, s0, 0x3ff
	s_delay_alu instid0(SALU_CYCLE_1) | instskip(NEXT) | instid1(SALU_CYCLE_1)
	s_bitset1_b32 s0, 10
	s_mov_b32 m0, s0
	s_sendmsg sendmsg(MSG_INTERRUPT)
	s_mov_b32 m0, ttmp2
.LBB4_10581:                            ; =>This Inner Loop Header: Depth=1
	s_sethalt 5
	s_branch .LBB4_10581
.LBB4_10582:
	s_trap 2
	s_sendmsg_rtn_b32 s0, sendmsg(MSG_RTN_GET_DOORBELL)
	s_mov_b32 ttmp2, m0
	s_waitcnt lgkmcnt(0)
	s_and_b32 s0, s0, 0x3ff
	s_delay_alu instid0(SALU_CYCLE_1) | instskip(NEXT) | instid1(SALU_CYCLE_1)
	s_bitset1_b32 s0, 10
	s_mov_b32 m0, s0
	s_sendmsg sendmsg(MSG_INTERRUPT)
	s_mov_b32 m0, ttmp2
.LBB4_10583:                            ; =>This Inner Loop Header: Depth=1
	s_sethalt 5
	s_branch .LBB4_10583
.LBB4_10584:
	s_trap 2
	s_sendmsg_rtn_b32 s0, sendmsg(MSG_RTN_GET_DOORBELL)
	s_mov_b32 ttmp2, m0
	s_waitcnt lgkmcnt(0)
	s_and_b32 s0, s0, 0x3ff
	s_delay_alu instid0(SALU_CYCLE_1) | instskip(NEXT) | instid1(SALU_CYCLE_1)
	s_bitset1_b32 s0, 10
	s_mov_b32 m0, s0
	s_sendmsg sendmsg(MSG_INTERRUPT)
	s_mov_b32 m0, ttmp2
.LBB4_10585:                            ; =>This Inner Loop Header: Depth=1
	s_sethalt 5
	s_branch .LBB4_10585
.LBB4_10586:
	s_trap 2
	s_sendmsg_rtn_b32 s0, sendmsg(MSG_RTN_GET_DOORBELL)
	s_mov_b32 ttmp2, m0
	s_waitcnt lgkmcnt(0)
	s_and_b32 s0, s0, 0x3ff
	s_delay_alu instid0(SALU_CYCLE_1) | instskip(NEXT) | instid1(SALU_CYCLE_1)
	s_bitset1_b32 s0, 10
	s_mov_b32 m0, s0
	s_sendmsg sendmsg(MSG_INTERRUPT)
	s_mov_b32 m0, ttmp2
.LBB4_10587:                            ; =>This Inner Loop Header: Depth=1
	s_sethalt 5
	s_branch .LBB4_10587
.LBB4_10588:
	s_trap 2
	s_sendmsg_rtn_b32 s0, sendmsg(MSG_RTN_GET_DOORBELL)
	s_mov_b32 ttmp2, m0
	s_waitcnt lgkmcnt(0)
	s_and_b32 s0, s0, 0x3ff
	s_delay_alu instid0(SALU_CYCLE_1) | instskip(NEXT) | instid1(SALU_CYCLE_1)
	s_bitset1_b32 s0, 10
	s_mov_b32 m0, s0
	s_sendmsg sendmsg(MSG_INTERRUPT)
	s_mov_b32 m0, ttmp2
.LBB4_10589:                            ; =>This Inner Loop Header: Depth=1
	s_sethalt 5
	s_branch .LBB4_10589
.LBB4_10590:
	s_trap 2
	s_sendmsg_rtn_b32 s0, sendmsg(MSG_RTN_GET_DOORBELL)
	s_mov_b32 ttmp2, m0
	s_waitcnt lgkmcnt(0)
	s_and_b32 s0, s0, 0x3ff
	s_delay_alu instid0(SALU_CYCLE_1) | instskip(NEXT) | instid1(SALU_CYCLE_1)
	s_bitset1_b32 s0, 10
	s_mov_b32 m0, s0
	s_sendmsg sendmsg(MSG_INTERRUPT)
	s_mov_b32 m0, ttmp2
.LBB4_10591:                            ; =>This Inner Loop Header: Depth=1
	s_sethalt 5
	s_branch .LBB4_10591
.LBB4_10592:
	s_trap 2
	s_sendmsg_rtn_b32 s0, sendmsg(MSG_RTN_GET_DOORBELL)
	s_mov_b32 ttmp2, m0
	s_waitcnt lgkmcnt(0)
	s_and_b32 s0, s0, 0x3ff
	s_delay_alu instid0(SALU_CYCLE_1) | instskip(NEXT) | instid1(SALU_CYCLE_1)
	s_bitset1_b32 s0, 10
	s_mov_b32 m0, s0
	s_sendmsg sendmsg(MSG_INTERRUPT)
	s_mov_b32 m0, ttmp2
.LBB4_10593:                            ; =>This Inner Loop Header: Depth=1
	s_sethalt 5
	s_branch .LBB4_10593
.LBB4_10594:
	s_trap 2
	s_sendmsg_rtn_b32 s0, sendmsg(MSG_RTN_GET_DOORBELL)
	s_mov_b32 ttmp2, m0
	s_waitcnt lgkmcnt(0)
	s_and_b32 s0, s0, 0x3ff
	s_delay_alu instid0(SALU_CYCLE_1) | instskip(NEXT) | instid1(SALU_CYCLE_1)
	s_bitset1_b32 s0, 10
	s_mov_b32 m0, s0
	s_sendmsg sendmsg(MSG_INTERRUPT)
	s_mov_b32 m0, ttmp2
.LBB4_10595:                            ; =>This Inner Loop Header: Depth=1
	s_sethalt 5
	s_branch .LBB4_10595
.LBB4_10596:
	s_trap 2
	s_sendmsg_rtn_b32 s0, sendmsg(MSG_RTN_GET_DOORBELL)
	s_mov_b32 ttmp2, m0
	s_waitcnt lgkmcnt(0)
	s_and_b32 s0, s0, 0x3ff
	s_delay_alu instid0(SALU_CYCLE_1) | instskip(NEXT) | instid1(SALU_CYCLE_1)
	s_bitset1_b32 s0, 10
	s_mov_b32 m0, s0
	s_sendmsg sendmsg(MSG_INTERRUPT)
	s_mov_b32 m0, ttmp2
.LBB4_10597:                            ; =>This Inner Loop Header: Depth=1
	s_sethalt 5
	s_branch .LBB4_10597
.LBB4_10598:
	s_trap 2
	s_sendmsg_rtn_b32 s0, sendmsg(MSG_RTN_GET_DOORBELL)
	s_mov_b32 ttmp2, m0
	s_waitcnt lgkmcnt(0)
	s_and_b32 s0, s0, 0x3ff
	s_delay_alu instid0(SALU_CYCLE_1) | instskip(NEXT) | instid1(SALU_CYCLE_1)
	s_bitset1_b32 s0, 10
	s_mov_b32 m0, s0
	s_sendmsg sendmsg(MSG_INTERRUPT)
	s_mov_b32 m0, ttmp2
.LBB4_10599:                            ; =>This Inner Loop Header: Depth=1
	s_sethalt 5
	s_branch .LBB4_10599
.LBB4_10600:
	s_trap 2
	s_sendmsg_rtn_b32 s0, sendmsg(MSG_RTN_GET_DOORBELL)
	s_mov_b32 ttmp2, m0
	s_waitcnt lgkmcnt(0)
	s_and_b32 s0, s0, 0x3ff
	s_delay_alu instid0(SALU_CYCLE_1) | instskip(NEXT) | instid1(SALU_CYCLE_1)
	s_bitset1_b32 s0, 10
	s_mov_b32 m0, s0
	s_sendmsg sendmsg(MSG_INTERRUPT)
	s_mov_b32 m0, ttmp2
.LBB4_10601:                            ; =>This Inner Loop Header: Depth=1
	s_sethalt 5
	s_branch .LBB4_10601
.LBB4_10602:
	s_trap 2
	s_sendmsg_rtn_b32 s0, sendmsg(MSG_RTN_GET_DOORBELL)
	s_mov_b32 ttmp2, m0
	s_waitcnt lgkmcnt(0)
	s_and_b32 s0, s0, 0x3ff
	s_delay_alu instid0(SALU_CYCLE_1) | instskip(NEXT) | instid1(SALU_CYCLE_1)
	s_bitset1_b32 s0, 10
	s_mov_b32 m0, s0
	s_sendmsg sendmsg(MSG_INTERRUPT)
	s_mov_b32 m0, ttmp2
.LBB4_10603:                            ; =>This Inner Loop Header: Depth=1
	s_sethalt 5
	s_branch .LBB4_10603
.LBB4_10604:
	s_trap 2
	s_sendmsg_rtn_b32 s0, sendmsg(MSG_RTN_GET_DOORBELL)
	s_mov_b32 ttmp2, m0
	s_waitcnt lgkmcnt(0)
	s_and_b32 s0, s0, 0x3ff
	s_delay_alu instid0(SALU_CYCLE_1) | instskip(NEXT) | instid1(SALU_CYCLE_1)
	s_bitset1_b32 s0, 10
	s_mov_b32 m0, s0
	s_sendmsg sendmsg(MSG_INTERRUPT)
	s_mov_b32 m0, ttmp2
.LBB4_10605:                            ; =>This Inner Loop Header: Depth=1
	s_sethalt 5
	s_branch .LBB4_10605
.LBB4_10606:
	s_trap 2
	s_sendmsg_rtn_b32 s0, sendmsg(MSG_RTN_GET_DOORBELL)
	s_mov_b32 ttmp2, m0
	s_waitcnt lgkmcnt(0)
	s_and_b32 s0, s0, 0x3ff
	s_delay_alu instid0(SALU_CYCLE_1) | instskip(NEXT) | instid1(SALU_CYCLE_1)
	s_bitset1_b32 s0, 10
	s_mov_b32 m0, s0
	s_sendmsg sendmsg(MSG_INTERRUPT)
	s_mov_b32 m0, ttmp2
.LBB4_10607:                            ; =>This Inner Loop Header: Depth=1
	s_sethalt 5
	s_branch .LBB4_10607
.LBB4_10608:
	s_trap 2
	s_sendmsg_rtn_b32 s0, sendmsg(MSG_RTN_GET_DOORBELL)
	s_mov_b32 ttmp2, m0
	s_waitcnt lgkmcnt(0)
	s_and_b32 s0, s0, 0x3ff
	s_delay_alu instid0(SALU_CYCLE_1) | instskip(NEXT) | instid1(SALU_CYCLE_1)
	s_bitset1_b32 s0, 10
	s_mov_b32 m0, s0
	s_sendmsg sendmsg(MSG_INTERRUPT)
	s_mov_b32 m0, ttmp2
.LBB4_10609:                            ; =>This Inner Loop Header: Depth=1
	s_sethalt 5
	s_branch .LBB4_10609
.LBB4_10610:
	s_trap 2
	s_sendmsg_rtn_b32 s0, sendmsg(MSG_RTN_GET_DOORBELL)
	s_mov_b32 ttmp2, m0
	s_waitcnt lgkmcnt(0)
	s_and_b32 s0, s0, 0x3ff
	s_delay_alu instid0(SALU_CYCLE_1) | instskip(NEXT) | instid1(SALU_CYCLE_1)
	s_bitset1_b32 s0, 10
	s_mov_b32 m0, s0
	s_sendmsg sendmsg(MSG_INTERRUPT)
	s_mov_b32 m0, ttmp2
.LBB4_10611:                            ; =>This Inner Loop Header: Depth=1
	s_sethalt 5
	s_branch .LBB4_10611
.LBB4_10612:
	s_trap 2
	s_sendmsg_rtn_b32 s0, sendmsg(MSG_RTN_GET_DOORBELL)
	s_mov_b32 ttmp2, m0
	s_waitcnt lgkmcnt(0)
	s_and_b32 s0, s0, 0x3ff
	s_delay_alu instid0(SALU_CYCLE_1) | instskip(NEXT) | instid1(SALU_CYCLE_1)
	s_bitset1_b32 s0, 10
	s_mov_b32 m0, s0
	s_sendmsg sendmsg(MSG_INTERRUPT)
	s_mov_b32 m0, ttmp2
.LBB4_10613:                            ; =>This Inner Loop Header: Depth=1
	s_sethalt 5
	s_branch .LBB4_10613
.LBB4_10614:
	s_trap 2
	s_sendmsg_rtn_b32 s0, sendmsg(MSG_RTN_GET_DOORBELL)
	s_mov_b32 ttmp2, m0
	s_waitcnt lgkmcnt(0)
	s_and_b32 s0, s0, 0x3ff
	s_delay_alu instid0(SALU_CYCLE_1) | instskip(NEXT) | instid1(SALU_CYCLE_1)
	s_bitset1_b32 s0, 10
	s_mov_b32 m0, s0
	s_sendmsg sendmsg(MSG_INTERRUPT)
	s_mov_b32 m0, ttmp2
.LBB4_10615:                            ; =>This Inner Loop Header: Depth=1
	s_sethalt 5
	s_branch .LBB4_10615
.LBB4_10616:
	s_trap 2
	s_sendmsg_rtn_b32 s0, sendmsg(MSG_RTN_GET_DOORBELL)
	s_mov_b32 ttmp2, m0
	s_waitcnt lgkmcnt(0)
	s_and_b32 s0, s0, 0x3ff
	s_delay_alu instid0(SALU_CYCLE_1) | instskip(NEXT) | instid1(SALU_CYCLE_1)
	s_bitset1_b32 s0, 10
	s_mov_b32 m0, s0
	s_sendmsg sendmsg(MSG_INTERRUPT)
	s_mov_b32 m0, ttmp2
.LBB4_10617:                            ; =>This Inner Loop Header: Depth=1
	s_sethalt 5
	s_branch .LBB4_10617
.LBB4_10618:
	s_trap 2
	s_sendmsg_rtn_b32 s0, sendmsg(MSG_RTN_GET_DOORBELL)
	s_mov_b32 ttmp2, m0
	s_waitcnt lgkmcnt(0)
	s_and_b32 s0, s0, 0x3ff
	s_delay_alu instid0(SALU_CYCLE_1) | instskip(NEXT) | instid1(SALU_CYCLE_1)
	s_bitset1_b32 s0, 10
	s_mov_b32 m0, s0
	s_sendmsg sendmsg(MSG_INTERRUPT)
	s_mov_b32 m0, ttmp2
.LBB4_10619:                            ; =>This Inner Loop Header: Depth=1
	s_sethalt 5
	s_branch .LBB4_10619
.LBB4_10620:
	s_trap 2
	s_sendmsg_rtn_b32 s0, sendmsg(MSG_RTN_GET_DOORBELL)
	s_mov_b32 ttmp2, m0
	s_waitcnt lgkmcnt(0)
	s_and_b32 s0, s0, 0x3ff
	s_delay_alu instid0(SALU_CYCLE_1) | instskip(NEXT) | instid1(SALU_CYCLE_1)
	s_bitset1_b32 s0, 10
	s_mov_b32 m0, s0
	s_sendmsg sendmsg(MSG_INTERRUPT)
	s_mov_b32 m0, ttmp2
.LBB4_10621:                            ; =>This Inner Loop Header: Depth=1
	s_sethalt 5
	s_branch .LBB4_10621
.LBB4_10622:
	s_trap 2
	s_sendmsg_rtn_b32 s0, sendmsg(MSG_RTN_GET_DOORBELL)
	s_mov_b32 ttmp2, m0
	s_waitcnt lgkmcnt(0)
	s_and_b32 s0, s0, 0x3ff
	s_delay_alu instid0(SALU_CYCLE_1) | instskip(NEXT) | instid1(SALU_CYCLE_1)
	s_bitset1_b32 s0, 10
	s_mov_b32 m0, s0
	s_sendmsg sendmsg(MSG_INTERRUPT)
	s_mov_b32 m0, ttmp2
.LBB4_10623:                            ; =>This Inner Loop Header: Depth=1
	s_sethalt 5
	s_branch .LBB4_10623
.LBB4_10624:
	s_trap 2
	s_sendmsg_rtn_b32 s0, sendmsg(MSG_RTN_GET_DOORBELL)
	s_mov_b32 ttmp2, m0
	s_waitcnt lgkmcnt(0)
	s_and_b32 s0, s0, 0x3ff
	s_delay_alu instid0(SALU_CYCLE_1) | instskip(NEXT) | instid1(SALU_CYCLE_1)
	s_bitset1_b32 s0, 10
	s_mov_b32 m0, s0
	s_sendmsg sendmsg(MSG_INTERRUPT)
	s_mov_b32 m0, ttmp2
.LBB4_10625:                            ; =>This Inner Loop Header: Depth=1
	s_sethalt 5
	s_branch .LBB4_10625
.LBB4_10626:
	s_trap 2
	s_sendmsg_rtn_b32 s0, sendmsg(MSG_RTN_GET_DOORBELL)
	s_mov_b32 ttmp2, m0
	s_waitcnt lgkmcnt(0)
	s_and_b32 s0, s0, 0x3ff
	s_delay_alu instid0(SALU_CYCLE_1) | instskip(NEXT) | instid1(SALU_CYCLE_1)
	s_bitset1_b32 s0, 10
	s_mov_b32 m0, s0
	s_sendmsg sendmsg(MSG_INTERRUPT)
	s_mov_b32 m0, ttmp2
.LBB4_10627:                            ; =>This Inner Loop Header: Depth=1
	s_sethalt 5
	s_branch .LBB4_10627
.LBB4_10628:
	s_trap 2
	s_sendmsg_rtn_b32 s0, sendmsg(MSG_RTN_GET_DOORBELL)
	s_mov_b32 ttmp2, m0
	s_waitcnt lgkmcnt(0)
	s_and_b32 s0, s0, 0x3ff
	s_delay_alu instid0(SALU_CYCLE_1) | instskip(NEXT) | instid1(SALU_CYCLE_1)
	s_bitset1_b32 s0, 10
	s_mov_b32 m0, s0
	s_sendmsg sendmsg(MSG_INTERRUPT)
	s_mov_b32 m0, ttmp2
.LBB4_10629:                            ; =>This Inner Loop Header: Depth=1
	s_sethalt 5
	s_branch .LBB4_10629
.LBB4_10630:
	s_trap 2
	s_sendmsg_rtn_b32 s0, sendmsg(MSG_RTN_GET_DOORBELL)
	s_mov_b32 ttmp2, m0
	s_waitcnt lgkmcnt(0)
	s_and_b32 s0, s0, 0x3ff
	s_delay_alu instid0(SALU_CYCLE_1) | instskip(NEXT) | instid1(SALU_CYCLE_1)
	s_bitset1_b32 s0, 10
	s_mov_b32 m0, s0
	s_sendmsg sendmsg(MSG_INTERRUPT)
	s_mov_b32 m0, ttmp2
.LBB4_10631:                            ; =>This Inner Loop Header: Depth=1
	s_sethalt 5
	s_branch .LBB4_10631
.LBB4_10632:
	s_trap 2
	s_sendmsg_rtn_b32 s0, sendmsg(MSG_RTN_GET_DOORBELL)
	s_mov_b32 ttmp2, m0
	s_waitcnt lgkmcnt(0)
	s_and_b32 s0, s0, 0x3ff
	s_delay_alu instid0(SALU_CYCLE_1) | instskip(NEXT) | instid1(SALU_CYCLE_1)
	s_bitset1_b32 s0, 10
	s_mov_b32 m0, s0
	s_sendmsg sendmsg(MSG_INTERRUPT)
	s_mov_b32 m0, ttmp2
.LBB4_10633:                            ; =>This Inner Loop Header: Depth=1
	s_sethalt 5
	s_branch .LBB4_10633
.LBB4_10634:
	s_trap 2
	s_sendmsg_rtn_b32 s0, sendmsg(MSG_RTN_GET_DOORBELL)
	s_mov_b32 ttmp2, m0
	s_waitcnt lgkmcnt(0)
	s_and_b32 s0, s0, 0x3ff
	s_delay_alu instid0(SALU_CYCLE_1) | instskip(NEXT) | instid1(SALU_CYCLE_1)
	s_bitset1_b32 s0, 10
	s_mov_b32 m0, s0
	s_sendmsg sendmsg(MSG_INTERRUPT)
	s_mov_b32 m0, ttmp2
.LBB4_10635:                            ; =>This Inner Loop Header: Depth=1
	s_sethalt 5
	s_branch .LBB4_10635
.LBB4_10636:
	s_trap 2
	s_sendmsg_rtn_b32 s0, sendmsg(MSG_RTN_GET_DOORBELL)
	s_mov_b32 ttmp2, m0
	s_waitcnt lgkmcnt(0)
	s_and_b32 s0, s0, 0x3ff
	s_delay_alu instid0(SALU_CYCLE_1) | instskip(NEXT) | instid1(SALU_CYCLE_1)
	s_bitset1_b32 s0, 10
	s_mov_b32 m0, s0
	s_sendmsg sendmsg(MSG_INTERRUPT)
	s_mov_b32 m0, ttmp2
.LBB4_10637:                            ; =>This Inner Loop Header: Depth=1
	s_sethalt 5
	s_branch .LBB4_10637
.LBB4_10638:
	s_trap 2
	s_sendmsg_rtn_b32 s0, sendmsg(MSG_RTN_GET_DOORBELL)
	s_mov_b32 ttmp2, m0
	s_waitcnt lgkmcnt(0)
	s_and_b32 s0, s0, 0x3ff
	s_delay_alu instid0(SALU_CYCLE_1) | instskip(NEXT) | instid1(SALU_CYCLE_1)
	s_bitset1_b32 s0, 10
	s_mov_b32 m0, s0
	s_sendmsg sendmsg(MSG_INTERRUPT)
	s_mov_b32 m0, ttmp2
.LBB4_10639:                            ; =>This Inner Loop Header: Depth=1
	s_sethalt 5
	s_branch .LBB4_10639
.LBB4_10640:
	s_trap 2
	s_sendmsg_rtn_b32 s0, sendmsg(MSG_RTN_GET_DOORBELL)
	s_mov_b32 ttmp2, m0
	s_waitcnt lgkmcnt(0)
	s_and_b32 s0, s0, 0x3ff
	s_delay_alu instid0(SALU_CYCLE_1) | instskip(NEXT) | instid1(SALU_CYCLE_1)
	s_bitset1_b32 s0, 10
	s_mov_b32 m0, s0
	s_sendmsg sendmsg(MSG_INTERRUPT)
	s_mov_b32 m0, ttmp2
.LBB4_10641:                            ; =>This Inner Loop Header: Depth=1
	s_sethalt 5
	s_branch .LBB4_10641
.LBB4_10642:
	s_trap 2
	s_sendmsg_rtn_b32 s0, sendmsg(MSG_RTN_GET_DOORBELL)
	s_mov_b32 ttmp2, m0
	s_waitcnt lgkmcnt(0)
	s_and_b32 s0, s0, 0x3ff
	s_delay_alu instid0(SALU_CYCLE_1) | instskip(NEXT) | instid1(SALU_CYCLE_1)
	s_bitset1_b32 s0, 10
	s_mov_b32 m0, s0
	s_sendmsg sendmsg(MSG_INTERRUPT)
	s_mov_b32 m0, ttmp2
.LBB4_10643:                            ; =>This Inner Loop Header: Depth=1
	s_sethalt 5
	s_branch .LBB4_10643
.LBB4_10644:
	s_trap 2
	s_sendmsg_rtn_b32 s0, sendmsg(MSG_RTN_GET_DOORBELL)
	s_mov_b32 ttmp2, m0
	s_waitcnt lgkmcnt(0)
	s_and_b32 s0, s0, 0x3ff
	s_delay_alu instid0(SALU_CYCLE_1) | instskip(NEXT) | instid1(SALU_CYCLE_1)
	s_bitset1_b32 s0, 10
	s_mov_b32 m0, s0
	s_sendmsg sendmsg(MSG_INTERRUPT)
	s_mov_b32 m0, ttmp2
.LBB4_10645:                            ; =>This Inner Loop Header: Depth=1
	s_sethalt 5
	s_branch .LBB4_10645
.LBB4_10646:
	s_trap 2
	s_sendmsg_rtn_b32 s0, sendmsg(MSG_RTN_GET_DOORBELL)
	s_mov_b32 ttmp2, m0
	s_waitcnt lgkmcnt(0)
	s_and_b32 s0, s0, 0x3ff
	s_delay_alu instid0(SALU_CYCLE_1) | instskip(NEXT) | instid1(SALU_CYCLE_1)
	s_bitset1_b32 s0, 10
	s_mov_b32 m0, s0
	s_sendmsg sendmsg(MSG_INTERRUPT)
	s_mov_b32 m0, ttmp2
.LBB4_10647:                            ; =>This Inner Loop Header: Depth=1
	s_sethalt 5
	s_branch .LBB4_10647
.LBB4_10648:
	s_trap 2
	s_sendmsg_rtn_b32 s0, sendmsg(MSG_RTN_GET_DOORBELL)
	s_mov_b32 ttmp2, m0
	s_waitcnt lgkmcnt(0)
	s_and_b32 s0, s0, 0x3ff
	s_delay_alu instid0(SALU_CYCLE_1) | instskip(NEXT) | instid1(SALU_CYCLE_1)
	s_bitset1_b32 s0, 10
	s_mov_b32 m0, s0
	s_sendmsg sendmsg(MSG_INTERRUPT)
	s_mov_b32 m0, ttmp2
.LBB4_10649:                            ; =>This Inner Loop Header: Depth=1
	s_sethalt 5
	s_branch .LBB4_10649
.LBB4_10650:
	s_trap 2
	s_sendmsg_rtn_b32 s0, sendmsg(MSG_RTN_GET_DOORBELL)
	s_mov_b32 ttmp2, m0
	s_waitcnt lgkmcnt(0)
	s_and_b32 s0, s0, 0x3ff
	s_delay_alu instid0(SALU_CYCLE_1) | instskip(NEXT) | instid1(SALU_CYCLE_1)
	s_bitset1_b32 s0, 10
	s_mov_b32 m0, s0
	s_sendmsg sendmsg(MSG_INTERRUPT)
	s_mov_b32 m0, ttmp2
.LBB4_10651:                            ; =>This Inner Loop Header: Depth=1
	s_sethalt 5
	s_branch .LBB4_10651
.LBB4_10652:
	s_trap 2
	s_sendmsg_rtn_b32 s0, sendmsg(MSG_RTN_GET_DOORBELL)
	s_mov_b32 ttmp2, m0
	s_waitcnt lgkmcnt(0)
	s_and_b32 s0, s0, 0x3ff
	s_delay_alu instid0(SALU_CYCLE_1) | instskip(NEXT) | instid1(SALU_CYCLE_1)
	s_bitset1_b32 s0, 10
	s_mov_b32 m0, s0
	s_sendmsg sendmsg(MSG_INTERRUPT)
	s_mov_b32 m0, ttmp2
.LBB4_10653:                            ; =>This Inner Loop Header: Depth=1
	s_sethalt 5
	s_branch .LBB4_10653
.LBB4_10654:
	s_trap 2
	s_sendmsg_rtn_b32 s0, sendmsg(MSG_RTN_GET_DOORBELL)
	s_mov_b32 ttmp2, m0
	s_waitcnt lgkmcnt(0)
	s_and_b32 s0, s0, 0x3ff
	s_delay_alu instid0(SALU_CYCLE_1) | instskip(NEXT) | instid1(SALU_CYCLE_1)
	s_bitset1_b32 s0, 10
	s_mov_b32 m0, s0
	s_sendmsg sendmsg(MSG_INTERRUPT)
	s_mov_b32 m0, ttmp2
.LBB4_10655:                            ; =>This Inner Loop Header: Depth=1
	s_sethalt 5
	s_branch .LBB4_10655
.LBB4_10656:
	s_trap 2
	s_sendmsg_rtn_b32 s0, sendmsg(MSG_RTN_GET_DOORBELL)
	s_mov_b32 ttmp2, m0
	s_waitcnt lgkmcnt(0)
	s_and_b32 s0, s0, 0x3ff
	s_delay_alu instid0(SALU_CYCLE_1) | instskip(NEXT) | instid1(SALU_CYCLE_1)
	s_bitset1_b32 s0, 10
	s_mov_b32 m0, s0
	s_sendmsg sendmsg(MSG_INTERRUPT)
	s_mov_b32 m0, ttmp2
.LBB4_10657:                            ; =>This Inner Loop Header: Depth=1
	s_sethalt 5
	s_branch .LBB4_10657
.LBB4_10658:
	s_trap 2
	s_sendmsg_rtn_b32 s0, sendmsg(MSG_RTN_GET_DOORBELL)
	s_mov_b32 ttmp2, m0
	s_waitcnt lgkmcnt(0)
	s_and_b32 s0, s0, 0x3ff
	s_delay_alu instid0(SALU_CYCLE_1) | instskip(NEXT) | instid1(SALU_CYCLE_1)
	s_bitset1_b32 s0, 10
	s_mov_b32 m0, s0
	s_sendmsg sendmsg(MSG_INTERRUPT)
	s_mov_b32 m0, ttmp2
.LBB4_10659:                            ; =>This Inner Loop Header: Depth=1
	s_sethalt 5
	s_branch .LBB4_10659
.LBB4_10660:
	s_trap 2
	s_sendmsg_rtn_b32 s0, sendmsg(MSG_RTN_GET_DOORBELL)
	s_mov_b32 ttmp2, m0
	s_waitcnt lgkmcnt(0)
	s_and_b32 s0, s0, 0x3ff
	s_delay_alu instid0(SALU_CYCLE_1) | instskip(NEXT) | instid1(SALU_CYCLE_1)
	s_bitset1_b32 s0, 10
	s_mov_b32 m0, s0
	s_sendmsg sendmsg(MSG_INTERRUPT)
	s_mov_b32 m0, ttmp2
.LBB4_10661:                            ; =>This Inner Loop Header: Depth=1
	s_sethalt 5
	s_branch .LBB4_10661
.LBB4_10662:
	s_trap 2
	s_sendmsg_rtn_b32 s0, sendmsg(MSG_RTN_GET_DOORBELL)
	s_mov_b32 ttmp2, m0
	s_waitcnt lgkmcnt(0)
	s_and_b32 s0, s0, 0x3ff
	s_delay_alu instid0(SALU_CYCLE_1) | instskip(NEXT) | instid1(SALU_CYCLE_1)
	s_bitset1_b32 s0, 10
	s_mov_b32 m0, s0
	s_sendmsg sendmsg(MSG_INTERRUPT)
	s_mov_b32 m0, ttmp2
.LBB4_10663:                            ; =>This Inner Loop Header: Depth=1
	s_sethalt 5
	s_branch .LBB4_10663
.LBB4_10664:
	s_trap 2
	s_sendmsg_rtn_b32 s0, sendmsg(MSG_RTN_GET_DOORBELL)
	s_mov_b32 ttmp2, m0
	s_waitcnt lgkmcnt(0)
	s_and_b32 s0, s0, 0x3ff
	s_delay_alu instid0(SALU_CYCLE_1) | instskip(NEXT) | instid1(SALU_CYCLE_1)
	s_bitset1_b32 s0, 10
	s_mov_b32 m0, s0
	s_sendmsg sendmsg(MSG_INTERRUPT)
	s_mov_b32 m0, ttmp2
.LBB4_10665:                            ; =>This Inner Loop Header: Depth=1
	s_sethalt 5
	s_branch .LBB4_10665
.LBB4_10666:
	s_trap 2
	s_sendmsg_rtn_b32 s0, sendmsg(MSG_RTN_GET_DOORBELL)
	s_mov_b32 ttmp2, m0
	s_waitcnt lgkmcnt(0)
	s_and_b32 s0, s0, 0x3ff
	s_delay_alu instid0(SALU_CYCLE_1) | instskip(NEXT) | instid1(SALU_CYCLE_1)
	s_bitset1_b32 s0, 10
	s_mov_b32 m0, s0
	s_sendmsg sendmsg(MSG_INTERRUPT)
	s_mov_b32 m0, ttmp2
.LBB4_10667:                            ; =>This Inner Loop Header: Depth=1
	s_sethalt 5
	s_branch .LBB4_10667
.LBB4_10668:
	s_trap 2
	s_sendmsg_rtn_b32 s0, sendmsg(MSG_RTN_GET_DOORBELL)
	s_mov_b32 ttmp2, m0
	s_waitcnt lgkmcnt(0)
	s_and_b32 s0, s0, 0x3ff
	s_delay_alu instid0(SALU_CYCLE_1) | instskip(NEXT) | instid1(SALU_CYCLE_1)
	s_bitset1_b32 s0, 10
	s_mov_b32 m0, s0
	s_sendmsg sendmsg(MSG_INTERRUPT)
	s_mov_b32 m0, ttmp2
.LBB4_10669:                            ; =>This Inner Loop Header: Depth=1
	s_sethalt 5
	s_branch .LBB4_10669
.LBB4_10670:
	s_trap 2
	s_sendmsg_rtn_b32 s0, sendmsg(MSG_RTN_GET_DOORBELL)
	s_mov_b32 ttmp2, m0
	s_waitcnt lgkmcnt(0)
	s_and_b32 s0, s0, 0x3ff
	s_delay_alu instid0(SALU_CYCLE_1) | instskip(NEXT) | instid1(SALU_CYCLE_1)
	s_bitset1_b32 s0, 10
	s_mov_b32 m0, s0
	s_sendmsg sendmsg(MSG_INTERRUPT)
	s_mov_b32 m0, ttmp2
.LBB4_10671:                            ; =>This Inner Loop Header: Depth=1
	s_sethalt 5
	s_branch .LBB4_10671
.LBB4_10672:
	s_trap 2
	s_sendmsg_rtn_b32 s0, sendmsg(MSG_RTN_GET_DOORBELL)
	s_mov_b32 ttmp2, m0
	s_waitcnt lgkmcnt(0)
	s_and_b32 s0, s0, 0x3ff
	s_delay_alu instid0(SALU_CYCLE_1) | instskip(NEXT) | instid1(SALU_CYCLE_1)
	s_bitset1_b32 s0, 10
	s_mov_b32 m0, s0
	s_sendmsg sendmsg(MSG_INTERRUPT)
	s_mov_b32 m0, ttmp2
.LBB4_10673:                            ; =>This Inner Loop Header: Depth=1
	s_sethalt 5
	s_branch .LBB4_10673
.LBB4_10674:
	s_trap 2
	s_sendmsg_rtn_b32 s0, sendmsg(MSG_RTN_GET_DOORBELL)
	s_mov_b32 ttmp2, m0
	s_waitcnt lgkmcnt(0)
	s_and_b32 s0, s0, 0x3ff
	s_delay_alu instid0(SALU_CYCLE_1) | instskip(NEXT) | instid1(SALU_CYCLE_1)
	s_bitset1_b32 s0, 10
	s_mov_b32 m0, s0
	s_sendmsg sendmsg(MSG_INTERRUPT)
	s_mov_b32 m0, ttmp2
.LBB4_10675:                            ; =>This Inner Loop Header: Depth=1
	s_sethalt 5
	s_branch .LBB4_10675
.LBB4_10676:
	s_trap 2
	s_sendmsg_rtn_b32 s0, sendmsg(MSG_RTN_GET_DOORBELL)
	s_mov_b32 ttmp2, m0
	s_waitcnt lgkmcnt(0)
	s_and_b32 s0, s0, 0x3ff
	s_delay_alu instid0(SALU_CYCLE_1) | instskip(NEXT) | instid1(SALU_CYCLE_1)
	s_bitset1_b32 s0, 10
	s_mov_b32 m0, s0
	s_sendmsg sendmsg(MSG_INTERRUPT)
	s_mov_b32 m0, ttmp2
.LBB4_10677:                            ; =>This Inner Loop Header: Depth=1
	s_sethalt 5
	s_branch .LBB4_10677
.LBB4_10678:
	s_trap 2
	s_sendmsg_rtn_b32 s0, sendmsg(MSG_RTN_GET_DOORBELL)
	s_mov_b32 ttmp2, m0
	s_waitcnt lgkmcnt(0)
	s_and_b32 s0, s0, 0x3ff
	s_delay_alu instid0(SALU_CYCLE_1) | instskip(NEXT) | instid1(SALU_CYCLE_1)
	s_bitset1_b32 s0, 10
	s_mov_b32 m0, s0
	s_sendmsg sendmsg(MSG_INTERRUPT)
	s_mov_b32 m0, ttmp2
.LBB4_10679:                            ; =>This Inner Loop Header: Depth=1
	s_sethalt 5
	s_branch .LBB4_10679
.LBB4_10680:
	s_trap 2
	s_sendmsg_rtn_b32 s0, sendmsg(MSG_RTN_GET_DOORBELL)
	s_mov_b32 ttmp2, m0
	s_waitcnt lgkmcnt(0)
	s_and_b32 s0, s0, 0x3ff
	s_delay_alu instid0(SALU_CYCLE_1) | instskip(NEXT) | instid1(SALU_CYCLE_1)
	s_bitset1_b32 s0, 10
	s_mov_b32 m0, s0
	s_sendmsg sendmsg(MSG_INTERRUPT)
	s_mov_b32 m0, ttmp2
.LBB4_10681:                            ; =>This Inner Loop Header: Depth=1
	s_sethalt 5
	s_branch .LBB4_10681
.LBB4_10682:
	s_trap 2
	s_sendmsg_rtn_b32 s0, sendmsg(MSG_RTN_GET_DOORBELL)
	s_mov_b32 ttmp2, m0
	s_waitcnt lgkmcnt(0)
	s_and_b32 s0, s0, 0x3ff
	s_delay_alu instid0(SALU_CYCLE_1) | instskip(NEXT) | instid1(SALU_CYCLE_1)
	s_bitset1_b32 s0, 10
	s_mov_b32 m0, s0
	s_sendmsg sendmsg(MSG_INTERRUPT)
	s_mov_b32 m0, ttmp2
.LBB4_10683:                            ; =>This Inner Loop Header: Depth=1
	s_sethalt 5
	s_branch .LBB4_10683
.LBB4_10684:
	s_trap 2
	s_sendmsg_rtn_b32 s0, sendmsg(MSG_RTN_GET_DOORBELL)
	s_mov_b32 ttmp2, m0
	s_waitcnt lgkmcnt(0)
	s_and_b32 s0, s0, 0x3ff
	s_delay_alu instid0(SALU_CYCLE_1) | instskip(NEXT) | instid1(SALU_CYCLE_1)
	s_bitset1_b32 s0, 10
	s_mov_b32 m0, s0
	s_sendmsg sendmsg(MSG_INTERRUPT)
	s_mov_b32 m0, ttmp2
.LBB4_10685:                            ; =>This Inner Loop Header: Depth=1
	s_sethalt 5
	s_branch .LBB4_10685
.LBB4_10686:
	s_trap 2
	s_sendmsg_rtn_b32 s0, sendmsg(MSG_RTN_GET_DOORBELL)
	s_mov_b32 ttmp2, m0
	s_waitcnt lgkmcnt(0)
	s_and_b32 s0, s0, 0x3ff
	s_delay_alu instid0(SALU_CYCLE_1) | instskip(NEXT) | instid1(SALU_CYCLE_1)
	s_bitset1_b32 s0, 10
	s_mov_b32 m0, s0
	s_sendmsg sendmsg(MSG_INTERRUPT)
	s_mov_b32 m0, ttmp2
.LBB4_10687:                            ; =>This Inner Loop Header: Depth=1
	s_sethalt 5
	s_branch .LBB4_10687
.LBB4_10688:
	s_trap 2
	s_sendmsg_rtn_b32 s0, sendmsg(MSG_RTN_GET_DOORBELL)
	s_mov_b32 ttmp2, m0
	s_waitcnt lgkmcnt(0)
	s_and_b32 s0, s0, 0x3ff
	s_delay_alu instid0(SALU_CYCLE_1) | instskip(NEXT) | instid1(SALU_CYCLE_1)
	s_bitset1_b32 s0, 10
	s_mov_b32 m0, s0
	s_sendmsg sendmsg(MSG_INTERRUPT)
	s_mov_b32 m0, ttmp2
.LBB4_10689:                            ; =>This Inner Loop Header: Depth=1
	s_sethalt 5
	s_branch .LBB4_10689
.LBB4_10690:
	s_trap 2
	s_sendmsg_rtn_b32 s0, sendmsg(MSG_RTN_GET_DOORBELL)
	s_mov_b32 ttmp2, m0
	s_waitcnt lgkmcnt(0)
	s_and_b32 s0, s0, 0x3ff
	s_delay_alu instid0(SALU_CYCLE_1) | instskip(NEXT) | instid1(SALU_CYCLE_1)
	s_bitset1_b32 s0, 10
	s_mov_b32 m0, s0
	s_sendmsg sendmsg(MSG_INTERRUPT)
	s_mov_b32 m0, ttmp2
.LBB4_10691:                            ; =>This Inner Loop Header: Depth=1
	s_sethalt 5
	s_branch .LBB4_10691
.LBB4_10692:
	s_trap 2
	s_sendmsg_rtn_b32 s0, sendmsg(MSG_RTN_GET_DOORBELL)
	s_mov_b32 ttmp2, m0
	s_waitcnt lgkmcnt(0)
	s_and_b32 s0, s0, 0x3ff
	s_delay_alu instid0(SALU_CYCLE_1) | instskip(NEXT) | instid1(SALU_CYCLE_1)
	s_bitset1_b32 s0, 10
	s_mov_b32 m0, s0
	s_sendmsg sendmsg(MSG_INTERRUPT)
	s_mov_b32 m0, ttmp2
.LBB4_10693:                            ; =>This Inner Loop Header: Depth=1
	s_sethalt 5
	s_branch .LBB4_10693
.LBB4_10694:
	s_trap 2
	s_sendmsg_rtn_b32 s0, sendmsg(MSG_RTN_GET_DOORBELL)
	s_mov_b32 ttmp2, m0
	s_waitcnt lgkmcnt(0)
	s_and_b32 s0, s0, 0x3ff
	s_delay_alu instid0(SALU_CYCLE_1) | instskip(NEXT) | instid1(SALU_CYCLE_1)
	s_bitset1_b32 s0, 10
	s_mov_b32 m0, s0
	s_sendmsg sendmsg(MSG_INTERRUPT)
	s_mov_b32 m0, ttmp2
.LBB4_10695:                            ; =>This Inner Loop Header: Depth=1
	s_sethalt 5
	s_branch .LBB4_10695
.LBB4_10696:
	s_trap 2
	s_sendmsg_rtn_b32 s0, sendmsg(MSG_RTN_GET_DOORBELL)
	s_mov_b32 ttmp2, m0
	s_waitcnt lgkmcnt(0)
	s_and_b32 s0, s0, 0x3ff
	s_delay_alu instid0(SALU_CYCLE_1) | instskip(NEXT) | instid1(SALU_CYCLE_1)
	s_bitset1_b32 s0, 10
	s_mov_b32 m0, s0
	s_sendmsg sendmsg(MSG_INTERRUPT)
	s_mov_b32 m0, ttmp2
.LBB4_10697:                            ; =>This Inner Loop Header: Depth=1
	s_sethalt 5
	s_branch .LBB4_10697
.LBB4_10698:
	s_trap 2
	s_sendmsg_rtn_b32 s0, sendmsg(MSG_RTN_GET_DOORBELL)
	s_mov_b32 ttmp2, m0
	s_waitcnt lgkmcnt(0)
	s_and_b32 s0, s0, 0x3ff
	s_delay_alu instid0(SALU_CYCLE_1) | instskip(NEXT) | instid1(SALU_CYCLE_1)
	s_bitset1_b32 s0, 10
	s_mov_b32 m0, s0
	s_sendmsg sendmsg(MSG_INTERRUPT)
	s_mov_b32 m0, ttmp2
.LBB4_10699:                            ; =>This Inner Loop Header: Depth=1
	s_sethalt 5
	s_branch .LBB4_10699
.LBB4_10700:
	s_trap 2
	s_sendmsg_rtn_b32 s0, sendmsg(MSG_RTN_GET_DOORBELL)
	s_mov_b32 ttmp2, m0
	s_waitcnt lgkmcnt(0)
	s_and_b32 s0, s0, 0x3ff
	s_delay_alu instid0(SALU_CYCLE_1) | instskip(NEXT) | instid1(SALU_CYCLE_1)
	s_bitset1_b32 s0, 10
	s_mov_b32 m0, s0
	s_sendmsg sendmsg(MSG_INTERRUPT)
	s_mov_b32 m0, ttmp2
.LBB4_10701:                            ; =>This Inner Loop Header: Depth=1
	s_sethalt 5
	s_branch .LBB4_10701
.LBB4_10702:
	s_trap 2
	s_sendmsg_rtn_b32 s0, sendmsg(MSG_RTN_GET_DOORBELL)
	s_mov_b32 ttmp2, m0
	s_waitcnt lgkmcnt(0)
	s_and_b32 s0, s0, 0x3ff
	s_delay_alu instid0(SALU_CYCLE_1) | instskip(NEXT) | instid1(SALU_CYCLE_1)
	s_bitset1_b32 s0, 10
	s_mov_b32 m0, s0
	s_sendmsg sendmsg(MSG_INTERRUPT)
	s_mov_b32 m0, ttmp2
.LBB4_10703:                            ; =>This Inner Loop Header: Depth=1
	s_sethalt 5
	s_branch .LBB4_10703
.LBB4_10704:
	s_trap 2
	s_sendmsg_rtn_b32 s0, sendmsg(MSG_RTN_GET_DOORBELL)
	s_mov_b32 ttmp2, m0
	s_waitcnt lgkmcnt(0)
	s_and_b32 s0, s0, 0x3ff
	s_delay_alu instid0(SALU_CYCLE_1) | instskip(NEXT) | instid1(SALU_CYCLE_1)
	s_bitset1_b32 s0, 10
	s_mov_b32 m0, s0
	s_sendmsg sendmsg(MSG_INTERRUPT)
	s_mov_b32 m0, ttmp2
.LBB4_10705:                            ; =>This Inner Loop Header: Depth=1
	s_sethalt 5
	s_branch .LBB4_10705
.LBB4_10706:
	s_trap 2
	s_sendmsg_rtn_b32 s0, sendmsg(MSG_RTN_GET_DOORBELL)
	s_mov_b32 ttmp2, m0
	s_waitcnt lgkmcnt(0)
	s_and_b32 s0, s0, 0x3ff
	s_delay_alu instid0(SALU_CYCLE_1) | instskip(NEXT) | instid1(SALU_CYCLE_1)
	s_bitset1_b32 s0, 10
	s_mov_b32 m0, s0
	s_sendmsg sendmsg(MSG_INTERRUPT)
	s_mov_b32 m0, ttmp2
.LBB4_10707:                            ; =>This Inner Loop Header: Depth=1
	s_sethalt 5
	s_branch .LBB4_10707
.Lfunc_end4:
	.size	_ZN12_GLOBAL__N_17runRingI11rccl_float810FuncMinMaxIS1_E11ProtoSimpleILi2ELi2ELi0ELi2ELi0ELi0EELi0ELi0ELi2ELi0EEEviiP15ncclDevWorkColl, .Lfunc_end4-_ZN12_GLOBAL__N_17runRingI11rccl_float810FuncMinMaxIS1_E11ProtoSimpleILi2ELi2ELi0ELi2ELi0ELi0EELi0ELi0ELi2ELi0EEEviiP15ncclDevWorkColl
                                        ; -- End function
	.section	.AMDGPU.csdata,"",@progbits
; Function info:
; codeLenInByte = 374528
; NumSgprs: 52
; NumVgprs: 184
; ScratchSize: 112
; MemoryBound: 1
	.text
	.p2align	2                               ; -- Begin function _Z53ncclDevFunc_AllReduce_RING_SIMPLE_MinMax_f8e4m3_0_0_2v
	.type	_Z53ncclDevFunc_AllReduce_RING_SIMPLE_MinMax_f8e4m3_0_0_2v,@function
_Z53ncclDevFunc_AllReduce_RING_SIMPLE_MinMax_f8e4m3_0_0_2v: ; @_Z53ncclDevFunc_AllReduce_RING_SIMPLE_MinMax_f8e4m3_0_0_2v
; %bb.0:
	s_waitcnt vmcnt(0) expcnt(0) lgkmcnt(0)
	s_mov_b32 s0, s33
	s_mov_b32 s33, s32
	s_or_saveexec_b32 s1, -1
	scratch_store_b32 off, v42, s33 offset:16 ; 4-byte Folded Spill
	s_mov_b32 exec_lo, s1
	v_writelane_b32 v42, s0, 23
	s_add_i32 s32, s32, 32
	s_clause 0x3
	scratch_store_b32 off, v40, s33 offset:12
	; meta instruction
	scratch_store_b32 off, v41, s33 offset:8
	; meta instruction
	scratch_store_b32 off, v47, s33 offset:4
	; meta instruction
	scratch_store_b32 off, v56, s33
	v_writelane_b32 v42, s34, 0
	v_writelane_b32 v42, s35, 1
	;; [unrolled: 1-line block ×23, first 2 shown]
	s_cbranch_execnz .LBB5_7
; %bb.1:
	ds_load_b32 v0, v0
	v_and_b32_e32 v40, 0x3ff, v31
	s_mov_b32 s0, exec_lo
	s_waitcnt lgkmcnt(0)
	s_delay_alu instid0(VALU_DEP_1)
	v_cmpx_lt_i32_e64 v40, v0
	s_cbranch_execz .LBB5_9
; %bb.2:
	s_load_b32 s1, s[8:9], 0x0
	v_mov_b32_e32 v1, 0
	s_waitcnt lgkmcnt(0)
	s_cmp_lt_u32 s12, s1
	s_cselect_b32 s1, 12, 18
	s_delay_alu instid0(SALU_CYCLE_1)
	s_add_u32 s2, s8, s1
	s_addc_u32 s3, s9, 0
	s_mov_b32 s1, 0
	global_load_u16 v1, v1, s[2:3]
	s_cbranch_execnz .LBB5_24
; %bb.3:
	ds_load_b32 v2, v0
	v_mov_b32_e32 v3, v40
	s_mov_b32 s2, 0
                                        ; implicit-def: $vgpr4
	s_waitcnt vmcnt(0) lgkmcnt(0)
	v_mul_lo_u32 v2, v2, v1
	s_branch .LBB5_5
	.p2align	6
.LBB5_4:                                ;   in Loop: Header=BB5_5 Depth=1
	s_or_b32 exec_lo, exec_lo, s3
	v_add_nc_u32_e32 v3, v3, v1
	v_add_nc_u32_e32 v4, v4, v2
	s_delay_alu instid0(VALU_DEP_2) | instskip(SKIP_1) | instid1(SALU_CYCLE_1)
	v_cmp_ge_i32_e32 vcc_lo, v3, v0
	s_or_b32 s1, vcc_lo, s1
	s_and_not1_b32 exec_lo, exec_lo, s1
	s_cbranch_execz .LBB5_9
.LBB5_5:                                ; =>This Inner Loop Header: Depth=1
	ds_load_b32 v5, v4
	s_mov_b32 s3, exec_lo
	s_waitcnt lgkmcnt(0)
	v_and_b32_e32 v5, 0x1000000, v5
	s_delay_alu instid0(VALU_DEP_1)
	v_cmpx_ne_u32_e32 0, v5
	s_cbranch_execz .LBB5_4
; %bb.6:                                ;   in Loop: Header=BB5_5 Depth=1
	ds_load_b64 v[5:6], v4 offset:104
	s_waitcnt lgkmcnt(0)
	flat_load_u8 v5, v[5:6]
	s_waitcnt vmcnt(0) lgkmcnt(0)
	v_dual_mov_b32 v6, s2 :: v_dual_and_b32 v5, 0xffff, v5
	ds_store_b64 v4, v[5:6] offset:104
	s_branch .LBB5_4
.LBB5_7:
	s_trap 2
	s_sendmsg_rtn_b32 s0, sendmsg(MSG_RTN_GET_DOORBELL)
	s_mov_b32 ttmp2, m0
	s_waitcnt lgkmcnt(0)
	s_and_b32 s0, s0, 0x3ff
	s_delay_alu instid0(SALU_CYCLE_1) | instskip(NEXT) | instid1(SALU_CYCLE_1)
	s_bitset1_b32 s0, 10
	s_mov_b32 m0, s0
	s_sendmsg sendmsg(MSG_INTERRUPT)
	s_mov_b32 m0, ttmp2
.LBB5_8:                                ; =>This Inner Loop Header: Depth=1
	s_sethalt 5
	s_branch .LBB5_8
.LBB5_9:
	s_or_b32 exec_lo, exec_lo, s0
	s_waitcnt lgkmcnt(0)
	s_waitcnt_vscnt null, 0x0
	s_barrier
	buffer_gl0_inv
	s_cbranch_execnz .LBB5_22
; %bb.10:
	ds_load_b32 v0, v0
	s_waitcnt lgkmcnt(0)
	v_cmp_gt_i32_e32 vcc_lo, 1, v0
	s_cbranch_vccnz .LBB5_21
; %bb.11:
	s_mov_b32 s54, 0
	s_mov_b64 s[52:53], src_shared_base
.LBB5_12:                               ; =>This Inner Loop Header: Depth=1
	s_cbranch_execnz .LBB5_26
; %bb.13:                               ;   in Loop: Header=BB5_12 Depth=1
	ds_load_b32 v0, v0
	s_cmp_eq_u32 s54, 0
	s_cbranch_scc1 .LBB5_17
; %bb.14:                               ;   in Loop: Header=BB5_12 Depth=1
	s_cbranch_execnz .LBB5_30
; %bb.15:                               ;   in Loop: Header=BB5_12 Depth=1
	s_waitcnt lgkmcnt(0)
	ds_load_b32 v1, v0
	s_waitcnt lgkmcnt(0)
	v_xor_b32_e32 v1, v1, v0
	s_delay_alu instid0(VALU_DEP_1) | instskip(NEXT) | instid1(VALU_DEP_1)
	v_and_b32_e32 v1, 0xff0000, v1
	v_cmp_eq_u32_e32 vcc_lo, 0, v1
	s_cbranch_vccnz .LBB5_17
; %bb.16:                               ;   in Loop: Header=BB5_12 Depth=1
	s_waitcnt_vscnt null, 0x0
	s_barrier
	buffer_gl0_inv
	ds_load_b32 v0, v0
.LBB5_17:                               ;   in Loop: Header=BB5_12 Depth=1
	s_waitcnt lgkmcnt(0)
	v_lshrrev_b32_e32 v0, 11, v0
	s_mov_b32 s52, exec_lo
	s_delay_alu instid0(VALU_DEP_1) | instskip(NEXT) | instid1(VALU_DEP_1)
	v_and_b32_e32 v1, 0x1fe0, v0
	v_cmpx_lt_u32_e64 v40, v1
	s_cbranch_execz .LBB5_19
; %bb.18:                               ;   in Loop: Header=BB5_12 Depth=1
	v_dual_mov_b32 v41, v31 :: v_dual_mov_b32 v0, v40
	v_mov_b32_e32 v3, s53
	s_getpc_b64 s[0:1]
	s_add_u32 s0, s0, _ZN12_GLOBAL__N_17runRingI11rccl_float810FuncMinMaxIS1_E11ProtoSimpleILi2ELi2ELi0ELi2ELi0ELi0EELi0ELi0ELi2ELi0EEEviiP15ncclDevWorkColl@rel32@lo+4
	s_addc_u32 s1, s1, _ZN12_GLOBAL__N_17runRingI11rccl_float810FuncMinMaxIS1_E11ProtoSimpleILi2ELi2ELi0ELi2ELi0ELi0EELi0ELi0ELi2ELi0EEEviiP15ncclDevWorkColl@rel32@hi+12
	s_mov_b64 s[50:51], s[8:9]
	s_mov_b32 s47, s12
	s_swappc_b64 s[30:31], s[0:1]
	v_mov_b32_e32 v31, v41
	s_mov_b32 s12, s47
	s_mov_b64 s[8:9], s[50:51]
.LBB5_19:                               ;   in Loop: Header=BB5_12 Depth=1
	s_or_b32 exec_lo, exec_lo, s52
	s_cbranch_execnz .LBB5_28
; %bb.20:                               ;   in Loop: Header=BB5_12 Depth=1
	ds_load_b32 v0, v0
	s_add_i32 s54, s54, 1
	s_waitcnt lgkmcnt(0)
	v_cmp_lt_i32_e32 vcc_lo, s54, v0
	s_cbranch_vccnz .LBB5_12
.LBB5_21:
	s_clause 0x3
	scratch_load_b32 v56, off, s33
	scratch_load_b32 v47, off, s33 offset:4
	scratch_load_b32 v41, off, s33 offset:8
	;; [unrolled: 1-line block ×3, first 2 shown]
	v_readlane_b32 s30, v42, 21
	v_readlane_b32 s31, v42, 22
	;; [unrolled: 1-line block ×24, first 2 shown]
	s_or_saveexec_b32 s1, -1
	scratch_load_b32 v42, off, s33 offset:16 ; 4-byte Folded Reload
	s_mov_b32 exec_lo, s1
	s_addk_i32 s32, 0xffe0
	s_mov_b32 s33, s0
	s_waitcnt vmcnt(0)
	s_setpc_b64 s[30:31]
.LBB5_22:
	s_trap 2
	s_sendmsg_rtn_b32 s0, sendmsg(MSG_RTN_GET_DOORBELL)
	s_mov_b32 ttmp2, m0
	s_waitcnt lgkmcnt(0)
	s_and_b32 s0, s0, 0x3ff
	s_delay_alu instid0(SALU_CYCLE_1) | instskip(NEXT) | instid1(SALU_CYCLE_1)
	s_bitset1_b32 s0, 10
	s_mov_b32 m0, s0
	s_sendmsg sendmsg(MSG_INTERRUPT)
	s_mov_b32 m0, ttmp2
.LBB5_23:                               ; =>This Inner Loop Header: Depth=1
	s_sethalt 5
	s_branch .LBB5_23
.LBB5_24:
	s_trap 2
	s_sendmsg_rtn_b32 s0, sendmsg(MSG_RTN_GET_DOORBELL)
	s_mov_b32 ttmp2, m0
	s_waitcnt lgkmcnt(0)
	s_and_b32 s0, s0, 0x3ff
	s_delay_alu instid0(SALU_CYCLE_1) | instskip(NEXT) | instid1(SALU_CYCLE_1)
	s_bitset1_b32 s0, 10
	s_mov_b32 m0, s0
	s_sendmsg sendmsg(MSG_INTERRUPT)
	s_mov_b32 m0, ttmp2
.LBB5_25:                               ; =>This Inner Loop Header: Depth=1
	s_sethalt 5
	s_branch .LBB5_25
.LBB5_26:
	s_trap 2
	s_sendmsg_rtn_b32 s0, sendmsg(MSG_RTN_GET_DOORBELL)
	s_mov_b32 ttmp2, m0
	s_waitcnt lgkmcnt(0)
	s_and_b32 s0, s0, 0x3ff
	s_delay_alu instid0(SALU_CYCLE_1) | instskip(NEXT) | instid1(SALU_CYCLE_1)
	s_bitset1_b32 s0, 10
	s_mov_b32 m0, s0
	s_sendmsg sendmsg(MSG_INTERRUPT)
	s_mov_b32 m0, ttmp2
.LBB5_27:                               ; =>This Inner Loop Header: Depth=1
	s_sethalt 5
	s_branch .LBB5_27
.LBB5_28:
	s_trap 2
	s_sendmsg_rtn_b32 s0, sendmsg(MSG_RTN_GET_DOORBELL)
	s_mov_b32 ttmp2, m0
	s_waitcnt lgkmcnt(0)
	s_and_b32 s0, s0, 0x3ff
	s_delay_alu instid0(SALU_CYCLE_1) | instskip(NEXT) | instid1(SALU_CYCLE_1)
	s_bitset1_b32 s0, 10
	s_mov_b32 m0, s0
	s_sendmsg sendmsg(MSG_INTERRUPT)
	s_mov_b32 m0, ttmp2
.LBB5_29:                               ; =>This Inner Loop Header: Depth=1
	s_sethalt 5
	s_branch .LBB5_29
.LBB5_30:
	s_trap 2
	s_sendmsg_rtn_b32 s0, sendmsg(MSG_RTN_GET_DOORBELL)
	s_mov_b32 ttmp2, m0
	s_waitcnt lgkmcnt(0)
	s_and_b32 s0, s0, 0x3ff
	s_delay_alu instid0(SALU_CYCLE_1) | instskip(NEXT) | instid1(SALU_CYCLE_1)
	s_bitset1_b32 s0, 10
	s_mov_b32 m0, s0
	s_sendmsg sendmsg(MSG_INTERRUPT)
	s_mov_b32 m0, ttmp2
.LBB5_31:                               ; =>This Inner Loop Header: Depth=1
	s_sethalt 5
	s_branch .LBB5_31
.Lfunc_end5:
	.size	_Z53ncclDevFunc_AllReduce_RING_SIMPLE_MinMax_f8e4m3_0_0_2v, .Lfunc_end5-_Z53ncclDevFunc_AllReduce_RING_SIMPLE_MinMax_f8e4m3_0_0_2v
                                        ; -- End function
	.section	.AMDGPU.csdata,"",@progbits
; Function info:
; codeLenInByte = 1344
; NumSgprs: 57
; NumVgprs: 184
; ScratchSize: 144
; MemoryBound: 0
	.text
	.p2align	2                               ; -- Begin function _ZN12_GLOBAL__N_17runRingI11rccl_float810FuncMinMaxIS1_E11ProtoSimpleILi2ELi2ELi0ELi4ELi0ELi0EELi0ELi0ELi4ELi0EEEviiP15ncclDevWorkColl
	.type	_ZN12_GLOBAL__N_17runRingI11rccl_float810FuncMinMaxIS1_E11ProtoSimpleILi2ELi2ELi0ELi4ELi0ELi0EELi0ELi0ELi4ELi0EEEviiP15ncclDevWorkColl,@function
_ZN12_GLOBAL__N_17runRingI11rccl_float810FuncMinMaxIS1_E11ProtoSimpleILi2ELi2ELi0ELi4ELi0ELi0EELi0ELi0ELi4ELi0EEEviiP15ncclDevWorkColl: ; @_ZN12_GLOBAL__N_17runRingI11rccl_float810FuncMinMaxIS1_E11ProtoSimpleILi2ELi2ELi0ELi4ELi0ELi0EELi0ELi0ELi4ELi0EEEviiP15ncclDevWorkColl
; %bb.0:
	s_waitcnt vmcnt(0) expcnt(0) lgkmcnt(0)
	s_mov_b32 s0, s33
	s_mov_b32 s33, s32
	s_or_saveexec_b32 s1, -1
	s_clause 0x1
	scratch_store_b32 off, v121, s33 offset:164
	; meta instruction
	scratch_store_b32 off, v122, s33 offset:168
	s_mov_b32 exec_lo, s1
	v_writelane_b32 v121, s0, 15
	s_addk_i32 s32, 0xb0
	s_clause 0x1f
	scratch_store_b32 off, v40, s33 offset:160
	; meta instruction
	scratch_store_b32 off, v41, s33 offset:156
	; meta instruction
	;; [unrolled: 2-line block ×31, first 2 shown]
	scratch_store_b32 off, v95, s33 offset:36
	s_clause 0x8
	scratch_store_b32 off, v104, s33 offset:32
	; meta instruction
	scratch_store_b32 off, v105, s33 offset:28
	; meta instruction
	;; [unrolled: 2-line block ×8, first 2 shown]
	scratch_store_b32 off, v120, s33
	v_writelane_b32 v121, s34, 0
	v_writelane_b32 v121, s35, 1
	;; [unrolled: 1-line block ×15, first 2 shown]
	s_cbranch_execz .LBB6_1
; %bb.17188:
	s_getpc_b64 s[48:49]
.Lpost_getpc265:
	s_add_u32 s48, s48, (.LBB6_16648-.Lpost_getpc265)&4294967295
	s_addc_u32 s49, s49, (.LBB6_16648-.Lpost_getpc265)>>32
	s_setpc_b64 s[48:49]
.LBB6_1:
	flat_load_b32 v7, v[2:3]
	ds_load_b32 v6, v0
	s_mov_b32 s0, exec_lo
                                        ; implicit-def: $vgpr14_vgpr15
                                        ; implicit-def: $vgpr28_vgpr29
                                        ; implicit-def: $vgpr4_vgpr5
	s_waitcnt lgkmcnt(0)
	v_readfirstlane_b32 s19, v6
	s_waitcnt vmcnt(0)
	v_and_b32_e32 v8, 0xff, v7
	s_delay_alu instid0(VALU_DEP_1)
	v_cmpx_ne_u32_e64 v8, v6
	s_xor_b32 s0, exec_lo, s0
	s_cbranch_execz .LBB6_2
; %bb.17190:
	s_getpc_b64 s[48:49]
.Lpost_getpc266:
	s_add_u32 s48, s48, (.LBB6_16650-.Lpost_getpc266)&4294967295
	s_addc_u32 s49, s49, (.LBB6_16650-.Lpost_getpc266)>>32
	s_setpc_b64 s[48:49]
.LBB6_2:
	s_and_not1_saveexec_b32 s0, s0
	s_cbranch_execz .LBB6_3
; %bb.17192:
	s_getpc_b64 s[48:49]
.Lpost_getpc267:
	s_add_u32 s48, s48, (.LBB6_16655-.Lpost_getpc267)&4294967295
	s_addc_u32 s49, s49, (.LBB6_16655-.Lpost_getpc267)>>32
	s_setpc_b64 s[48:49]
.LBB6_3:
	s_or_b32 exec_lo, exec_lo, s0
	s_cbranch_execz .LBB6_4
; %bb.17194:
	s_getpc_b64 s[48:49]
.Lpost_getpc268:
	s_add_u32 s48, s48, (.LBB6_16656-.Lpost_getpc268)&4294967295
	s_addc_u32 s49, s49, (.LBB6_16656-.Lpost_getpc268)>>32
	s_setpc_b64 s[48:49]
.LBB6_4:
	ds_load_b64 v[6:7], v0
	s_mov_b32 s1, exec_lo
	s_waitcnt lgkmcnt(0)
	v_cmp_ne_u32_e32 vcc_lo, -1, v6
	v_cndmask_b32_e64 v17, 0, 1, vcc_lo
	v_cmp_ne_u32_e32 vcc_lo, -1, v7
	s_delay_alu instid0(VALU_DEP_2) | instskip(NEXT) | instid1(VALU_DEP_1)
	v_add_co_ci_u32_e64 v8, s0, 0, v17, vcc_lo
	v_lshlrev_b32_e32 v6, 1, v8
	s_delay_alu instid0(VALU_DEP_1)
	v_cmpx_le_i32_e64 v6, v1
	s_xor_b32 s18, exec_lo, s1
	s_cbranch_execnz .LBB6_5
; %bb.17196:
	s_getpc_b64 s[48:49]
.Lpost_getpc269:
	s_add_u32 s48, s48, (.LBB6_16901-.Lpost_getpc269)&4294967295
	s_addc_u32 s49, s49, (.LBB6_16901-.Lpost_getpc269)>>32
	s_setpc_b64 s[48:49]
.LBB6_5:
	s_clause 0x3
	flat_load_b64 v[15:16], v[2:3] offset:104
	flat_load_b128 v[10:13], v[2:3] offset:16
	flat_load_u16 v7, v[2:3] offset:8
	flat_load_b32 v6, v[2:3] offset:4
	s_cbranch_execz .LBB6_6
; %bb.17198:
	s_getpc_b64 s[48:49]
.Lpost_getpc270:
	s_add_u32 s48, s48, (.LBB6_16658-.Lpost_getpc270)&4294967295
	s_addc_u32 s49, s49, (.LBB6_16658-.Lpost_getpc270)>>32
	s_setpc_b64 s[48:49]
.LBB6_6:
	s_load_b32 s0, s[8:9], 0x0
	v_dual_mov_b32 v9, 0 :: v_dual_mov_b32 v30, 4
	s_waitcnt lgkmcnt(0)
	s_cmp_lt_u32 s12, s0
	s_cselect_b32 s0, 12, 18
	s_delay_alu instid0(SALU_CYCLE_1)
	s_add_u32 s0, s8, s0
	s_addc_u32 s1, s9, 0
	global_load_u16 v18, v9, s[0:1]
	ds_load_b32 v9, v0
	s_mov_b32 s1, exec_lo
	s_waitcnt lgkmcnt(0)
	v_readfirstlane_b32 s5, v9
	v_cmpx_ge_i32_e64 v0, v17
	s_cbranch_execz .LBB6_16
; %bb.7:
	v_cmp_le_u32_e64 s0, v8, v0
                                        ; implicit-def: $vgpr30
	s_delay_alu instid0(VALU_DEP_1) | instskip(NEXT) | instid1(SALU_CYCLE_1)
	s_and_saveexec_b32 s2, s0
	s_xor_b32 s0, exec_lo, s2
	s_cbranch_execz .LBB6_13
; %bb.8:
	v_cndmask_b32_e64 v9, 0, 1, vcc_lo
	s_mov_b32 s2, exec_lo
                                        ; implicit-def: $sgpr3
	s_delay_alu instid0(VALU_DEP_1) | instskip(NEXT) | instid1(VALU_DEP_1)
	v_sub_nc_u32_e32 v9, v1, v9
	v_cmpx_ge_u32_e64 v0, v9
	s_xor_b32 s2, exec_lo, s2
; %bb.9:
	s_mov_b32 s3, 16
                                        ; implicit-def: $vgpr8
; %bb.10:
	s_or_saveexec_b32 s2, s2
	v_mov_b32_e32 v30, s3
	s_xor_b32 exec_lo, exec_lo, s2
; %bb.11:
	v_sub_nc_u32_e32 v8, v1, v8
	s_delay_alu instid0(VALU_DEP_1) | instskip(SKIP_1) | instid1(VALU_DEP_1)
	v_cmp_ge_i32_e32 vcc_lo, v0, v8
	v_cndmask_b32_e64 v8, 0, 1, vcc_lo
	v_lshlrev_b32_e32 v30, 5, v8
; %bb.12:
	s_or_b32 exec_lo, exec_lo, s2
.LBB6_13:
	s_and_not1_saveexec_b32 s0, s0
; %bb.14:
	v_mov_b32_e32 v30, 8
; %bb.15:
	s_or_b32 exec_lo, exec_lo, s0
.LBB6_16:
	s_delay_alu instid0(SALU_CYCLE_1) | instskip(NEXT) | instid1(VALU_DEP_1)
	s_or_b32 exec_lo, exec_lo, s1
	v_and_b32_e32 v8, 36, v30
	s_delay_alu instid0(VALU_DEP_1)
	v_cmp_ne_u32_e32 vcc_lo, 0, v8
	v_mov_b32_e32 v8, -1
	s_and_saveexec_b32 s0, vcc_lo
	s_cbranch_execz .LBB6_19
; %bb.17:
	s_cbranch_execz .LBB6_18
; %bb.17200:
	s_getpc_b64 s[48:49]
.Lpost_getpc271:
	s_add_u32 s48, s48, (.LBB6_16660-.Lpost_getpc271)&4294967295
	s_addc_u32 s49, s49, (.LBB6_16660-.Lpost_getpc271)>>32
	s_setpc_b64 s[48:49]
.LBB6_18:
	ds_load_b32 v8, v0
.LBB6_19:
	s_or_b32 exec_lo, exec_lo, s0
	v_and_b32_e32 v9, 24, v30
	s_mov_b32 s1, exec_lo
	s_delay_alu instid0(VALU_DEP_1)
	v_cmpx_ne_u32_e32 0, v9
	s_cbranch_execz .LBB6_22
; %bb.20:
	s_cbranch_execz .LBB6_21
; %bb.17202:
	s_getpc_b64 s[48:49]
.Lpost_getpc272:
	s_add_u32 s48, s48, (.LBB6_16662-.Lpost_getpc272)&4294967295
	s_addc_u32 s49, s49, (.LBB6_16662-.Lpost_getpc272)>>32
	s_setpc_b64 s[48:49]
.LBB6_21:
	s_waitcnt lgkmcnt(0)
	ds_load_b32 v8, v0
.LBB6_22:
	s_or_b32 exec_lo, exec_lo, s1
	s_waitcnt vmcnt(1)
	v_lshrrev_b64 v[6:7], 31, v[6:7]
	v_mov_b32_e32 v54, 0
	v_mov_b32_e32 v55, 0
                                        ; implicit-def: $vgpr52_vgpr53
                                        ; implicit-def: $vgpr118
                                        ; implicit-def: $vgpr66_vgpr67
                                        ; implicit-def: $vgpr68_vgpr69
                                        ; implicit-def: $vgpr82_vgpr83
                                        ; implicit-def: $vgpr64_vgpr65
	s_delay_alu instid0(VALU_DEP_2) | instskip(NEXT) | instid1(VALU_DEP_2)
	v_dual_mov_b32 v6, v54 :: v_dual_and_b32 v19, 3, v6
	v_mov_b32_e32 v7, v55
	s_and_saveexec_b32 s0, vcc_lo
	s_cbranch_execz .LBB6_35
; %bb.23:
	s_cbranch_execz .LBB6_24
; %bb.17204:
	s_getpc_b64 s[48:49]
.Lpost_getpc273:
	s_add_u32 s48, s48, (.LBB6_16664-.Lpost_getpc273)&4294967295
	s_addc_u32 s49, s49, (.LBB6_16664-.Lpost_getpc273)>>32
	s_setpc_b64 s[48:49]
.LBB6_24:
	ds_load_b64 v[6:7], v0
	s_waitcnt lgkmcnt(1)
	v_ashrrev_i32_e32 v9, 31, v8
	s_mov_b32 s1, exec_lo
                                        ; implicit-def: $vgpr52_vgpr53
	s_delay_alu instid0(VALU_DEP_1) | instskip(SKIP_2) | instid1(VALU_DEP_2)
	v_lshlrev_b64 v[20:21], 3, v[8:9]
	v_and_b32_e32 v9, 0xffff, v19
	s_waitcnt lgkmcnt(0)
	v_add_co_u32 v6, vcc_lo, v6, v20
	s_delay_alu instid0(VALU_DEP_3)
	v_add_co_ci_u32_e32 v7, vcc_lo, v7, v21, vcc_lo
	flat_load_b64 v[6:7], v[6:7]
	s_waitcnt vmcnt(0) lgkmcnt(0)
	v_mad_u64_u32 v[20:21], null, 0xa8, v9, v[6:7]
	flat_load_b32 v6, v[20:21] offset:640
	v_add_co_u32 v54, vcc_lo, 0x1f8, v20
	v_add_co_ci_u32_e32 v55, vcc_lo, 0, v21, vcc_lo
	s_waitcnt vmcnt(0) lgkmcnt(0)
	v_cmpx_eq_u32_e32 1, v6
	s_cbranch_execz .LBB6_27
; %bb.25:
	flat_load_b64 v[52:53], v[54:55] offset:144
	s_waitcnt vmcnt(0) lgkmcnt(0)
	flat_load_b64 v[6:7], v[52:53]
	s_cbranch_execz .LBB6_26
; %bb.17206:
	s_getpc_b64 s[48:49]
.Lpost_getpc274:
	s_add_u32 s48, s48, (.LBB6_16672-.Lpost_getpc274)&4294967295
	s_addc_u32 s49, s49, (.LBB6_16672-.Lpost_getpc274)>>32
	s_setpc_b64 s[48:49]
.LBB6_26:
	s_waitcnt vmcnt(0) lgkmcnt(0)
	ds_store_b64 v0, v[6:7]
	flat_load_b64 v[6:7], v[52:53] offset:8
	v_or_b32_e32 v30, 0x2000, v30
	s_waitcnt vmcnt(0) lgkmcnt(0)
	ds_store_b64 v0, v[6:7]
	flat_load_b64 v[6:7], v[52:53] offset:16
	s_waitcnt vmcnt(0) lgkmcnt(0)
	ds_store_b64 v0, v[6:7]
.LBB6_27:
	s_or_b32 exec_lo, exec_lo, s1
	flat_load_b64 v[6:7], v[54:55] offset:104
	v_and_b32_e32 v9, 32, v30
	s_mov_b32 s1, exec_lo
                                        ; implicit-def: $vgpr64_vgpr65
	s_waitcnt vmcnt(0) lgkmcnt(0)
	v_add_co_u32 v6, vcc_lo, v6, 3
	v_add_co_ci_u32_e32 v67, vcc_lo, 0, v7, vcc_lo
	s_delay_alu instid0(VALU_DEP_2)
	v_and_b32_e32 v66, -4, v6
	v_cmpx_ne_u32_e32 0, v9
	s_cbranch_execz .LBB6_29
; %bb.28:
	flat_load_b64 v[64:65], v[54:55] offset:56
	s_waitcnt vmcnt(0) lgkmcnt(0)
	s_waitcnt_vscnt null, 0x0
	flat_store_b64 v[64:65], v[66:67]
.LBB6_29:
	s_or_b32 exec_lo, exec_lo, s1
	v_dual_mov_b32 v6, 0 :: v_dual_and_b32 v9, 4, v30
	v_mov_b32_e32 v7, 0
	s_mov_b32 s1, exec_lo
                                        ; implicit-def: $vgpr118
                                        ; implicit-def: $vgpr68_vgpr69
                                        ; implicit-def: $vgpr82_vgpr83
	s_delay_alu instid0(VALU_DEP_2)
	v_cmpx_ne_u32_e32 0, v9
	s_cbranch_execz .LBB6_34
; %bb.30:
	v_and_b32_e32 v6, 0x800, v30
	s_mov_b32 s2, exec_lo
	s_delay_alu instid0(VALU_DEP_1)
	v_cmpx_eq_u32_e32 0, v6
	s_cbranch_execz .LBB6_33
; %bb.31:
	s_cbranch_execz .LBB6_32
; %bb.17208:
	s_getpc_b64 s[48:49]
.Lpost_getpc275:
	s_add_u32 s48, s48, (.LBB6_16674-.Lpost_getpc275)&4294967295
	s_addc_u32 s49, s49, (.LBB6_16674-.Lpost_getpc275)>>32
	s_setpc_b64 s[48:49]
.LBB6_32:
	ds_store_b64 v0, v[54:55]
.LBB6_33:
	s_or_b32 exec_lo, exec_lo, s2
	flat_load_b64 v[64:65], v[54:55] offset:48
	v_or_b32_e32 v9, 0x100, v30
	s_waitcnt vmcnt(0) lgkmcnt(0)
	flat_load_b64 v[82:83], v[64:65] glc
	s_clause 0x2
	flat_load_b64 v[6:7], v[54:55] offset:96
	flat_load_b32 v118, v[54:55] offset:72
	flat_load_b64 v[68:69], v[54:55] offset:16
	s_waitcnt vmcnt(2) lgkmcnt(2)
	v_cmp_eq_u64_e32 vcc_lo, 0, v[6:7]
	v_cndmask_b32_e32 v30, v9, v30, vcc_lo
.LBB6_34:
	s_or_b32 exec_lo, exec_lo, s1
.LBB6_35:
	s_delay_alu instid0(SALU_CYCLE_1) | instskip(NEXT) | instid1(VALU_DEP_1)
	s_or_b32 exec_lo, exec_lo, s0
	v_and_b32_e32 v9, 24, v30
	s_mov_b32 s0, exec_lo
                                        ; implicit-def: $vgpr70_vgpr71
	s_delay_alu instid0(VALU_DEP_1)
	v_cmpx_ne_u32_e32 0, v9
	s_cbranch_execz .LBB6_45
; %bb.36:
	s_cbranch_execz .LBB6_37
; %bb.17210:
	s_getpc_b64 s[48:49]
.Lpost_getpc276:
	s_add_u32 s48, s48, (.LBB6_16666-.Lpost_getpc276)&4294967295
	s_addc_u32 s49, s49, (.LBB6_16666-.Lpost_getpc276)>>32
	s_setpc_b64 s[48:49]
.LBB6_37:
	ds_load_b64 v[6:7], v0
	s_waitcnt lgkmcnt(1)
	v_ashrrev_i32_e32 v9, 31, v8
	s_mov_b32 s1, exec_lo
                                        ; implicit-def: $vgpr70_vgpr71
	s_delay_alu instid0(VALU_DEP_1) | instskip(SKIP_1) | instid1(VALU_DEP_1)
	v_lshlrev_b64 v[8:9], 3, v[8:9]
	s_waitcnt lgkmcnt(0)
	v_add_co_u32 v6, vcc_lo, v6, v8
	s_delay_alu instid0(VALU_DEP_2)
	v_add_co_ci_u32_e32 v7, vcc_lo, v7, v9, vcc_lo
	v_and_b32_e32 v8, 0xffff, v19
	v_or_b32_e32 v19, 0x100, v30
	flat_load_b64 v[6:7], v[6:7]
	s_waitcnt vmcnt(0) lgkmcnt(0)
	v_mad_u64_u32 v[54:55], null, 0xa8, v8, v[6:7]
	flat_load_b128 v[6:9], v[54:55] offset:96
	s_waitcnt vmcnt(0) lgkmcnt(0)
	v_cmp_eq_u64_e32 vcc_lo, 0, v[6:7]
	v_cndmask_b32_e32 v30, v19, v30, vcc_lo
	s_delay_alu instid0(VALU_DEP_1) | instskip(NEXT) | instid1(VALU_DEP_1)
	v_and_b32_e32 v19, 16, v30
	v_cmpx_ne_u32_e32 0, v19
; %bb.38:
	s_clause 0x2
	flat_load_b64 v[70:71], v[54:55] offset:120
	flat_load_b64 v[64:65], v[54:55] offset:48
	;; [unrolled: 1-line block ×3, first 2 shown]
; %bb.39:
	s_or_b32 exec_lo, exec_lo, s1
	v_and_b32_e32 v19, 8, v30
	s_mov_b32 s1, exec_lo
	s_delay_alu instid0(VALU_DEP_1)
	v_cmpx_ne_u32_e32 0, v19
	s_cbranch_execz .LBB6_44
; %bb.40:
	v_and_b32_e32 v19, 0x800, v30
	s_mov_b32 s2, exec_lo
	s_delay_alu instid0(VALU_DEP_1)
	v_cmpx_eq_u32_e32 0, v19
	s_cbranch_execz .LBB6_43
; %bb.41:
	s_cbranch_execz .LBB6_42
; %bb.17212:
	s_getpc_b64 s[48:49]
.Lpost_getpc277:
	s_add_u32 s48, s48, (.LBB6_16676-.Lpost_getpc277)&4294967295
	s_addc_u32 s49, s49, (.LBB6_16676-.Lpost_getpc277)>>32
	s_setpc_b64 s[48:49]
.LBB6_42:
	ds_store_b64 v0, v[54:55]
.LBB6_43:
	s_or_b32 exec_lo, exec_lo, s2
	s_waitcnt vmcnt(1) lgkmcnt(1)
	flat_load_b64 v[64:65], v[54:55] offset:56
	s_waitcnt vmcnt(0) lgkmcnt(0)
	flat_load_b64 v[82:83], v[64:65] glc
	s_clause 0x1
	flat_load_b32 v118, v[54:55] offset:72
	flat_load_b64 v[68:69], v[54:55] offset:16
.LBB6_44:
	s_or_b32 exec_lo, exec_lo, s1
	v_add_co_u32 v8, vcc_lo, v8, 3
	v_add_co_ci_u32_e32 v67, vcc_lo, 0, v9, vcc_lo
	s_delay_alu instid0(VALU_DEP_2)
	v_and_b32_e32 v66, -4, v8
.LBB6_45:
	s_or_b32 exec_lo, exec_lo, s0
	v_cmp_eq_u32_e64 s0, 0, v0
	s_delay_alu instid0(VALU_DEP_1)
	s_and_saveexec_b32 s1, s0
	s_cbranch_execz .LBB6_48
; %bb.46:
	s_waitcnt lgkmcnt(0)
	flat_load_b64 v[8:9], v[2:3] offset:32
	ds_store_2addr_b64 v0, v[12:13], v[10:11] offset1:1
	s_cbranch_execz .LBB6_47
; %bb.17214:
	s_getpc_b64 s[48:49]
.Lpost_getpc278:
	s_add_u32 s48, s48, (.LBB6_16668-.Lpost_getpc278)&4294967295
	s_addc_u32 s49, s49, (.LBB6_16668-.Lpost_getpc278)>>32
	s_setpc_b64 s[48:49]
.LBB6_47:
	s_waitcnt vmcnt(0) lgkmcnt(1)
	ds_store_b64 v0, v[8:9]
	ds_store_b64 v0, v[15:16]
.LBB6_48:
	s_or_b32 exec_lo, exec_lo, s1
	s_waitcnt vmcnt(0)
	v_dual_mov_b32 v80, 0 :: v_dual_and_b32 v119, 0xffff, v18
	v_mov_b32_e32 v81, 0
	s_mov_b32 s20, exec_lo
	v_cmpx_lt_i64_e32 0, v[4:5]
	s_cbranch_execnz .LBB6_49
; %bb.17216:
	s_getpc_b64 s[48:49]
.Lpost_getpc279:
	s_add_u32 s48, s48, (.LBB6_16642-.Lpost_getpc279)&4294967295
	s_addc_u32 s49, s49, (.LBB6_16642-.Lpost_getpc279)>>32
	s_setpc_b64 s[48:49]
.LBB6_49:
	s_waitcnt lgkmcnt(0)
	flat_load_b32 v8, v[2:3] offset:4
	v_dual_mov_b32 v3, 0 :: v_dual_and_b32 v2, 31, v31
	s_ashr_i32 s21, s19, 31
	s_add_u32 s22, s19, -1
	s_addc_u32 s23, s21, -1
	s_not_b32 s2, s19
	v_cmp_ge_i32_e32 vcc_lo, v0, v1
	v_cmp_eq_u32_e64 s1, 0, v2
	s_cmp_gt_i32 s19, 0
	s_mov_b32 s24, 0
	s_cselect_b32 s26, s2, -1
	s_cbranch_execz .LBB6_50
; %bb.17218:
	s_getpc_b64 s[48:49]
.Lpost_getpc280:
	s_add_u32 s48, s48, (.LBB6_16670-.Lpost_getpc280)&4294967295
	s_addc_u32 s49, s49, (.LBB6_16670-.Lpost_getpc280)>>32
	s_setpc_b64 s[48:49]
.LBB6_50:
	v_ashrrev_i32_e32 v9, 31, v0
	v_lshrrev_b32_e32 v129, 5, v1
	v_and_b32_e32 v2, 0x3ffffe00, v14
	v_dual_mov_b32 v176, 1 :: v_dual_and_b32 v147, 0xffffffe0, v1
	s_delay_alu instid0(VALU_DEP_4) | instskip(NEXT) | instid1(VALU_DEP_4)
	v_lshrrev_b32_e32 v9, 27, v9
	v_lshlrev_b32_e32 v132, 9, v129
	s_waitcnt vmcnt(0) lgkmcnt(0)
	v_and_b32_e32 v8, 1, v8
	v_subrev_nc_u32_e32 v150, 32, v147
	s_ashr_i32 s6, s5, 31
	v_dual_mov_b32 v86, 0 :: v_dual_add_nc_u32 v9, v0, v9
	v_dual_mov_b32 v87, 0 :: v_dual_add_nc_u32 v134, 0xfffffe00, v132
	s_delay_alu instid0(VALU_DEP_2) | instskip(NEXT) | instid1(VALU_DEP_3)
	v_mov_b32_e32 v80, v86
	v_dual_mov_b32 v97, v3 :: v_dual_and_b32 v10, 0xffffffe0, v9
	v_ashrrev_i32_e32 v130, 5, v9
	v_lshl_add_u32 v9, v129, 12, 0xfffff000
	v_ashrrev_i32_e32 v146, 31, v134
	s_delay_alu instid0(VALU_DEP_4) | instskip(NEXT) | instid1(VALU_DEP_4)
	v_sub_nc_u32_e32 v131, v0, v10
	v_dual_mov_b32 v81, v87 :: v_dual_lshlrev_b32 v10, 12, v130
	s_delay_alu instid0(VALU_DEP_4) | instskip(SKIP_2) | instid1(VALU_DEP_3)
	v_add_co_u32 v144, s7, 0x1000, v9
	v_ashrrev_i32_e32 v161, 31, v150
	s_add_i32 s25, s19, s19
	v_lshl_add_u32 v133, v131, 4, v10
	v_ashrrev_i32_e32 v10, 31, v9
	v_lshl_add_u32 v9, v129, 10, 0xfffffc00
	s_lshr_b32 s6, s6, 25
	s_add_i32 s26, s26, s25
	s_add_i32 s5, s5, s6
	v_add_co_ci_u32_e64 v145, s7, 0, v10, s7
	v_add_co_u32 v148, s7, 0x200, v134
	v_ashrrev_i32_e32 v10, 31, v9
	v_add_co_ci_u32_e64 v149, s7, 0, v146, s7
	v_add_co_u32 v151, s7, 0x400, v9
	s_delay_alu instid0(VALU_DEP_1) | instskip(SKIP_1) | instid1(VALU_DEP_1)
	v_add_co_ci_u32_e64 v160, s7, 0, v10, s7
	v_add_co_u32 v162, s7, v150, 32
	v_add_co_ci_u32_e64 v163, s7, 0, v161, s7
	v_cmp_eq_u32_e64 s7, 1, v8
	v_lshlrev_b32_e32 v8, 11, v130
	s_ashr_i32 s27, s26, 31
	s_ashr_i32 s28, s5, 7
	s_cmp_gt_i32 s19, 2
	v_mad_i64_i32 v[84:85], null, v2, s19, 0
	v_sub_nc_u32_e32 v164, v133, v8
	v_lshl_add_u32 v8, v129, 11, 0xfffff800
	s_cselect_b32 s29, -1, 0
	s_add_i32 s13, s19, 1
	s_xor_b32 vcc_hi, s7, -1
	s_cmp_le_i32 s19, s13
	v_ashrrev_i32_e32 v9, 31, v8
	s_cselect_b32 s14, s19, 0
	v_cmp_eq_u64_e64 s10, 0, v[70:71]
	s_sub_i32 s36, s13, s14
	v_add_co_u32 v166, s13, 0x800, v8
	v_cmp_ne_u64_e64 s11, 0, v[70:71]
	v_ashrrev_i32_e32 v128, 31, v118
	v_cmp_eq_u32_e64 s2, 32, v1
	v_cmp_ne_u32_e64 s3, 32, v1
	v_cmp_ne_u32_e64 s4, v119, v1
	v_cmp_gt_i32_e64 s5, 1, v131
	v_cmp_lt_i32_e64 s6, v131, v17
	v_ashrrev_i32_e32 v135, 31, v133
	v_cmp_le_i32_e64 s12, v131, v17
	v_ashrrev_i32_e32 v165, 31, v164
	v_add_co_ci_u32_e64 v167, s13, 0, v9, s13
	v_mov_b32_e32 v96, v2
	s_ashr_i32 s34, s36, 31
	s_add_i32 s31, s19, -2
	s_xor_b32 s14, vcc_lo, -1
	s_sub_i32 s35, 0, s19
.LBB6_51:                               ; =>This Loop Header: Depth=1
                                        ;     Child Loop BB6_59 Depth 2
                                        ;       Child Loop BB6_68 Depth 3
                                        ;       Child Loop BB6_95 Depth 3
	;; [unrolled: 1-line block ×9, first 2 shown]
                                        ;     Child Loop BB6_222 Depth 2
                                        ;       Child Loop BB6_228 Depth 3
                                        ;       Child Loop BB6_255 Depth 3
	;; [unrolled: 1-line block ×3, first 2 shown]
                                        ;     Child Loop BB6_303 Depth 2
                                        ;       Child Loop BB6_305 Depth 3
                                        ;         Child Loop BB6_314 Depth 4
                                        ;         Child Loop BB6_344 Depth 4
	;; [unrolled: 1-line block ×9, first 2 shown]
                                        ;       Child Loop BB6_5557 Depth 3
                                        ;         Child Loop BB6_5563 Depth 4
                                        ;         Child Loop BB6_5595 Depth 4
	;; [unrolled: 1-line block ×3, first 2 shown]
                                        ;     Child Loop BB6_5644 Depth 2
                                        ;       Child Loop BB6_5653 Depth 3
                                        ;       Child Loop BB6_5683 Depth 3
	;; [unrolled: 1-line block ×5, first 2 shown]
                                        ;         Child Loop BB6_9083 Depth 4
                                        ;       Child Loop BB6_9353 Depth 3
                                        ;       Child Loop BB6_10796 Depth 3
                                        ;         Child Loop BB6_10826 Depth 4
                                        ;       Child Loop BB6_10858 Depth 3
                                        ;       Child Loop BB6_13744 Depth 3
	;; [unrolled: 1-line block ×6, first 2 shown]
                                        ;     Child Loop BB6_16021 Depth 2
                                        ;       Child Loop BB6_16027 Depth 3
                                        ;       Child Loop BB6_16057 Depth 3
	;; [unrolled: 1-line block ×3, first 2 shown]
                                        ;     Child Loop BB6_16105 Depth 2
                                        ;       Child Loop BB6_16107 Depth 3
                                        ;         Child Loop BB6_16116 Depth 4
                                        ;         Child Loop BB6_16146 Depth 4
	;; [unrolled: 1-line block ×5, first 2 shown]
                                        ;           Child Loop BB6_16201 Depth 5
                                        ;         Child Loop BB6_16212 Depth 4
                                        ;         Child Loop BB6_16218 Depth 4
                                        ;           Child Loop BB6_16219 Depth 5
                                        ;         Child Loop BB6_16233 Depth 4
                                        ;         Child Loop BB6_16239 Depth 4
	;; [unrolled: 1-line block ×6, first 2 shown]
                                        ;       Child Loop BB6_16314 Depth 3
                                        ;         Child Loop BB6_16320 Depth 4
                                        ;         Child Loop BB6_16352 Depth 4
	;; [unrolled: 1-line block ×3, first 2 shown]
                                        ;     Child Loop BB6_16402 Depth 2
                                        ;       Child Loop BB6_16411 Depth 3
                                        ;       Child Loop BB6_16438 Depth 3
	;; [unrolled: 1-line block ×9, first 2 shown]
                                        ;     Child Loop BB6_16563 Depth 2
                                        ;       Child Loop BB6_16569 Depth 3
                                        ;       Child Loop BB6_16596 Depth 3
	;; [unrolled: 1-line block ×3, first 2 shown]
	v_sub_co_u32 v98, vcc_lo, v4, v86
	v_sub_co_ci_u32_e32 v99, vcc_lo, v5, v87, vcc_lo
	s_mov_b32 s30, exec_lo
	s_delay_alu instid0(VALU_DEP_1)
	v_cmpx_lt_i64_e64 v[98:99], v[84:85]
	s_cbranch_execz .LBB6_57
; %bb.52:                               ;   in Loop: Header=BB6_51 Depth=1
	v_add_co_u32 v2, vcc_lo, s22, v98
	v_add_co_ci_u32_e32 v10, vcc_lo, s23, v99, vcc_lo
	v_mov_b32_e32 v8, v3
	s_delay_alu instid0(VALU_DEP_2) | instskip(NEXT) | instid1(VALU_DEP_1)
	v_or_b32_e32 v9, s21, v10
	v_cmp_ne_u64_e32 vcc_lo, 0, v[8:9]
                                        ; implicit-def: $vgpr8_vgpr9
	s_and_saveexec_b32 s13, vcc_lo
	s_delay_alu instid0(SALU_CYCLE_1)
	s_xor_b32 s37, exec_lo, s13
	s_cbranch_execz .LBB6_54
; %bb.53:                               ;   in Loop: Header=BB6_51 Depth=1
	s_add_u32 s16, s19, s21
	s_mov_b32 s38, s14
	s_mov_b32 s14, s21
	;; [unrolled: 1-line block ×3, first 2 shown]
	s_addc_u32 s17, s21, s21
	s_delay_alu instid0(SALU_CYCLE_1) | instskip(NEXT) | instid1(SALU_CYCLE_1)
	s_xor_b64 s[16:17], s[16:17], s[14:15]
	v_cvt_f32_u32_e32 v8, s16
	v_cvt_f32_u32_e32 v9, s17
	s_sub_u32 s13, 0, s16
	s_subb_u32 s39, 0, s17
	s_delay_alu instid0(VALU_DEP_1) | instskip(NEXT) | instid1(VALU_DEP_1)
	v_fmac_f32_e32 v8, 0x4f800000, v9
	v_rcp_f32_e32 v8, v8
	s_waitcnt_depctr 0xfff
	v_mul_f32_e32 v8, 0x5f7ffffc, v8
	s_delay_alu instid0(VALU_DEP_1) | instskip(NEXT) | instid1(VALU_DEP_1)
	v_mul_f32_e32 v9, 0x2f800000, v8
	v_trunc_f32_e32 v9, v9
	s_delay_alu instid0(VALU_DEP_1) | instskip(SKIP_1) | instid1(VALU_DEP_2)
	v_fmac_f32_e32 v8, 0xcf800000, v9
	v_cvt_u32_f32_e32 v9, v9
	v_cvt_u32_f32_e32 v8, v8
	s_delay_alu instid0(VALU_DEP_2) | instskip(NEXT) | instid1(VALU_DEP_2)
	v_mul_lo_u32 v11, s13, v9
	v_mul_hi_u32 v12, s13, v8
	v_mul_lo_u32 v13, s39, v8
	s_delay_alu instid0(VALU_DEP_2) | instskip(SKIP_1) | instid1(VALU_DEP_2)
	v_add_nc_u32_e32 v11, v12, v11
	v_mul_lo_u32 v12, s13, v8
	v_add_nc_u32_e32 v11, v11, v13
	s_delay_alu instid0(VALU_DEP_2) | instskip(NEXT) | instid1(VALU_DEP_2)
	v_mul_hi_u32 v13, v8, v12
	v_mul_lo_u32 v14, v8, v11
	v_mul_hi_u32 v15, v8, v11
	s_waitcnt vmcnt(0) lgkmcnt(1)
	v_mul_hi_u32 v16, v9, v12
	v_mul_lo_u32 v12, v9, v12
	v_mul_hi_u32 v17, v9, v11
	v_mul_lo_u32 v11, v9, v11
	v_add_co_u32 v13, vcc_lo, v13, v14
	v_add_co_ci_u32_e32 v14, vcc_lo, 0, v15, vcc_lo
	s_delay_alu instid0(VALU_DEP_2) | instskip(NEXT) | instid1(VALU_DEP_2)
	v_add_co_u32 v12, vcc_lo, v13, v12
	v_add_co_ci_u32_e32 v12, vcc_lo, v14, v16, vcc_lo
	v_add_co_ci_u32_e32 v13, vcc_lo, 0, v17, vcc_lo
	v_ashrrev_i32_e32 v16, 31, v10
	s_delay_alu instid0(VALU_DEP_3) | instskip(NEXT) | instid1(VALU_DEP_3)
	v_add_co_u32 v11, vcc_lo, v12, v11
	v_add_co_ci_u32_e32 v12, vcc_lo, 0, v13, vcc_lo
	s_delay_alu instid0(VALU_DEP_2) | instskip(NEXT) | instid1(VALU_DEP_2)
	v_add_co_u32 v8, vcc_lo, v8, v11
	v_add_co_ci_u32_e32 v9, vcc_lo, v9, v12, vcc_lo
	s_delay_alu instid0(VALU_DEP_2) | instskip(SKIP_1) | instid1(VALU_DEP_3)
	v_mul_hi_u32 v11, s13, v8
	v_mul_lo_u32 v13, s39, v8
	v_mul_lo_u32 v12, s13, v9
	s_delay_alu instid0(VALU_DEP_1) | instskip(SKIP_1) | instid1(VALU_DEP_2)
	v_add_nc_u32_e32 v11, v11, v12
	v_mul_lo_u32 v12, s13, v8
	v_add_nc_u32_e32 v11, v11, v13
	s_delay_alu instid0(VALU_DEP_2) | instskip(NEXT) | instid1(VALU_DEP_2)
	v_mul_hi_u32 v13, v8, v12
	v_mul_lo_u32 v14, v8, v11
	v_mul_hi_u32 v15, v8, v11
	v_mul_hi_u32 v17, v9, v12
	v_mul_lo_u32 v12, v9, v12
	v_mul_hi_u32 v18, v9, v11
	v_mul_lo_u32 v11, v9, v11
	v_add_co_u32 v13, vcc_lo, v13, v14
	v_add_co_ci_u32_e32 v14, vcc_lo, 0, v15, vcc_lo
	s_delay_alu instid0(VALU_DEP_2) | instskip(NEXT) | instid1(VALU_DEP_2)
	v_add_co_u32 v12, vcc_lo, v13, v12
	v_add_co_ci_u32_e32 v12, vcc_lo, v14, v17, vcc_lo
	v_add_co_ci_u32_e32 v13, vcc_lo, 0, v18, vcc_lo
	v_add_co_u32 v2, vcc_lo, v2, v16
	v_add_co_ci_u32_e32 v10, vcc_lo, v10, v16, vcc_lo
	s_delay_alu instid0(VALU_DEP_4) | instskip(NEXT) | instid1(VALU_DEP_4)
	v_add_co_u32 v11, vcc_lo, v12, v11
	v_add_co_ci_u32_e32 v12, vcc_lo, 0, v13, vcc_lo
	s_delay_alu instid0(VALU_DEP_4) | instskip(NEXT) | instid1(VALU_DEP_3)
	v_xor_b32_e32 v2, v2, v16
	v_add_co_u32 v13, vcc_lo, v8, v11
	s_delay_alu instid0(VALU_DEP_3) | instskip(SKIP_1) | instid1(VALU_DEP_3)
	v_add_co_ci_u32_e32 v14, vcc_lo, v9, v12, vcc_lo
	v_xor_b32_e32 v15, v10, v16
	v_mul_hi_u32 v17, v2, v13
	s_delay_alu instid0(VALU_DEP_3) | instskip(NEXT) | instid1(VALU_DEP_3)
	v_mad_u64_u32 v[8:9], null, v2, v14, 0
	v_mad_u64_u32 v[10:11], null, v15, v13, 0
	;; [unrolled: 1-line block ×3, first 2 shown]
	s_delay_alu instid0(VALU_DEP_3) | instskip(NEXT) | instid1(VALU_DEP_4)
	v_add_co_u32 v8, vcc_lo, v17, v8
	v_add_co_ci_u32_e32 v9, vcc_lo, 0, v9, vcc_lo
	s_delay_alu instid0(VALU_DEP_2) | instskip(NEXT) | instid1(VALU_DEP_2)
	v_add_co_u32 v8, vcc_lo, v8, v10
	v_add_co_ci_u32_e32 v8, vcc_lo, v9, v11, vcc_lo
	v_add_co_ci_u32_e32 v9, vcc_lo, 0, v13, vcc_lo
	s_delay_alu instid0(VALU_DEP_2) | instskip(NEXT) | instid1(VALU_DEP_2)
	v_add_co_u32 v10, vcc_lo, v8, v12
	v_add_co_ci_u32_e32 v11, vcc_lo, 0, v9, vcc_lo
	s_delay_alu instid0(VALU_DEP_2) | instskip(SKIP_1) | instid1(VALU_DEP_3)
	v_mul_lo_u32 v12, s17, v10
	v_mad_u64_u32 v[8:9], null, s16, v10, 0
	v_mul_lo_u32 v13, s16, v11
	s_delay_alu instid0(VALU_DEP_2) | instskip(NEXT) | instid1(VALU_DEP_2)
	v_sub_co_u32 v2, vcc_lo, v2, v8
	v_add3_u32 v9, v9, v13, v12
	s_delay_alu instid0(VALU_DEP_1) | instskip(NEXT) | instid1(VALU_DEP_1)
	v_sub_nc_u32_e32 v12, v15, v9
	v_subrev_co_ci_u32_e64 v8, s13, s17, v12, vcc_lo
	v_add_co_u32 v12, s13, v10, 2
	s_delay_alu instid0(VALU_DEP_1) | instskip(SKIP_3) | instid1(VALU_DEP_3)
	v_add_co_ci_u32_e64 v13, s13, 0, v11, s13
	v_sub_co_u32 v14, s13, v2, s16
	v_sub_co_ci_u32_e32 v9, vcc_lo, v15, v9, vcc_lo
	v_subrev_co_ci_u32_e64 v8, s13, 0, v8, s13
	v_cmp_le_u32_e32 vcc_lo, s16, v14
	s_delay_alu instid0(VALU_DEP_3) | instskip(SKIP_1) | instid1(VALU_DEP_4)
	v_cmp_eq_u32_e64 s13, s17, v9
	v_cndmask_b32_e64 v14, 0, -1, vcc_lo
	v_cmp_le_u32_e32 vcc_lo, s17, v8
	v_cndmask_b32_e64 v15, 0, -1, vcc_lo
	v_cmp_le_u32_e32 vcc_lo, s16, v2
	;; [unrolled: 2-line block ×3, first 2 shown]
	v_cndmask_b32_e64 v17, 0, -1, vcc_lo
	v_cmp_eq_u32_e32 vcc_lo, s17, v8
	s_delay_alu instid0(VALU_DEP_2) | instskip(SKIP_3) | instid1(VALU_DEP_3)
	v_cndmask_b32_e64 v2, v17, v2, s13
	v_cndmask_b32_e32 v8, v15, v14, vcc_lo
	v_add_co_u32 v14, vcc_lo, v10, 1
	v_add_co_ci_u32_e32 v15, vcc_lo, 0, v11, vcc_lo
	v_cmp_ne_u32_e32 vcc_lo, 0, v8
	s_delay_alu instid0(VALU_DEP_2) | instskip(SKIP_3) | instid1(VALU_DEP_3)
	v_dual_cndmask_b32 v8, v15, v13 :: v_dual_cndmask_b32 v9, v14, v12
	v_cmp_ne_u32_e32 vcc_lo, 0, v2
	v_xor_b32_e32 v2, s14, v16
	s_mov_b32 s14, s38
	v_dual_cndmask_b32 v8, v11, v8 :: v_dual_cndmask_b32 v9, v10, v9
	v_xor_b32_e32 v10, s15, v16
	s_delay_alu instid0(VALU_DEP_2) | instskip(NEXT) | instid1(VALU_DEP_2)
	v_xor_b32_e32 v9, v9, v2
	v_xor_b32_e32 v11, v8, v10
	s_delay_alu instid0(VALU_DEP_2) | instskip(NEXT) | instid1(VALU_DEP_2)
	v_sub_co_u32 v8, vcc_lo, v9, v2
	v_sub_co_ci_u32_e32 v9, vcc_lo, v11, v10, vcc_lo
                                        ; implicit-def: $vgpr2
.LBB6_54:                               ;   in Loop: Header=BB6_51 Depth=1
	s_and_not1_saveexec_b32 s13, s37
	s_cbranch_execz .LBB6_56
; %bb.55:                               ;   in Loop: Header=BB6_51 Depth=1
	v_cvt_f32_u32_e32 v8, s19
	s_delay_alu instid0(VALU_DEP_1) | instskip(SKIP_2) | instid1(VALU_DEP_1)
	v_rcp_iflag_f32_e32 v8, v8
	s_waitcnt_depctr 0xfff
	v_mul_f32_e32 v8, 0x4f7ffffe, v8
	v_cvt_u32_f32_e32 v8, v8
	s_delay_alu instid0(VALU_DEP_1) | instskip(NEXT) | instid1(VALU_DEP_1)
	v_mul_lo_u32 v9, s35, v8
	v_mul_hi_u32 v9, v8, v9
	s_delay_alu instid0(VALU_DEP_1) | instskip(NEXT) | instid1(VALU_DEP_1)
	v_add_nc_u32_e32 v8, v8, v9
	v_mul_hi_u32 v8, v2, v8
	s_delay_alu instid0(VALU_DEP_1) | instskip(NEXT) | instid1(VALU_DEP_1)
	v_mul_lo_u32 v9, v8, s19
	v_sub_nc_u32_e32 v2, v2, v9
	s_delay_alu instid0(VALU_DEP_1) | instskip(SKIP_1) | instid1(VALU_DEP_2)
	v_subrev_nc_u32_e32 v10, s19, v2
	v_cmp_le_u32_e32 vcc_lo, s19, v2
	v_dual_cndmask_b32 v2, v2, v10 :: v_dual_add_nc_u32 v9, 1, v8
	s_delay_alu instid0(VALU_DEP_1) | instskip(NEXT) | instid1(VALU_DEP_2)
	v_cndmask_b32_e32 v8, v8, v9, vcc_lo
	v_cmp_le_u32_e32 vcc_lo, s19, v2
	s_delay_alu instid0(VALU_DEP_2) | instskip(NEXT) | instid1(VALU_DEP_1)
	v_add_nc_u32_e32 v9, 1, v8
	v_cndmask_b32_e32 v2, v8, v9, vcc_lo
	s_delay_alu instid0(VALU_DEP_1)
	v_dual_mov_b32 v9, v3 :: v_dual_mov_b32 v8, v2
.LBB6_56:                               ;   in Loop: Header=BB6_51 Depth=1
	s_or_b32 exec_lo, exec_lo, s13
	s_delay_alu instid0(VALU_DEP_1) | instskip(NEXT) | instid1(VALU_DEP_2)
	v_add_co_u32 v2, vcc_lo, v8, 15
	v_add_co_ci_u32_e32 v97, vcc_lo, 0, v9, vcc_lo
	s_delay_alu instid0(VALU_DEP_2)
	v_and_b32_e32 v96, -16, v2
.LBB6_57:                               ;   in Loop: Header=BB6_51 Depth=1
	s_or_b32 exec_lo, exec_lo, s30
	s_delay_alu instid0(VALU_DEP_2) | instskip(NEXT) | instid1(VALU_DEP_2)
	v_mul_lo_u32 v2, v97, s26
	v_mul_lo_u32 v8, v96, s27
	v_mad_u64_u32 v[10:11], null, v96, s26, 0
	s_mov_b32 s16, 0
	v_mov_b32_e32 v17, 0
	s_delay_alu instid0(VALU_DEP_2) | instskip(NEXT) | instid1(VALU_DEP_3)
	v_add3_u32 v11, v11, v8, v2
	v_sub_co_u32 v8, vcc_lo, v98, v10
	s_delay_alu instid0(VALU_DEP_2) | instskip(NEXT) | instid1(VALU_DEP_1)
	v_sub_co_ci_u32_e32 v9, vcc_lo, v99, v11, vcc_lo
	v_cmp_lt_i64_e32 vcc_lo, v[96:97], v[8:9]
	v_cndmask_b32_e32 v8, v8, v96, vcc_lo
	v_add_co_u32 v177, vcc_lo, v86, v28
	v_add_co_ci_u32_e32 v178, vcc_lo, v87, v29, vcc_lo
	s_waitcnt vmcnt(0) lgkmcnt(1)
	s_delay_alu instid0(VALU_DEP_3) | instskip(NEXT) | instid1(VALU_DEP_1)
	v_max_i32_e32 v16, 0, v8
	v_add_nc_u32_e32 v2, 31, v16
	s_delay_alu instid0(VALU_DEP_1) | instskip(NEXT) | instid1(VALU_DEP_1)
	v_lshrrev_b32_e32 v2, 1, v2
	v_and_b32_e32 v9, 0x3ffffff0, v2
	v_cmp_lt_i32_e32 vcc_lo, 0, v8
	v_mov_b32_e32 v2, 0
	s_delay_alu instid0(VALU_DEP_3) | instskip(SKIP_1) | instid1(SALU_CYCLE_1)
	v_max_i32_e32 v8, s28, v9
	s_and_b32 s13, s14, vcc_lo
	s_and_saveexec_b32 s15, s13
	s_cbranch_execz .LBB6_220
; %bb.58:                               ;   in Loop: Header=BB6_51 Depth=1
	v_mov_b32_e32 v17, 0
	s_mov_b32 s30, 1
	s_mov_b32 s17, -1
.LBB6_59:                               ;   Parent Loop BB6_51 Depth=1
                                        ; =>  This Loop Header: Depth=2
                                        ;       Child Loop BB6_68 Depth 3
                                        ;       Child Loop BB6_95 Depth 3
	;; [unrolled: 1-line block ×9, first 2 shown]
	s_and_saveexec_b32 s13, s0
	s_cbranch_execz .LBB6_62
; %bb.60:                               ;   in Loop: Header=BB6_59 Depth=2
	s_cbranch_execz .LBB6_61
; %bb.17220:
	s_getpc_b64 s[48:49]
.Lpost_getpc281:
	s_add_u32 s48, s48, (.LBB6_16693-.Lpost_getpc281)&4294967295
	s_addc_u32 s49, s49, (.LBB6_16693-.Lpost_getpc281)>>32
	s_setpc_b64 s[48:49]
.LBB6_61:                               ;   in Loop: Header=BB6_59 Depth=2
	ds_load_b64 v[12:13], v0
	s_waitcnt lgkmcnt(0)
	v_add_co_u32 v2, vcc_lo, v12, v177
	v_add_co_ci_u32_e32 v9, vcc_lo, v13, v178, vcc_lo
	v_ashrrev_i32_e32 v13, 31, v17
	s_delay_alu instid0(VALU_DEP_3) | instskip(NEXT) | instid1(VALU_DEP_3)
	v_add_co_u32 v2, vcc_lo, v2, v10
	v_add_co_ci_u32_e32 v9, vcc_lo, v9, v11, vcc_lo
	s_delay_alu instid0(VALU_DEP_2) | instskip(NEXT) | instid1(VALU_DEP_2)
	v_add_co_u32 v12, vcc_lo, v2, v17
	v_add_co_ci_u32_e32 v13, vcc_lo, v9, v13, vcc_lo
	v_mov_b32_e32 v2, v3
	ds_store_b64 v0, v[12:13]
	ds_store_b64 v0, v[2:3]
.LBB6_62:                               ;   in Loop: Header=BB6_59 Depth=2
	s_or_b32 exec_lo, exec_lo, s13
	v_and_b32_e32 v2, 8, v30
	s_mov_b32 s37, -1
	s_mov_b32 s13, exec_lo
	s_delay_alu instid0(VALU_DEP_1)
	v_cmpx_ne_u32_e32 0, v2
	s_cbranch_execz .LBB6_76
; %bb.63:                               ;   in Loop: Header=BB6_59 Depth=2
	v_add_co_u32 v14, vcc_lo, v82, 8
	v_add_co_ci_u32_e32 v15, vcc_lo, 0, v83, vcc_lo
	v_add_co_u32 v12, vcc_lo, v66, 2
	v_add_co_ci_u32_e32 v13, vcc_lo, 0, v67, vcc_lo
	v_mov_b32_e32 v2, 1
	s_mov_b32 s37, exec_lo
	s_delay_alu instid0(VALU_DEP_2)
	v_cmpx_lt_u64_e64 v[14:15], v[12:13]
	s_cbranch_execz .LBB6_75
; %bb.64:                               ;   in Loop: Header=BB6_59 Depth=2
	v_mov_b32_e32 v2, 0
	s_mov_b32 s38, 0
                                        ; implicit-def: $sgpr39
	s_branch .LBB6_68
.LBB6_65:                               ;   in Loop: Header=BB6_68 Depth=3
	s_or_b32 exec_lo, exec_lo, s43
	v_mov_b32_e32 v9, 0
	s_or_not1_b32 s42, s42, exec_lo
.LBB6_66:                               ;   in Loop: Header=BB6_68 Depth=3
	s_or_b32 exec_lo, exec_lo, s41
	s_delay_alu instid0(VALU_DEP_1) | instskip(SKIP_2) | instid1(SALU_CYCLE_1)
	v_mov_b32_e32 v2, v9
	s_and_not1_b32 vcc_lo, s39, exec_lo
	s_and_b32 s39, s42, exec_lo
	s_or_b32 s39, vcc_lo, s39
.LBB6_67:                               ;   in Loop: Header=BB6_68 Depth=3
	s_or_b32 exec_lo, exec_lo, s40
	s_waitcnt vmcnt(0) lgkmcnt(0)
	v_add_co_u32 v14, vcc_lo, v82, 8
	v_add_co_ci_u32_e32 v15, vcc_lo, 0, v83, vcc_lo
	s_xor_b32 s40, s39, -1
	s_delay_alu instid0(VALU_DEP_1) | instskip(SKIP_1) | instid1(SALU_CYCLE_1)
	v_cmp_ge_u64_e32 vcc_lo, v[14:15], v[12:13]
	s_or_b32 vcc_lo, s40, vcc_lo
	s_and_b32 vcc_lo, exec_lo, vcc_lo
	s_delay_alu instid0(SALU_CYCLE_1) | instskip(NEXT) | instid1(SALU_CYCLE_1)
	s_or_b32 s38, vcc_lo, s38
	s_and_not1_b32 exec_lo, exec_lo, s38
	s_cbranch_execz .LBB6_74
.LBB6_68:                               ;   Parent Loop BB6_51 Depth=1
                                        ;     Parent Loop BB6_59 Depth=2
                                        ; =>    This Inner Loop Header: Depth=3
	s_sleep 1
	flat_load_b64 v[82:83], v[64:65] glc
	v_and_b32_e32 v9, 64, v30
	s_and_not1_b32 s39, s39, exec_lo
	s_mov_b32 s40, exec_lo
	s_delay_alu instid0(VALU_DEP_1)
	v_cmpx_eq_u32_e32 0, v9
	s_cbranch_execz .LBB6_67
; %bb.69:                               ;   in Loop: Header=BB6_68 Depth=3
	v_add_nc_u32_e32 v9, 1, v2
	s_mov_b32 s42, -1
	s_mov_b32 s41, exec_lo
	v_cmpx_lt_i32_e32 0x270e, v2
	s_cbranch_execz .LBB6_66
; %bb.70:                               ;   in Loop: Header=BB6_68 Depth=3
	s_cbranch_execz .LBB6_71
; %bb.17222:
	s_getpc_b64 s[48:49]
.Lpost_getpc282:
	s_add_u32 s48, s48, (.LBB6_16715-.Lpost_getpc282)&4294967295
	s_addc_u32 s49, s49, (.LBB6_16715-.Lpost_getpc282)>>32
	s_setpc_b64 s[48:49]
.LBB6_71:                               ;   in Loop: Header=BB6_68 Depth=3
	ds_load_b64 v[14:15], v0
	s_mov_b32 s43, exec_lo
	s_waitcnt vmcnt(0) lgkmcnt(0)
	s_waitcnt_vscnt null, 0x0
	flat_load_b32 v2, v[14:15] glc
	s_waitcnt vmcnt(0) lgkmcnt(0)
	buffer_gl1_inv
	buffer_gl0_inv
	v_cmpx_ne_u32_e32 0, v2
	s_cbranch_execz .LBB6_65
; %bb.72:                               ;   in Loop: Header=BB6_68 Depth=3
	ds_store_b32 v0, v2
	s_cbranch_execz .LBB6_73
; %bb.17224:
	s_getpc_b64 s[48:49]
.Lpost_getpc283:
	s_add_u32 s48, s48, (.LBB6_16734-.Lpost_getpc283)&4294967295
	s_addc_u32 s49, s49, (.LBB6_16734-.Lpost_getpc283)>>32
	s_setpc_b64 s[48:49]
.LBB6_73:                               ;   in Loop: Header=BB6_68 Depth=3
	v_or_b32_e32 v30, 64, v30
	s_xor_b32 s42, exec_lo, -1
	s_branch .LBB6_65
.LBB6_74:                               ;   in Loop: Header=BB6_59 Depth=2
	s_or_b32 exec_lo, exec_lo, s38
	v_and_b32_e32 v2, 8, v30
.LBB6_75:                               ;   in Loop: Header=BB6_59 Depth=2
	s_or_b32 exec_lo, exec_lo, s37
	s_delay_alu instid0(VALU_DEP_1)
	v_cmp_eq_u32_e32 vcc_lo, 0, v2
	;;#ASMSTART
	s_wakeup
	;;#ASMEND
	s_or_not1_b32 s37, vcc_lo, exec_lo
.LBB6_76:                               ;   in Loop: Header=BB6_59 Depth=2
	s_or_b32 exec_lo, exec_lo, s13
	v_sub_nc_u32_e32 v2, v16, v17
	s_xor_b32 s13, s37, -1
	s_delay_alu instid0(VALU_DEP_1)
	v_min_i32_e32 v8, v8, v2
	s_and_saveexec_b32 s37, s13
	s_cbranch_execz .LBB6_86
; %bb.77:                               ;   in Loop: Header=BB6_59 Depth=2
	v_and_b32_e32 v2, 0x100, v30
	s_mov_b32 s13, -1
                                        ; implicit-def: $vgpr12_vgpr13
	s_delay_alu instid0(VALU_DEP_1)
	v_cmp_ne_u32_e32 vcc_lo, 0, v2
	v_and_b32_e32 v2, 7, v66
	s_and_saveexec_b32 s38, vcc_lo
	s_cbranch_execz .LBB6_81
; %bb.78:                               ;   in Loop: Header=BB6_59 Depth=2
	s_delay_alu instid0(VALU_DEP_1)
	v_mad_u64_u32 v[14:15], null, v2, 24, v[6:7]
	v_ashrrev_i32_e32 v9, 31, v8
	flat_load_b32 v12, v[14:15]
	flat_store_b64 v[14:15], v[8:9] offset:8
	s_waitcnt vmcnt(0) lgkmcnt(1)
	v_cmp_ne_u32_e32 vcc_lo, 1, v12
	v_cmp_eq_u32_e64 s13, 1, v12
                                        ; implicit-def: $vgpr12_vgpr13
	s_delay_alu instid0(VALU_DEP_1)
	s_and_saveexec_b32 s39, s13
	s_cbranch_execz .LBB6_80
; %bb.79:                               ;   in Loop: Header=BB6_59 Depth=2
	flat_load_b32 v12, v[14:15] offset:4 glc
	s_waitcnt vmcnt(0) lgkmcnt(0)
	v_ashrrev_i32_e32 v13, 31, v12
.LBB6_80:                               ;   in Loop: Header=BB6_59 Depth=2
	s_or_b32 exec_lo, exec_lo, s39
	s_delay_alu instid0(SALU_CYCLE_1)
	s_or_not1_b32 s13, vcc_lo, exec_lo
.LBB6_81:                               ;   in Loop: Header=BB6_59 Depth=2
	s_or_b32 exec_lo, exec_lo, s38
	s_and_saveexec_b32 vcc_lo, s13
; %bb.82:                               ;   in Loop: Header=BB6_59 Depth=2
	v_mad_i64_i32 v[12:13], null, v2, v118, 0
; %bb.83:                               ;   in Loop: Header=BB6_59 Depth=2
	s_or_b32 exec_lo, exec_lo, vcc_lo
	s_delay_alu instid0(VALU_DEP_1) | instskip(SKIP_1) | instid1(VALU_DEP_3)
	v_add_co_u32 v12, vcc_lo, v68, v12
	v_and_b32_e32 v2, 0x2000, v30
	v_add_co_ci_u32_e32 v13, vcc_lo, v69, v13, vcc_lo
	s_mov_b32 s13, exec_lo
	ds_store_b64 v0, v[12:13] offset:784
	v_cmpx_ne_u32_e32 0, v2
	s_cbranch_execz .LBB6_85
; %bb.84:                               ;   in Loop: Header=BB6_59 Depth=2
	ds_load_b64 v[12:13], v0 offset:584
	s_waitcnt lgkmcnt(0)
	v_add_co_u32 v12, vcc_lo, v12, 1
	v_add_co_ci_u32_e32 v13, vcc_lo, 0, v13, vcc_lo
	ds_store_b64 v0, v[12:13] offset:584
.LBB6_85:                               ;   in Loop: Header=BB6_59 Depth=2
	s_or_b32 exec_lo, exec_lo, s13
	v_add_co_u32 v66, vcc_lo, v66, 2
	v_add_co_ci_u32_e32 v67, vcc_lo, 0, v67, vcc_lo
.LBB6_86:                               ;   in Loop: Header=BB6_59 Depth=2
	s_or_b32 exec_lo, exec_lo, s37
	s_and_saveexec_b32 s13, s3
	s_cbranch_execz .LBB6_108
; %bb.87:                               ;   in Loop: Header=BB6_59 Depth=2
	s_and_saveexec_b32 vcc_lo, s4
	s_delay_alu instid0(SALU_CYCLE_1)
	s_xor_b32 s37, exec_lo, vcc_lo
	s_cbranch_execz .LBB6_105
; %bb.88:                               ;   in Loop: Header=BB6_59 Depth=2
	s_and_saveexec_b32 s38, s1
	s_cbranch_execz .LBB6_104
; %bb.89:                               ;   in Loop: Header=BB6_59 Depth=2
	s_mov_b32 s40, exec_lo
	s_mov_b32 s39, exec_lo
	v_mbcnt_lo_u32_b32 v2, s40, 0
	s_waitcnt lgkmcnt(0)
	s_waitcnt_vscnt null, 0x0
	buffer_gl1_inv
	buffer_gl0_inv
	v_cmpx_eq_u32_e32 0, v2
	s_cbranch_execz .LBB6_91
; %bb.90:                               ;   in Loop: Header=BB6_59 Depth=2
	s_bcnt1_i32_b32 vcc_lo, s40
	s_delay_alu instid0(SALU_CYCLE_1)
	v_mov_b32_e32 v2, vcc_lo
	ds_add_u64 v0, v[2:3]
	s_cbranch_execz .LBB6_91
; %bb.17226:
	s_getpc_b64 s[48:49]
.Lpost_getpc284:
	s_add_u32 s48, s48, (.LBB6_16760-.Lpost_getpc284)&4294967295
	s_addc_u32 s49, s49, (.LBB6_16760-.Lpost_getpc284)>>32
	s_setpc_b64 s[48:49]
.LBB6_91:                               ;   in Loop: Header=BB6_59 Depth=2
	s_or_b32 exec_lo, exec_lo, s39
	s_cbranch_execz .LBB6_92
; %bb.17228:
	s_getpc_b64 s[48:49]
.Lpost_getpc285:
	s_add_u32 s48, s48, (.LBB6_16740-.Lpost_getpc285)&4294967295
	s_addc_u32 s49, s49, (.LBB6_16740-.Lpost_getpc285)>>32
	s_setpc_b64 s[48:49]
.LBB6_92:                               ;   in Loop: Header=BB6_59 Depth=2
	ds_load_b64 v[12:13], v0
	v_add_co_u32 v80, vcc_lo, v80, v129
	v_add_co_ci_u32_e32 v81, vcc_lo, 0, v81, vcc_lo
	s_mov_b32 s39, exec_lo
	s_waitcnt lgkmcnt(0)
	s_delay_alu instid0(VALU_DEP_1)
	v_cmpx_lt_u64_e64 v[12:13], v[80:81]
	s_cbranch_execz .LBB6_103
; %bb.93:                               ;   in Loop: Header=BB6_59 Depth=2
	s_mov_b32 s40, 0
	s_mov_b32 s43, 0
                                        ; implicit-def: $sgpr41
                                        ; implicit-def: $sgpr42
	s_branch .LBB6_95
.LBB6_94:                               ;   in Loop: Header=BB6_95 Depth=3
	s_or_b32 exec_lo, exec_lo, s45
	s_delay_alu instid0(SALU_CYCLE_1) | instskip(NEXT) | instid1(SALU_CYCLE_1)
	s_and_b32 vcc_lo, exec_lo, vcc_lo
	s_or_b32 s40, vcc_lo, s40
	s_and_not1_b32 vcc_lo, s41, exec_lo
	s_and_b32 s41, s42, exec_lo
	s_delay_alu instid0(SALU_CYCLE_1)
	s_or_b32 s41, vcc_lo, s41
	s_and_not1_b32 exec_lo, exec_lo, s40
	s_cbranch_execz .LBB6_101
.LBB6_95:                               ;   Parent Loop BB6_51 Depth=1
                                        ;     Parent Loop BB6_59 Depth=2
                                        ; =>    This Inner Loop Header: Depth=3
	s_add_i32 s43, s43, 1
                                        ; implicit-def: $sgpr45
	s_delay_alu instid0(SALU_CYCLE_1) | instskip(SKIP_1) | instid1(SALU_CYCLE_1)
	s_cmpk_lg_i32 s43, 0x2710
	s_cselect_b32 s44, -1, 0
	s_and_b32 vcc_lo, exec_lo, s44
	s_cbranch_vccz .LBB6_99
.LBB6_96:                               ;   in Loop: Header=BB6_95 Depth=3
	s_and_not1_b32 s42, s42, exec_lo
	s_and_b32 s45, s45, exec_lo
	s_mov_b32 vcc_lo, -1
	s_or_b32 s42, s42, s45
	s_and_saveexec_b32 s45, s44
	s_cbranch_execz .LBB6_94
; %bb.97:                               ;   in Loop: Header=BB6_95 Depth=3
	s_sleep 1
	s_cbranch_execz .LBB6_98
; %bb.17230:
	s_getpc_b64 s[48:49]
.Lpost_getpc286:
	s_add_u32 s48, s48, (.LBB6_16788-.Lpost_getpc286)&4294967295
	s_addc_u32 s49, s49, (.LBB6_16788-.Lpost_getpc286)>>32
	s_setpc_b64 s[48:49]
.LBB6_98:                               ;   in Loop: Header=BB6_95 Depth=3
	ds_load_b64 v[12:13], v0
	s_and_not1_b32 s42, s42, exec_lo
	s_waitcnt lgkmcnt(0)
	v_cmp_ge_u64_e32 vcc_lo, v[12:13], v[80:81]
	s_or_not1_b32 vcc_lo, vcc_lo, exec_lo
	s_branch .LBB6_94
.LBB6_99:                               ;   in Loop: Header=BB6_95 Depth=3
	s_cbranch_execz .LBB6_100
; %bb.17232:
	s_getpc_b64 s[48:49]
.Lpost_getpc287:
	s_add_u32 s48, s48, (.LBB6_16794-.Lpost_getpc287)&4294967295
	s_addc_u32 s49, s49, (.LBB6_16794-.Lpost_getpc287)>>32
	s_setpc_b64 s[48:49]
.LBB6_100:                              ;   in Loop: Header=BB6_95 Depth=3
	ds_load_b64 v[12:13], v0
	s_and_not1_b32 s44, s44, exec_lo
	s_mov_b32 s43, 0
	s_mov_b32 s45, -1
	s_waitcnt lgkmcnt(0)
	flat_load_b32 v2, v[12:13] glc
	s_waitcnt vmcnt(0) lgkmcnt(0)
	buffer_gl1_inv
	buffer_gl0_inv
	v_cmp_eq_u32_e32 vcc_lo, 0, v2
	s_and_b32 vcc_lo, vcc_lo, exec_lo
	s_delay_alu instid0(SALU_CYCLE_1)
	s_or_b32 s44, s44, vcc_lo
	s_branch .LBB6_96
.LBB6_101:                              ;   in Loop: Header=BB6_59 Depth=2
	s_or_b32 exec_lo, exec_lo, s40
	s_and_saveexec_b32 vcc_lo, s41
	s_delay_alu instid0(SALU_CYCLE_1)
	s_xor_b32 vcc_lo, exec_lo, vcc_lo
	s_cbranch_execz .LBB6_103
; %bb.102:                              ;   in Loop: Header=BB6_59 Depth=2
	ds_store_b32 v0, v176
	s_cbranch_execz .LBB6_103
; %bb.17234:
	s_getpc_b64 s[48:49]
.Lpost_getpc288:
	s_add_u32 s48, s48, (.LBB6_17004-.Lpost_getpc288)&4294967295
	s_addc_u32 s49, s49, (.LBB6_17004-.Lpost_getpc288)>>32
	s_setpc_b64 s[48:49]
.LBB6_103:                              ;   in Loop: Header=BB6_59 Depth=2
	s_or_b32 exec_lo, exec_lo, s39
	;;#ASMSTART
	s_wakeup
	;;#ASMEND
.LBB6_104:                              ;   in Loop: Header=BB6_59 Depth=2
	s_or_b32 exec_lo, exec_lo, s38
.LBB6_105:                              ;   in Loop: Header=BB6_59 Depth=2
	s_and_not1_saveexec_b32 vcc_lo, s37
	s_cbranch_execz .LBB6_107
; %bb.106:                              ;   in Loop: Header=BB6_59 Depth=2
	s_waitcnt lgkmcnt(0)
	s_waitcnt_vscnt null, 0x0
	buffer_gl1_inv
	buffer_gl0_inv
	s_barrier
.LBB6_107:                              ;   in Loop: Header=BB6_59 Depth=2
	s_or_b32 exec_lo, exec_lo, vcc_lo
.LBB6_108:                              ;   in Loop: Header=BB6_59 Depth=2
	s_delay_alu instid0(SALU_CYCLE_1)
	s_or_b32 exec_lo, exec_lo, s13
	s_cbranch_execz .LBB6_109
; %bb.17236:
	s_getpc_b64 s[48:49]
.Lpost_getpc289:
	s_add_u32 s48, s48, (.LBB6_16691-.Lpost_getpc289)&4294967295
	s_addc_u32 s49, s49, (.LBB6_16691-.Lpost_getpc289)>>32
	s_setpc_b64 s[48:49]
.LBB6_109:                              ;   in Loop: Header=BB6_59 Depth=2
	ds_load_b32 v12, v0
	v_and_b32_e32 v2, 0x4000, v30
	s_xor_b32 s13, s2, -1
	s_delay_alu instid0(VALU_DEP_1) | instskip(SKIP_1) | instid1(SALU_CYCLE_1)
	v_cmp_ne_u32_e32 vcc_lo, 0, v2
	s_and_b32 vcc_lo, s13, vcc_lo
	s_and_saveexec_b32 s13, vcc_lo
	s_cbranch_execz .LBB6_131
; %bb.110:                              ;   in Loop: Header=BB6_59 Depth=2
	s_and_saveexec_b32 vcc_lo, s4
	s_delay_alu instid0(SALU_CYCLE_1)
	s_xor_b32 s37, exec_lo, vcc_lo
	s_cbranch_execz .LBB6_128
; %bb.111:                              ;   in Loop: Header=BB6_59 Depth=2
	s_and_saveexec_b32 s38, s1
	s_cbranch_execz .LBB6_127
; %bb.112:                              ;   in Loop: Header=BB6_59 Depth=2
	s_mov_b32 s40, exec_lo
	s_mov_b32 s39, exec_lo
	v_mbcnt_lo_u32_b32 v2, s40, 0
	s_waitcnt lgkmcnt(0)
	s_waitcnt_vscnt null, 0x0
	buffer_gl1_inv
	buffer_gl0_inv
	v_cmpx_eq_u32_e32 0, v2
	s_cbranch_execz .LBB6_114
; %bb.113:                              ;   in Loop: Header=BB6_59 Depth=2
	s_bcnt1_i32_b32 vcc_lo, s40
	s_delay_alu instid0(SALU_CYCLE_1)
	v_mov_b32_e32 v2, vcc_lo
	ds_add_u64 v0, v[2:3]
	s_cbranch_execz .LBB6_114
; %bb.17238:
	s_getpc_b64 s[48:49]
.Lpost_getpc290:
	s_add_u32 s48, s48, (.LBB6_16786-.Lpost_getpc290)&4294967295
	s_addc_u32 s49, s49, (.LBB6_16786-.Lpost_getpc290)>>32
	s_setpc_b64 s[48:49]
.LBB6_114:                              ;   in Loop: Header=BB6_59 Depth=2
	s_or_b32 exec_lo, exec_lo, s39
	s_cbranch_execz .LBB6_115
; %bb.17240:
	s_getpc_b64 s[48:49]
.Lpost_getpc291:
	s_add_u32 s48, s48, (.LBB6_16774-.Lpost_getpc291)&4294967295
	s_addc_u32 s49, s49, (.LBB6_16774-.Lpost_getpc291)>>32
	s_setpc_b64 s[48:49]
.LBB6_115:                              ;   in Loop: Header=BB6_59 Depth=2
	ds_load_b64 v[13:14], v0
	v_add_co_u32 v80, vcc_lo, v80, v129
	v_add_co_ci_u32_e32 v81, vcc_lo, 0, v81, vcc_lo
	s_mov_b32 s39, exec_lo
	s_waitcnt lgkmcnt(0)
	s_delay_alu instid0(VALU_DEP_1)
	v_cmpx_lt_u64_e64 v[13:14], v[80:81]
	s_cbranch_execz .LBB6_126
; %bb.116:                              ;   in Loop: Header=BB6_59 Depth=2
	s_mov_b32 s40, 0
	s_mov_b32 s43, 0
                                        ; implicit-def: $sgpr41
                                        ; implicit-def: $sgpr42
	s_branch .LBB6_118
.LBB6_117:                              ;   in Loop: Header=BB6_118 Depth=3
	s_or_b32 exec_lo, exec_lo, s45
	s_delay_alu instid0(SALU_CYCLE_1) | instskip(NEXT) | instid1(SALU_CYCLE_1)
	s_and_b32 vcc_lo, exec_lo, vcc_lo
	s_or_b32 s40, vcc_lo, s40
	s_and_not1_b32 vcc_lo, s41, exec_lo
	s_and_b32 s41, s42, exec_lo
	s_delay_alu instid0(SALU_CYCLE_1)
	s_or_b32 s41, vcc_lo, s41
	s_and_not1_b32 exec_lo, exec_lo, s40
	s_cbranch_execz .LBB6_124
.LBB6_118:                              ;   Parent Loop BB6_51 Depth=1
                                        ;     Parent Loop BB6_59 Depth=2
                                        ; =>    This Inner Loop Header: Depth=3
	s_add_i32 s43, s43, 1
                                        ; implicit-def: $sgpr45
	s_delay_alu instid0(SALU_CYCLE_1) | instskip(SKIP_1) | instid1(SALU_CYCLE_1)
	s_cmpk_lg_i32 s43, 0x2710
	s_cselect_b32 s44, -1, 0
	s_and_b32 vcc_lo, exec_lo, s44
	s_cbranch_vccz .LBB6_122
.LBB6_119:                              ;   in Loop: Header=BB6_118 Depth=3
	s_and_not1_b32 s42, s42, exec_lo
	s_and_b32 s45, s45, exec_lo
	s_mov_b32 vcc_lo, -1
	s_or_b32 s42, s42, s45
	s_and_saveexec_b32 s45, s44
	s_cbranch_execz .LBB6_117
; %bb.120:                              ;   in Loop: Header=BB6_118 Depth=3
	s_sleep 1
	s_cbranch_execz .LBB6_121
; %bb.17242:
	s_getpc_b64 s[48:49]
.Lpost_getpc292:
	s_add_u32 s48, s48, (.LBB6_16828-.Lpost_getpc292)&4294967295
	s_addc_u32 s49, s49, (.LBB6_16828-.Lpost_getpc292)>>32
	s_setpc_b64 s[48:49]
.LBB6_121:                              ;   in Loop: Header=BB6_118 Depth=3
	ds_load_b64 v[13:14], v0
	s_and_not1_b32 s42, s42, exec_lo
	s_waitcnt lgkmcnt(0)
	v_cmp_ge_u64_e32 vcc_lo, v[13:14], v[80:81]
	s_or_not1_b32 vcc_lo, vcc_lo, exec_lo
	s_branch .LBB6_117
.LBB6_122:                              ;   in Loop: Header=BB6_118 Depth=3
	s_cbranch_execz .LBB6_123
; %bb.17244:
	s_getpc_b64 s[48:49]
.Lpost_getpc293:
	s_add_u32 s48, s48, (.LBB6_16846-.Lpost_getpc293)&4294967295
	s_addc_u32 s49, s49, (.LBB6_16846-.Lpost_getpc293)>>32
	s_setpc_b64 s[48:49]
.LBB6_123:                              ;   in Loop: Header=BB6_118 Depth=3
	ds_load_b64 v[13:14], v0
	s_and_not1_b32 s44, s44, exec_lo
	s_mov_b32 s43, 0
	s_mov_b32 s45, -1
	s_waitcnt lgkmcnt(0)
	flat_load_b32 v2, v[13:14] glc
	s_waitcnt vmcnt(0) lgkmcnt(0)
	buffer_gl1_inv
	buffer_gl0_inv
	v_cmp_eq_u32_e32 vcc_lo, 0, v2
	s_and_b32 vcc_lo, vcc_lo, exec_lo
	s_delay_alu instid0(SALU_CYCLE_1)
	s_or_b32 s44, s44, vcc_lo
	s_branch .LBB6_119
.LBB6_124:                              ;   in Loop: Header=BB6_59 Depth=2
	s_or_b32 exec_lo, exec_lo, s40
	s_and_saveexec_b32 vcc_lo, s41
	s_delay_alu instid0(SALU_CYCLE_1)
	s_xor_b32 vcc_lo, exec_lo, vcc_lo
	s_cbranch_execz .LBB6_126
; %bb.125:                              ;   in Loop: Header=BB6_59 Depth=2
	ds_store_b32 v0, v176
	s_cbranch_execz .LBB6_126
; %bb.17246:
	s_getpc_b64 s[48:49]
.Lpost_getpc294:
	s_add_u32 s48, s48, (.LBB6_17058-.Lpost_getpc294)&4294967295
	s_addc_u32 s49, s49, (.LBB6_17058-.Lpost_getpc294)>>32
	s_setpc_b64 s[48:49]
.LBB6_126:                              ;   in Loop: Header=BB6_59 Depth=2
	s_or_b32 exec_lo, exec_lo, s39
	;;#ASMSTART
	s_wakeup
	;;#ASMEND
.LBB6_127:                              ;   in Loop: Header=BB6_59 Depth=2
	s_or_b32 exec_lo, exec_lo, s38
.LBB6_128:                              ;   in Loop: Header=BB6_59 Depth=2
	s_and_not1_saveexec_b32 vcc_lo, s37
	s_cbranch_execz .LBB6_130
; %bb.129:                              ;   in Loop: Header=BB6_59 Depth=2
	s_waitcnt lgkmcnt(0)
	s_waitcnt_vscnt null, 0x0
	buffer_gl1_inv
	buffer_gl0_inv
	s_barrier
.LBB6_130:                              ;   in Loop: Header=BB6_59 Depth=2
	s_or_b32 exec_lo, exec_lo, vcc_lo
.LBB6_131:                              ;   in Loop: Header=BB6_59 Depth=2
	s_delay_alu instid0(SALU_CYCLE_1)
	s_or_b32 exec_lo, exec_lo, s13
	s_cbranch_execz .LBB6_132
; %bb.17248:
	s_getpc_b64 s[48:49]
.Lpost_getpc295:
	s_add_u32 s48, s48, (.LBB6_16717-.Lpost_getpc295)&4294967295
	s_addc_u32 s49, s49, (.LBB6_16717-.Lpost_getpc295)>>32
	s_setpc_b64 s[48:49]
.LBB6_132:                              ;   in Loop: Header=BB6_59 Depth=2
	ds_load_b64 v[13:14], v0
	v_mov_b32_e32 v9, 0
	s_waitcnt lgkmcnt(0)
	v_cmp_eq_u64_e32 vcc_lo, 0, v[13:14]
	s_or_b32 s13, vcc_lo, vcc_lo
	s_delay_alu instid0(SALU_CYCLE_1)
	s_and_b32 vcc_lo, exec_lo, s13
	s_cbranch_vccnz .LBB6_166
; %bb.133:                              ;   in Loop: Header=BB6_59 Depth=2
	s_mov_b32 s37, s35
	s_mov_b32 s35, s14
	s_mov_b32 s13, -1
	s_and_saveexec_b32 s14, s5
	s_cbranch_execz .LBB6_135
; %bb.134:                              ;   in Loop: Header=BB6_59 Depth=2
	ds_load_b32 v2, v0 offset:720
	s_waitcnt lgkmcnt(0)
	v_and_b32_e32 v2, 15, v2
	s_delay_alu instid0(VALU_DEP_1)
	v_cmp_eq_u32_e32 vcc_lo, 0, v2
	s_or_not1_b32 s13, vcc_lo, exec_lo
.LBB6_135:                              ;   in Loop: Header=BB6_59 Depth=2
	s_or_b32 exec_lo, exec_lo, s14
	s_and_saveexec_b32 s14, s6
	s_cbranch_execz .LBB6_137
; %bb.136:                              ;   in Loop: Header=BB6_59 Depth=2
	ds_load_b32 v2, v0 offset:784
	s_waitcnt lgkmcnt(0)
	v_and_b32_e32 v2, 15, v2
	s_delay_alu instid0(VALU_DEP_1) | instskip(SKIP_3) | instid1(SALU_CYCLE_1)
	v_cmp_eq_u32_e32 vcc_lo, 0, v2
	s_and_b32 vcc_lo, s13, vcc_lo
	s_and_not1_b32 s13, s13, exec_lo
	s_and_b32 vcc_lo, vcc_lo, exec_lo
	s_or_b32 s13, s13, vcc_lo
.LBB6_137:                              ;   in Loop: Header=BB6_59 Depth=2
	s_or_b32 exec_lo, exec_lo, s14
	v_cmp_eq_u32_e32 vcc_lo, 0, v12
	s_xor_b32 s13, s13, -1
	v_mov_b32_e32 v22, v130
	v_cndmask_b32_e64 v2, 0, 1, s13
	;;#ASMSTART
	;;#ASMEND
	v_cndmask_b32_e32 v9, 0, v8, vcc_lo
	s_delay_alu instid0(VALU_DEP_2) | instskip(SKIP_2) | instid1(VALU_DEP_3)
	v_cmp_ne_u32_e32 vcc_lo, 0, v2
	v_mov_b32_e32 v2, 0
	s_mov_b32 s13, -1
	v_dual_mov_b32 v19, v0 :: v_dual_mov_b32 v18, v9
	s_cbranch_vccnz .LBB6_153
; %bb.138:                              ;   in Loop: Header=BB6_59 Depth=2
	v_ashrrev_i32_e32 v2, 31, v9
	s_mov_b32 s13, exec_lo
	s_delay_alu instid0(VALU_DEP_1) | instskip(NEXT) | instid1(VALU_DEP_1)
	v_lshrrev_b32_e32 v2, 20, v2
	v_add_nc_u32_e32 v2, v9, v2
	s_delay_alu instid0(VALU_DEP_1) | instskip(NEXT) | instid1(VALU_DEP_1)
	v_ashrrev_i32_e32 v2, 12, v2
	v_sub_nc_u32_e32 v20, v2, v130
	s_delay_alu instid0(VALU_DEP_1)
	v_cmpx_lt_i32_e32 0, v20
	s_cbranch_execz .LBB6_143
; %bb.139:                              ;   in Loop: Header=BB6_59 Depth=2
	s_cbranch_execz .LBB6_140
; %bb.17250:
	s_getpc_b64 s[48:49]
.Lpost_getpc296:
	s_add_u32 s48, s48, (.LBB6_16798-.Lpost_getpc296)&4294967295
	s_addc_u32 s49, s49, (.LBB6_16798-.Lpost_getpc296)>>32
	s_setpc_b64 s[48:49]
.LBB6_140:                              ;   in Loop: Header=BB6_59 Depth=2
	ds_load_b64 v[12:13], v0
	s_mov_b32 s14, 0
	s_waitcnt lgkmcnt(0)
	v_dual_mov_b32 v15, v13 :: v_dual_mov_b32 v14, v12
.LBB6_141:                              ;   Parent Loop BB6_51 Depth=1
                                        ;     Parent Loop BB6_59 Depth=2
                                        ; =>    This Inner Loop Header: Depth=3
	s_delay_alu instid0(VALU_DEP_1) | instskip(NEXT) | instid1(VALU_DEP_2)
	v_add_co_u32 v18, vcc_lo, v133, v14
	v_add_co_ci_u32_e32 v19, vcc_lo, v135, v15, vcc_lo
	v_sub_nc_u32_e32 v20, v20, v129
	s_clause 0x7
	global_load_b128 v[21:24], v[18:19], off slc dlc
	global_load_b128 v[32:35], v[18:19], off offset:512 slc dlc
	global_load_b128 v[36:39], v[18:19], off offset:1024 slc dlc
	;; [unrolled: 1-line block ×7, first 2 shown]
	v_add_co_u32 v18, vcc_lo, v133, v12
	v_add_co_ci_u32_e32 v19, vcc_lo, v135, v13, vcc_lo
	v_add_co_u32 v14, vcc_lo, v14, v144
	v_add_co_ci_u32_e32 v15, vcc_lo, v15, v145, vcc_lo
	;; [unrolled: 2-line block ×3, first 2 shown]
	v_cmp_gt_i32_e32 vcc_lo, 1, v20
	s_waitcnt vmcnt(7)
	global_store_b128 v[18:19], v[21:24], off glc slc dlc
	s_waitcnt vmcnt(6)
	global_store_b128 v[18:19], v[32:35], off offset:512 glc slc dlc
	s_waitcnt vmcnt(5)
	global_store_b128 v[18:19], v[36:39], off offset:1024 glc slc dlc
	;; [unrolled: 2-line block ×7, first 2 shown]
	s_or_b32 s14, vcc_lo, s14
	s_delay_alu instid0(SALU_CYCLE_1)
	s_and_not1_b32 exec_lo, exec_lo, s14
	s_cbranch_execnz .LBB6_141
; %bb.142:                              ;   in Loop: Header=BB6_59 Depth=2
	s_or_b32 exec_lo, exec_lo, s14
.LBB6_143:                              ;   in Loop: Header=BB6_59 Depth=2
	s_delay_alu instid0(SALU_CYCLE_1) | instskip(SKIP_4) | instid1(VALU_DEP_2)
	s_or_b32 exec_lo, exec_lo, s13
	v_lshlrev_b32_e32 v14, 12, v2
	v_mov_b32_e32 v2, 0
	s_mov_b32 s13, 0
	s_mov_b32 s38, exec_lo
                                        ; implicit-def: $vgpr18
                                        ; implicit-def: $vgpr19
                                        ; implicit-def: $vgpr22
	v_cmpx_ne_u32_e64 v9, v14
	s_cbranch_execz .LBB6_152
; %bb.144:                              ;   in Loop: Header=BB6_59 Depth=2
	v_lshlrev_b32_e32 v2, 5, v20
	v_sub_nc_u32_e32 v13, v9, v14
	s_mov_b32 s39, exec_lo
	s_delay_alu instid0(VALU_DEP_2) | instskip(NEXT) | instid1(VALU_DEP_2)
	v_sub_nc_u32_e32 v2, v131, v2
	v_ashrrev_i32_e32 v15, 31, v13
	s_delay_alu instid0(VALU_DEP_2) | instskip(NEXT) | instid1(VALU_DEP_2)
	v_ashrrev_i32_e32 v12, 31, v2
	v_lshrrev_b32_e32 v15, 23, v15
	s_delay_alu instid0(VALU_DEP_2) | instskip(NEXT) | instid1(VALU_DEP_2)
	v_lshrrev_b32_e32 v12, 27, v12
	v_add_nc_u32_e32 v19, v13, v15
	s_delay_alu instid0(VALU_DEP_2) | instskip(NEXT) | instid1(VALU_DEP_2)
	v_add_nc_u32_e32 v12, v2, v12
	v_and_b32_e32 v15, 0xfffffe00, v19
	v_ashrrev_i32_e32 v19, 9, v19
	s_delay_alu instid0(VALU_DEP_3) | instskip(NEXT) | instid1(VALU_DEP_3)
	v_and_b32_e32 v18, 0xffffffe0, v12
	v_sub_nc_u32_e32 v21, v13, v15
	v_ashrrev_i32_e32 v12, 5, v12
	s_delay_alu instid0(VALU_DEP_3) | instskip(NEXT) | instid1(VALU_DEP_3)
	v_sub_nc_u32_e32 v20, v2, v18
	v_cmp_lt_i32_e32 vcc_lo, 15, v21
	s_delay_alu instid0(VALU_DEP_2) | instskip(SKIP_1) | instid1(VALU_DEP_2)
	v_lshlrev_b32_e32 v2, 4, v20
	v_add_co_ci_u32_e64 v19, s13, 0, v19, vcc_lo
	v_lshl_add_u32 v18, v12, 9, v2
	s_delay_alu instid0(VALU_DEP_2) | instskip(NEXT) | instid1(VALU_DEP_2)
	v_sub_nc_u32_e32 v23, v19, v12
	v_sub_nc_u32_e32 v2, v13, v18
	s_delay_alu instid0(VALU_DEP_1)
	v_cmpx_lt_i32_e32 15, v2
	s_cbranch_execz .LBB6_149
; %bb.145:                              ;   in Loop: Header=BB6_59 Depth=2
	s_cbranch_execz .LBB6_146
; %bb.17252:
	s_getpc_b64 s[48:49]
.Lpost_getpc297:
	s_add_u32 s48, s48, (.LBB6_16864-.Lpost_getpc297)&4294967295
	s_addc_u32 s49, s49, (.LBB6_16864-.Lpost_getpc297)>>32
	s_setpc_b64 s[48:49]
.LBB6_146:                              ;   in Loop: Header=BB6_59 Depth=2
	ds_load_b64 v[12:13], v0
	v_add_nc_u32_e32 v18, v18, v14
	s_mov_b32 s40, 0
	s_delay_alu instid0(VALU_DEP_1)
	v_ashrrev_i32_e32 v19, 31, v18
.LBB6_147:                              ;   Parent Loop BB6_51 Depth=1
                                        ;     Parent Loop BB6_59 Depth=2
                                        ; =>    This Inner Loop Header: Depth=3
	s_waitcnt lgkmcnt(0)
	v_add_co_u32 v32, s13, v12, v18
	s_delay_alu instid0(VALU_DEP_1)
	v_add_co_ci_u32_e64 v33, s13, v13, v19, s13
	v_sub_nc_u32_e32 v2, v2, v132
	v_add_co_u32 v18, s14, v18, v148
	global_load_b128 v[24:27], v[32:33], off slc dlc
	v_sub_nc_u32_e32 v23, v23, v129
	v_cmp_gt_i32_e64 s13, 16, v2
	v_add_co_ci_u32_e64 v19, s14, v19, v149, s14
	s_delay_alu instid0(VALU_DEP_2)
	s_or_b32 s40, s13, s40
	s_waitcnt vmcnt(0)
	global_store_b128 v[32:33], v[24:27], off glc slc dlc
	s_and_not1_b32 exec_lo, exec_lo, s40
	s_cbranch_execnz .LBB6_147
; %bb.148:                              ;   in Loop: Header=BB6_59 Depth=2
	s_or_b32 exec_lo, exec_lo, s40
.LBB6_149:                              ;   in Loop: Header=BB6_59 Depth=2
	s_delay_alu instid0(SALU_CYCLE_1) | instskip(SKIP_4) | instid1(VALU_DEP_2)
	s_or_b32 exec_lo, exec_lo, s39
	v_and_b32_e32 v12, 15, v9
	v_mov_b32_e32 v2, 0
	s_mov_b32 s14, 0
	s_mov_b32 s39, exec_lo
                                        ; implicit-def: $vgpr19
                                        ; implicit-def: $vgpr22
	v_cndmask_b32_e32 v18, v21, v12, vcc_lo
	s_delay_alu instid0(VALU_DEP_1)
	v_cmpx_ne_u32_e32 0, v18
; %bb.150:                              ;   in Loop: Header=BB6_59 Depth=2
	v_cmp_lt_i32_e64 s13, 0, v23
	v_sub_nc_u32_e32 v12, v21, v12
	s_mov_b32 s14, exec_lo
	s_delay_alu instid0(VALU_DEP_2) | instskip(NEXT) | instid1(VALU_DEP_1)
	v_cndmask_b32_e64 v2, 0, v129, s13
	v_sub_nc_u32_e32 v2, v2, v23
	s_delay_alu instid0(VALU_DEP_1) | instskip(NEXT) | instid1(VALU_DEP_1)
	v_lshl_add_u32 v19, v2, 5, v20
	v_ashrrev_i32_e32 v2, 31, v19
	s_delay_alu instid0(VALU_DEP_1) | instskip(NEXT) | instid1(VALU_DEP_1)
	v_lshrrev_b32_e32 v2, 27, v2
	v_dual_cndmask_b32 v12, 0, v12 :: v_dual_add_nc_u32 v13, v19, v2
	s_delay_alu instid0(VALU_DEP_1) | instskip(NEXT) | instid1(VALU_DEP_2)
	v_add3_u32 v2, v15, v14, v12
	v_ashrrev_i32_e32 v22, 5, v13
; %bb.151:                              ;   in Loop: Header=BB6_59 Depth=2
	s_or_b32 exec_lo, exec_lo, s39
	s_delay_alu instid0(SALU_CYCLE_1)
	s_and_b32 s13, s14, exec_lo
.LBB6_152:                              ;   in Loop: Header=BB6_59 Depth=2
	s_or_b32 exec_lo, exec_lo, s38
.LBB6_153:                              ;   in Loop: Header=BB6_59 Depth=2
	s_and_saveexec_b32 s14, s13
	s_cbranch_execz .LBB6_165
; %bb.154:                              ;   in Loop: Header=BB6_59 Depth=2
	s_delay_alu instid0(VALU_DEP_1) | instskip(SKIP_1) | instid1(VALU_DEP_1)
	v_ashrrev_i32_e32 v12, 31, v18
	s_mov_b32 s13, exec_lo
	v_lshrrev_b32_e32 v12, 22, v12
	s_delay_alu instid0(VALU_DEP_1) | instskip(NEXT) | instid1(VALU_DEP_1)
	v_add_nc_u32_e32 v12, v18, v12
	v_ashrrev_i32_e32 v21, 10, v12
	s_delay_alu instid0(VALU_DEP_1) | instskip(NEXT) | instid1(VALU_DEP_1)
	v_sub_nc_u32_e32 v20, v21, v22
	v_cmpx_lt_i32_e32 0, v20
	s_cbranch_execz .LBB6_159
; %bb.155:                              ;   in Loop: Header=BB6_59 Depth=2
	s_cbranch_execz .LBB6_156
; %bb.17254:
	s_getpc_b64 s[48:49]
.Lpost_getpc298:
	s_add_u32 s48, s48, (.LBB6_16792-.Lpost_getpc298)&4294967295
	s_addc_u32 s49, s49, (.LBB6_16792-.Lpost_getpc298)>>32
	s_setpc_b64 s[48:49]
.LBB6_156:                              ;   in Loop: Header=BB6_59 Depth=2
	v_ashrrev_i32_e32 v12, 31, v19
	s_mov_b32 s38, 0
	s_delay_alu instid0(VALU_DEP_1) | instskip(NEXT) | instid1(VALU_DEP_1)
	v_lshrrev_b32_e32 v12, 27, v12
	v_add_nc_u32_e32 v14, v19, v12
	ds_load_b64 v[12:13], v0
	v_lshlrev_b32_e32 v15, 10, v22
	v_and_b32_e32 v14, 0xffffffe0, v14
	s_delay_alu instid0(VALU_DEP_1) | instskip(NEXT) | instid1(VALU_DEP_1)
	v_sub_nc_u32_e32 v14, v19, v14
	v_add3_u32 v22, v2, v14, v15
	s_delay_alu instid0(VALU_DEP_1)
	v_ashrrev_i32_e32 v23, 31, v22
	s_waitcnt lgkmcnt(0)
	v_dual_mov_b32 v15, v13 :: v_dual_mov_b32 v14, v12
.LBB6_157:                              ;   Parent Loop BB6_51 Depth=1
                                        ;     Parent Loop BB6_59 Depth=2
                                        ; =>    This Inner Loop Header: Depth=3
	s_delay_alu instid0(VALU_DEP_1) | instskip(NEXT) | instid1(VALU_DEP_2)
	v_add_co_u32 v24, vcc_lo, v22, v14
	v_add_co_ci_u32_e32 v25, vcc_lo, v23, v15, vcc_lo
	v_sub_nc_u32_e32 v20, v20, v129
	s_clause 0x1f
	flat_load_u8 v26, v[24:25] slc dlc
	flat_load_u8 v27, v[24:25] offset:32 slc dlc
	flat_load_u8 v32, v[24:25] offset:64 slc dlc
	;; [unrolled: 1-line block ×31, first 2 shown]
	v_add_co_u32 v24, vcc_lo, v22, v12
	v_add_co_ci_u32_e32 v25, vcc_lo, v23, v13, vcc_lo
	v_add_co_u32 v14, vcc_lo, v14, v151
	v_add_co_ci_u32_e32 v15, vcc_lo, v15, v160, vcc_lo
	;; [unrolled: 2-line block ×3, first 2 shown]
	v_cmp_gt_i32_e32 vcc_lo, 1, v20
	s_waitcnt vmcnt(31) lgkmcnt(31)
	flat_store_b8 v[24:25], v26 glc slc dlc
	s_waitcnt vmcnt(30) lgkmcnt(31)
	flat_store_b8 v[24:25], v27 offset:32 glc slc dlc
	s_waitcnt vmcnt(29) lgkmcnt(31)
	flat_store_b8 v[24:25], v32 offset:64 glc slc dlc
	;; [unrolled: 2-line block ×31, first 2 shown]
	s_or_b32 s38, vcc_lo, s38
	s_delay_alu instid0(SALU_CYCLE_1)
	s_and_not1_b32 exec_lo, exec_lo, s38
	s_cbranch_execnz .LBB6_157
; %bb.158:                              ;   in Loop: Header=BB6_59 Depth=2
	s_or_b32 exec_lo, exec_lo, s38
.LBB6_159:                              ;   in Loop: Header=BB6_59 Depth=2
	s_delay_alu instid0(SALU_CYCLE_1) | instskip(SKIP_2) | instid1(VALU_DEP_1)
	s_or_b32 exec_lo, exec_lo, s13
	v_lshlrev_b32_e32 v12, 10, v21
	s_mov_b32 s38, exec_lo
	v_cmpx_ne_u32_e64 v18, v12
	s_cbranch_execz .LBB6_164
; %bb.160:                              ;   in Loop: Header=BB6_59 Depth=2
	v_ashrrev_i32_e32 v13, 31, v19
	v_lshlrev_b32_e32 v14, 5, v20
	s_delay_alu instid0(VALU_DEP_2) | instskip(NEXT) | instid1(VALU_DEP_1)
	v_lshrrev_b32_e32 v13, 27, v13
	v_add_nc_u32_e32 v13, v19, v13
	s_delay_alu instid0(VALU_DEP_1) | instskip(NEXT) | instid1(VALU_DEP_1)
	v_and_b32_e32 v13, 0xffffffe0, v13
	v_sub_nc_u32_e32 v13, v19, v13
	s_delay_alu instid0(VALU_DEP_1) | instskip(NEXT) | instid1(VALU_DEP_1)
	v_sub_nc_u32_e32 v13, v13, v14
	v_add_nc_u32_e32 v15, v12, v13
	s_delay_alu instid0(VALU_DEP_1) | instskip(NEXT) | instid1(VALU_DEP_1)
	v_sub_nc_u32_e32 v14, v18, v15
	v_cmp_lt_i32_e32 vcc_lo, 0, v14
	s_and_b32 exec_lo, exec_lo, vcc_lo
	s_cbranch_execz .LBB6_164
; %bb.161:                              ;   in Loop: Header=BB6_59 Depth=2
	s_cbranch_execz .LBB6_162
; %bb.17256:
	s_getpc_b64 s[48:49]
.Lpost_getpc299:
	s_add_u32 s48, s48, (.LBB6_16856-.Lpost_getpc299)&4294967295
	s_addc_u32 s49, s49, (.LBB6_16856-.Lpost_getpc299)>>32
	s_setpc_b64 s[48:49]
.LBB6_162:                              ;   in Loop: Header=BB6_59 Depth=2
	ds_load_b64 v[12:13], v0
	v_add_nc_u32_e32 v2, v15, v2
	s_mov_b32 s39, 0
	s_delay_alu instid0(VALU_DEP_1)
	v_ashrrev_i32_e32 v15, 31, v2
.LBB6_163:                              ;   Parent Loop BB6_51 Depth=1
                                        ;     Parent Loop BB6_59 Depth=2
                                        ; =>    This Inner Loop Header: Depth=3
	s_waitcnt lgkmcnt(0)
	v_add_co_u32 v18, vcc_lo, v12, v2
	s_delay_alu instid0(VALU_DEP_2)
	v_add_co_ci_u32_e32 v19, vcc_lo, v13, v15, vcc_lo
	v_sub_nc_u32_e32 v14, v14, v147
	v_add_co_u32 v2, s13, v2, v162
	flat_load_u8 v20, v[18:19] slc dlc
	v_add_co_ci_u32_e64 v15, s13, v15, v163, s13
	v_cmp_gt_i32_e32 vcc_lo, 1, v14
	s_or_b32 s39, vcc_lo, s39
	s_waitcnt vmcnt(0) lgkmcnt(0)
	flat_store_b8 v[18:19], v20 glc slc dlc
	s_and_not1_b32 exec_lo, exec_lo, s39
	s_cbranch_execnz .LBB6_163
.LBB6_164:                              ;   in Loop: Header=BB6_59 Depth=2
	s_or_b32 exec_lo, exec_lo, s38
.LBB6_165:                              ;   in Loop: Header=BB6_59 Depth=2
	s_delay_alu instid0(SALU_CYCLE_1)
	s_or_b32 exec_lo, exec_lo, s14
	s_mov_b32 s14, s35
	s_mov_b32 s35, s37
.LBB6_166:                              ;   in Loop: Header=BB6_59 Depth=2
	s_and_saveexec_b32 s13, s3
	s_cbranch_execz .LBB6_188
; %bb.167:                              ;   in Loop: Header=BB6_59 Depth=2
	s_and_saveexec_b32 vcc_lo, s4
	s_delay_alu instid0(SALU_CYCLE_1)
	s_xor_b32 s37, exec_lo, vcc_lo
	s_cbranch_execz .LBB6_185
; %bb.168:                              ;   in Loop: Header=BB6_59 Depth=2
	s_and_saveexec_b32 s38, s1
	s_cbranch_execz .LBB6_184
; %bb.169:                              ;   in Loop: Header=BB6_59 Depth=2
	s_mov_b32 s40, exec_lo
	s_mov_b32 s39, exec_lo
	v_mbcnt_lo_u32_b32 v2, s40, 0
	s_waitcnt lgkmcnt(0)
	s_waitcnt_vscnt null, 0x0
	buffer_gl1_inv
	buffer_gl0_inv
	v_cmpx_eq_u32_e32 0, v2
	s_cbranch_execz .LBB6_171
; %bb.170:                              ;   in Loop: Header=BB6_59 Depth=2
	s_bcnt1_i32_b32 vcc_lo, s40
	s_delay_alu instid0(SALU_CYCLE_1)
	v_mov_b32_e32 v2, vcc_lo
	ds_add_u64 v0, v[2:3]
	s_cbranch_execz .LBB6_171
; %bb.17258:
	s_getpc_b64 s[48:49]
.Lpost_getpc300:
	s_add_u32 s48, s48, (.LBB6_16830-.Lpost_getpc300)&4294967295
	s_addc_u32 s49, s49, (.LBB6_16830-.Lpost_getpc300)>>32
	s_setpc_b64 s[48:49]
.LBB6_171:                              ;   in Loop: Header=BB6_59 Depth=2
	s_or_b32 exec_lo, exec_lo, s39
	s_cbranch_execz .LBB6_172
; %bb.17260:
	s_getpc_b64 s[48:49]
.Lpost_getpc301:
	s_add_u32 s48, s48, (.LBB6_16806-.Lpost_getpc301)&4294967295
	s_addc_u32 s49, s49, (.LBB6_16806-.Lpost_getpc301)>>32
	s_setpc_b64 s[48:49]
.LBB6_172:                              ;   in Loop: Header=BB6_59 Depth=2
	ds_load_b64 v[12:13], v0
	v_add_co_u32 v80, vcc_lo, v80, v129
	v_add_co_ci_u32_e32 v81, vcc_lo, 0, v81, vcc_lo
	s_mov_b32 s39, exec_lo
	s_waitcnt lgkmcnt(0)
	s_delay_alu instid0(VALU_DEP_1)
	v_cmpx_lt_u64_e64 v[12:13], v[80:81]
	s_cbranch_execz .LBB6_183
; %bb.173:                              ;   in Loop: Header=BB6_59 Depth=2
	s_mov_b32 s40, 0
	s_mov_b32 s43, 0
                                        ; implicit-def: $sgpr41
                                        ; implicit-def: $sgpr42
	s_branch .LBB6_175
.LBB6_174:                              ;   in Loop: Header=BB6_175 Depth=3
	s_or_b32 exec_lo, exec_lo, s45
	s_delay_alu instid0(SALU_CYCLE_1) | instskip(NEXT) | instid1(SALU_CYCLE_1)
	s_and_b32 vcc_lo, exec_lo, vcc_lo
	s_or_b32 s40, vcc_lo, s40
	s_and_not1_b32 vcc_lo, s41, exec_lo
	s_and_b32 s41, s42, exec_lo
	s_delay_alu instid0(SALU_CYCLE_1)
	s_or_b32 s41, vcc_lo, s41
	s_and_not1_b32 exec_lo, exec_lo, s40
	s_cbranch_execz .LBB6_181
.LBB6_175:                              ;   Parent Loop BB6_51 Depth=1
                                        ;     Parent Loop BB6_59 Depth=2
                                        ; =>    This Inner Loop Header: Depth=3
	s_add_i32 s43, s43, 1
                                        ; implicit-def: $sgpr45
	s_delay_alu instid0(SALU_CYCLE_1) | instskip(SKIP_1) | instid1(SALU_CYCLE_1)
	s_cmpk_lg_i32 s43, 0x2710
	s_cselect_b32 s44, -1, 0
	s_and_b32 vcc_lo, exec_lo, s44
	s_cbranch_vccz .LBB6_179
.LBB6_176:                              ;   in Loop: Header=BB6_175 Depth=3
	s_and_not1_b32 s42, s42, exec_lo
	s_and_b32 s45, s45, exec_lo
	s_mov_b32 vcc_lo, -1
	s_or_b32 s42, s42, s45
	s_and_saveexec_b32 s45, s44
	s_cbranch_execz .LBB6_174
; %bb.177:                              ;   in Loop: Header=BB6_175 Depth=3
	s_sleep 1
	s_cbranch_execz .LBB6_178
; %bb.17262:
	s_getpc_b64 s[48:49]
.Lpost_getpc302:
	s_add_u32 s48, s48, (.LBB6_16882-.Lpost_getpc302)&4294967295
	s_addc_u32 s49, s49, (.LBB6_16882-.Lpost_getpc302)>>32
	s_setpc_b64 s[48:49]
.LBB6_178:                              ;   in Loop: Header=BB6_175 Depth=3
	ds_load_b64 v[12:13], v0
	s_and_not1_b32 s42, s42, exec_lo
	s_waitcnt lgkmcnt(0)
	v_cmp_ge_u64_e32 vcc_lo, v[12:13], v[80:81]
	s_or_not1_b32 vcc_lo, vcc_lo, exec_lo
	s_branch .LBB6_174
.LBB6_179:                              ;   in Loop: Header=BB6_175 Depth=3
	s_cbranch_execz .LBB6_180
; %bb.17264:
	s_getpc_b64 s[48:49]
.Lpost_getpc303:
	s_add_u32 s48, s48, (.LBB6_16892-.Lpost_getpc303)&4294967295
	s_addc_u32 s49, s49, (.LBB6_16892-.Lpost_getpc303)>>32
	s_setpc_b64 s[48:49]
.LBB6_180:                              ;   in Loop: Header=BB6_175 Depth=3
	ds_load_b64 v[12:13], v0
	s_and_not1_b32 s44, s44, exec_lo
	s_mov_b32 s43, 0
	s_mov_b32 s45, -1
	s_waitcnt lgkmcnt(0)
	flat_load_b32 v2, v[12:13] glc
	s_waitcnt vmcnt(0) lgkmcnt(0)
	buffer_gl1_inv
	buffer_gl0_inv
	v_cmp_eq_u32_e32 vcc_lo, 0, v2
	s_and_b32 vcc_lo, vcc_lo, exec_lo
	s_delay_alu instid0(SALU_CYCLE_1)
	s_or_b32 s44, s44, vcc_lo
	s_branch .LBB6_176
.LBB6_181:                              ;   in Loop: Header=BB6_59 Depth=2
	s_or_b32 exec_lo, exec_lo, s40
	s_and_saveexec_b32 vcc_lo, s41
	s_delay_alu instid0(SALU_CYCLE_1)
	s_xor_b32 vcc_lo, exec_lo, vcc_lo
	s_cbranch_execz .LBB6_183
; %bb.182:                              ;   in Loop: Header=BB6_59 Depth=2
	ds_store_b32 v0, v176
	s_cbranch_execz .LBB6_183
; %bb.17266:
	s_getpc_b64 s[48:49]
.Lpost_getpc304:
	s_add_u32 s48, s48, (.LBB6_17106-.Lpost_getpc304)&4294967295
	s_addc_u32 s49, s49, (.LBB6_17106-.Lpost_getpc304)>>32
	s_setpc_b64 s[48:49]
.LBB6_183:                              ;   in Loop: Header=BB6_59 Depth=2
	s_or_b32 exec_lo, exec_lo, s39
	;;#ASMSTART
	s_wakeup
	;;#ASMEND
.LBB6_184:                              ;   in Loop: Header=BB6_59 Depth=2
	s_or_b32 exec_lo, exec_lo, s38
.LBB6_185:                              ;   in Loop: Header=BB6_59 Depth=2
	s_and_not1_saveexec_b32 vcc_lo, s37
	s_cbranch_execz .LBB6_187
; %bb.186:                              ;   in Loop: Header=BB6_59 Depth=2
	s_waitcnt lgkmcnt(0)
	s_waitcnt_vscnt null, 0x0
	buffer_gl1_inv
	buffer_gl0_inv
	s_barrier
.LBB6_187:                              ;   in Loop: Header=BB6_59 Depth=2
	s_or_b32 exec_lo, exec_lo, vcc_lo
.LBB6_188:                              ;   in Loop: Header=BB6_59 Depth=2
	s_delay_alu instid0(SALU_CYCLE_1) | instskip(SKIP_1) | instid1(SALU_CYCLE_1)
	s_or_b32 exec_lo, exec_lo, s13
                                        ; implicit-def: $vgpr2
	s_and_saveexec_b32 s13, s7
	s_xor_b32 s37, exec_lo, s13
	s_cbranch_execz .LBB6_192
; %bb.189:                              ;   in Loop: Header=BB6_59 Depth=2
	v_and_b32_e32 v2, 16, v30
	v_cmp_lt_i32_e32 vcc_lo, 0, v9
	s_delay_alu instid0(VALU_DEP_2) | instskip(SKIP_1) | instid1(VALU_DEP_2)
	v_cmp_ne_u32_e64 s13, 0, v2
	v_and_b32_e32 v2, 16, v30
	s_and_b32 vcc_lo, s13, vcc_lo
	s_delay_alu instid0(SALU_CYCLE_1)
	s_and_saveexec_b32 s13, vcc_lo
	s_cbranch_execz .LBB6_191
; %bb.190:                              ;   in Loop: Header=BB6_59 Depth=2
	v_mov_b32_e32 v2, 1
	s_waitcnt lgkmcnt(0)
	s_waitcnt_vscnt null, 0x0
	buffer_gl1_inv
	buffer_gl0_inv
.LBB6_191:                              ;   in Loop: Header=BB6_59 Depth=2
	s_or_b32 exec_lo, exec_lo, s13
.LBB6_192:                              ;   in Loop: Header=BB6_59 Depth=2
	s_and_not1_saveexec_b32 s13, s37
	s_cbranch_execz .LBB6_214
; %bb.193:                              ;   in Loop: Header=BB6_59 Depth=2
	s_and_saveexec_b32 vcc_lo, s4
	s_delay_alu instid0(SALU_CYCLE_1)
	s_xor_b32 s37, exec_lo, vcc_lo
	s_cbranch_execz .LBB6_211
; %bb.194:                              ;   in Loop: Header=BB6_59 Depth=2
	s_and_saveexec_b32 s38, s1
	s_cbranch_execz .LBB6_210
; %bb.195:                              ;   in Loop: Header=BB6_59 Depth=2
	s_mov_b32 s40, exec_lo
	s_mov_b32 s39, exec_lo
	v_mbcnt_lo_u32_b32 v2, s40, 0
	;;#ASMSTART
	s_waitcnt lgkmcnt(0) vmcnt(0)
	;;#ASMEND
	s_delay_alu instid0(VALU_DEP_1)
	v_cmpx_eq_u32_e32 0, v2
	s_cbranch_execz .LBB6_197
; %bb.196:                              ;   in Loop: Header=BB6_59 Depth=2
	s_bcnt1_i32_b32 vcc_lo, s40
	s_delay_alu instid0(SALU_CYCLE_1)
	v_mov_b32_e32 v2, vcc_lo
	ds_add_u64 v0, v[2:3]
	s_cbranch_execz .LBB6_197
; %bb.17268:
	s_getpc_b64 s[48:49]
.Lpost_getpc305:
	s_add_u32 s48, s48, (.LBB6_16838-.Lpost_getpc305)&4294967295
	s_addc_u32 s49, s49, (.LBB6_16838-.Lpost_getpc305)>>32
	s_setpc_b64 s[48:49]
.LBB6_197:                              ;   in Loop: Header=BB6_59 Depth=2
	s_or_b32 exec_lo, exec_lo, s39
	s_cbranch_execz .LBB6_198
; %bb.17270:
	s_getpc_b64 s[48:49]
.Lpost_getpc306:
	s_add_u32 s48, s48, (.LBB6_16812-.Lpost_getpc306)&4294967295
	s_addc_u32 s49, s49, (.LBB6_16812-.Lpost_getpc306)>>32
	s_setpc_b64 s[48:49]
.LBB6_198:                              ;   in Loop: Header=BB6_59 Depth=2
	ds_load_b64 v[12:13], v0
	v_add_co_u32 v80, vcc_lo, v80, v129
	v_add_co_ci_u32_e32 v81, vcc_lo, 0, v81, vcc_lo
	s_mov_b32 s39, exec_lo
	s_waitcnt lgkmcnt(0)
	s_delay_alu instid0(VALU_DEP_1)
	v_cmpx_lt_u64_e64 v[12:13], v[80:81]
	s_cbranch_execz .LBB6_209
; %bb.199:                              ;   in Loop: Header=BB6_59 Depth=2
	s_mov_b32 s40, 0
	s_mov_b32 s43, 0
                                        ; implicit-def: $sgpr41
                                        ; implicit-def: $sgpr42
	s_branch .LBB6_201
.LBB6_200:                              ;   in Loop: Header=BB6_201 Depth=3
	s_or_b32 exec_lo, exec_lo, s45
	s_delay_alu instid0(SALU_CYCLE_1) | instskip(NEXT) | instid1(SALU_CYCLE_1)
	s_and_b32 vcc_lo, exec_lo, vcc_lo
	s_or_b32 s40, vcc_lo, s40
	s_and_not1_b32 vcc_lo, s41, exec_lo
	s_and_b32 s41, s42, exec_lo
	s_delay_alu instid0(SALU_CYCLE_1)
	s_or_b32 s41, vcc_lo, s41
	s_and_not1_b32 exec_lo, exec_lo, s40
	s_cbranch_execz .LBB6_207
.LBB6_201:                              ;   Parent Loop BB6_51 Depth=1
                                        ;     Parent Loop BB6_59 Depth=2
                                        ; =>    This Inner Loop Header: Depth=3
	s_add_i32 s43, s43, 1
                                        ; implicit-def: $sgpr45
	s_delay_alu instid0(SALU_CYCLE_1) | instskip(SKIP_1) | instid1(SALU_CYCLE_1)
	s_cmpk_lg_i32 s43, 0x2710
	s_cselect_b32 s44, -1, 0
	s_and_b32 vcc_lo, exec_lo, s44
	s_cbranch_vccz .LBB6_205
.LBB6_202:                              ;   in Loop: Header=BB6_201 Depth=3
	s_and_not1_b32 s42, s42, exec_lo
	s_and_b32 s45, s45, exec_lo
	s_mov_b32 vcc_lo, -1
	s_or_b32 s42, s42, s45
	s_and_saveexec_b32 s45, s44
	s_cbranch_execz .LBB6_200
; %bb.203:                              ;   in Loop: Header=BB6_201 Depth=3
	s_sleep 1
	s_cbranch_execz .LBB6_204
; %bb.17272:
	s_getpc_b64 s[48:49]
.Lpost_getpc307:
	s_add_u32 s48, s48, (.LBB6_16886-.Lpost_getpc307)&4294967295
	s_addc_u32 s49, s49, (.LBB6_16886-.Lpost_getpc307)>>32
	s_setpc_b64 s[48:49]
.LBB6_204:                              ;   in Loop: Header=BB6_201 Depth=3
	ds_load_b64 v[12:13], v0
	s_and_not1_b32 s42, s42, exec_lo
	s_waitcnt lgkmcnt(0)
	v_cmp_ge_u64_e32 vcc_lo, v[12:13], v[80:81]
	s_or_not1_b32 vcc_lo, vcc_lo, exec_lo
	s_branch .LBB6_200
.LBB6_205:                              ;   in Loop: Header=BB6_201 Depth=3
	s_cbranch_execz .LBB6_206
; %bb.17274:
	s_getpc_b64 s[48:49]
.Lpost_getpc308:
	s_add_u32 s48, s48, (.LBB6_16904-.Lpost_getpc308)&4294967295
	s_addc_u32 s49, s49, (.LBB6_16904-.Lpost_getpc308)>>32
	s_setpc_b64 s[48:49]
.LBB6_206:                              ;   in Loop: Header=BB6_201 Depth=3
	ds_load_b64 v[12:13], v0
	s_and_not1_b32 s44, s44, exec_lo
	s_mov_b32 s43, 0
	s_mov_b32 s45, -1
	s_waitcnt lgkmcnt(0)
	s_waitcnt_vscnt null, 0x0
	flat_load_b32 v2, v[12:13] glc
	s_waitcnt vmcnt(0) lgkmcnt(0)
	buffer_gl1_inv
	buffer_gl0_inv
	v_cmp_eq_u32_e32 vcc_lo, 0, v2
	s_and_b32 vcc_lo, vcc_lo, exec_lo
	s_delay_alu instid0(SALU_CYCLE_1)
	s_or_b32 s44, s44, vcc_lo
	s_branch .LBB6_202
.LBB6_207:                              ;   in Loop: Header=BB6_59 Depth=2
	s_or_b32 exec_lo, exec_lo, s40
	s_and_saveexec_b32 vcc_lo, s41
	s_delay_alu instid0(SALU_CYCLE_1)
	s_xor_b32 vcc_lo, exec_lo, vcc_lo
	s_cbranch_execz .LBB6_209
; %bb.208:                              ;   in Loop: Header=BB6_59 Depth=2
	ds_store_b32 v0, v176
	s_cbranch_execz .LBB6_209
; %bb.17276:
	s_getpc_b64 s[48:49]
.Lpost_getpc309:
	s_add_u32 s48, s48, (.LBB6_17110-.Lpost_getpc309)&4294967295
	s_addc_u32 s49, s49, (.LBB6_17110-.Lpost_getpc309)>>32
	s_setpc_b64 s[48:49]
.LBB6_209:                              ;   in Loop: Header=BB6_59 Depth=2
	s_or_b32 exec_lo, exec_lo, s39
	;;#ASMSTART
	s_wakeup
	;;#ASMEND
.LBB6_210:                              ;   in Loop: Header=BB6_59 Depth=2
	s_or_b32 exec_lo, exec_lo, s38
.LBB6_211:                              ;   in Loop: Header=BB6_59 Depth=2
	s_and_not1_saveexec_b32 vcc_lo, s37
	s_cbranch_execz .LBB6_213
; %bb.212:                              ;   in Loop: Header=BB6_59 Depth=2
	;;#ASMSTART
	s_waitcnt lgkmcnt(0) vmcnt(0)
	;;#ASMEND
	s_waitcnt lgkmcnt(0)
	s_waitcnt_vscnt null, 0x0
	s_barrier
.LBB6_213:                              ;   in Loop: Header=BB6_59 Depth=2
	s_or_b32 exec_lo, exec_lo, vcc_lo
	v_and_b32_e32 v2, 16, v30
.LBB6_214:                              ;   in Loop: Header=BB6_59 Depth=2
	s_or_b32 exec_lo, exec_lo, s13
	s_delay_alu instid0(SALU_CYCLE_1) | instskip(NEXT) | instid1(VALU_DEP_1)
	s_mov_b32 s13, exec_lo
	v_cmpx_ne_u32_e32 0, v2
	s_cbranch_execz .LBB6_218
; %bb.215:                              ;   in Loop: Header=BB6_59 Depth=2
	s_and_saveexec_b32 vcc_lo, s11
	s_cbranch_execz .LBB6_217
; %bb.216:                              ;   in Loop: Header=BB6_59 Depth=2
	s_waitcnt lgkmcnt(0)
	s_waitcnt_vscnt null, 0x0
	flat_store_b32 v[70:71], v176
.LBB6_217:                              ;   in Loop: Header=BB6_59 Depth=2
	s_or_b32 exec_lo, exec_lo, vcc_lo
	v_add_co_u32 v66, vcc_lo, v66, 2
	v_add_co_ci_u32_e32 v67, vcc_lo, 0, v67, vcc_lo
	s_waitcnt lgkmcnt(0)
	s_waitcnt_vscnt null, 0x0
	flat_store_b64 v[64:65], v[66:67]
.LBB6_218:                              ;   in Loop: Header=BB6_59 Depth=2
	s_or_b32 exec_lo, exec_lo, s13
	v_dual_mov_b32 v2, s30 :: v_dual_add_nc_u32 v17, v8, v17
	s_xor_b32 s13, s17, -1
	s_mov_b32 s17, 0
	s_mov_b32 s30, 2
	s_delay_alu instid0(VALU_DEP_1) | instskip(SKIP_1) | instid1(SALU_CYCLE_1)
	v_cmp_ge_i32_e32 vcc_lo, v17, v16
	s_or_b32 s13, s13, vcc_lo
	s_and_b32 s13, exec_lo, s13
	s_delay_alu instid0(SALU_CYCLE_1) | instskip(NEXT) | instid1(SALU_CYCLE_1)
	s_or_b32 s16, s13, s16
	s_and_not1_b32 exec_lo, exec_lo, s16
	s_cbranch_execnz .LBB6_59
; %bb.219:                              ;   in Loop: Header=BB6_51 Depth=1
	s_or_b32 exec_lo, exec_lo, s16
.LBB6_220:                              ;   in Loop: Header=BB6_51 Depth=1
	s_delay_alu instid0(SALU_CYCLE_1) | instskip(NEXT) | instid1(SALU_CYCLE_1)
	s_or_b32 exec_lo, exec_lo, s15
	s_mov_b32 s15, exec_lo
	v_cmpx_gt_i32_e32 2, v2
	s_cbranch_execz .LBB6_301
; %bb.221:                              ;   in Loop: Header=BB6_51 Depth=1
	v_cmp_eq_u32_e64 s13, 0, v2
	s_mov_b32 s16, 0
.LBB6_222:                              ;   Parent Loop BB6_51 Depth=1
                                        ; =>  This Loop Header: Depth=2
                                        ;       Child Loop BB6_228 Depth 3
                                        ;       Child Loop BB6_255 Depth 3
	;; [unrolled: 1-line block ×3, first 2 shown]
	v_and_b32_e32 v2, 8, v30
	s_mov_b32 s30, -1
	s_mov_b32 s17, exec_lo
	s_delay_alu instid0(VALU_DEP_1)
	v_cmpx_ne_u32_e32 0, v2
	s_cbranch_execz .LBB6_236
; %bb.223:                              ;   in Loop: Header=BB6_222 Depth=2
	v_add_co_u32 v11, vcc_lo, v82, 8
	v_add_co_ci_u32_e32 v12, vcc_lo, 0, v83, vcc_lo
	v_add_co_u32 v9, vcc_lo, v66, 2
	v_add_co_ci_u32_e32 v10, vcc_lo, 0, v67, vcc_lo
	v_mov_b32_e32 v2, 1
	s_mov_b32 s30, exec_lo
	s_delay_alu instid0(VALU_DEP_2)
	v_cmpx_lt_u64_e64 v[11:12], v[9:10]
	s_cbranch_execz .LBB6_235
; %bb.224:                              ;   in Loop: Header=BB6_222 Depth=2
	v_mov_b32_e32 v2, 0
	s_mov_b32 s37, 0
                                        ; implicit-def: $sgpr38
	s_branch .LBB6_228
.LBB6_225:                              ;   in Loop: Header=BB6_228 Depth=3
	s_or_b32 exec_lo, exec_lo, s42
	v_mov_b32_e32 v11, 0
	s_or_not1_b32 s41, s41, exec_lo
.LBB6_226:                              ;   in Loop: Header=BB6_228 Depth=3
	s_or_b32 exec_lo, exec_lo, s40
	s_delay_alu instid0(VALU_DEP_1) | instskip(SKIP_2) | instid1(SALU_CYCLE_1)
	v_mov_b32_e32 v2, v11
	s_and_not1_b32 vcc_lo, s38, exec_lo
	s_and_b32 s38, s41, exec_lo
	s_or_b32 s38, vcc_lo, s38
.LBB6_227:                              ;   in Loop: Header=BB6_228 Depth=3
	s_or_b32 exec_lo, exec_lo, s39
	s_waitcnt vmcnt(0) lgkmcnt(0)
	v_add_co_u32 v11, vcc_lo, v82, 8
	v_add_co_ci_u32_e32 v12, vcc_lo, 0, v83, vcc_lo
	s_xor_b32 s39, s38, -1
	s_delay_alu instid0(VALU_DEP_1) | instskip(SKIP_1) | instid1(SALU_CYCLE_1)
	v_cmp_ge_u64_e32 vcc_lo, v[11:12], v[9:10]
	s_or_b32 vcc_lo, s39, vcc_lo
	s_and_b32 vcc_lo, exec_lo, vcc_lo
	s_delay_alu instid0(SALU_CYCLE_1) | instskip(NEXT) | instid1(SALU_CYCLE_1)
	s_or_b32 s37, vcc_lo, s37
	s_and_not1_b32 exec_lo, exec_lo, s37
	s_cbranch_execz .LBB6_234
.LBB6_228:                              ;   Parent Loop BB6_51 Depth=1
                                        ;     Parent Loop BB6_222 Depth=2
                                        ; =>    This Inner Loop Header: Depth=3
	s_sleep 1
	flat_load_b64 v[82:83], v[64:65] glc
	v_and_b32_e32 v11, 64, v30
	s_and_not1_b32 s38, s38, exec_lo
	s_mov_b32 s39, exec_lo
	s_delay_alu instid0(VALU_DEP_1)
	v_cmpx_eq_u32_e32 0, v11
	s_cbranch_execz .LBB6_227
; %bb.229:                              ;   in Loop: Header=BB6_228 Depth=3
	v_add_nc_u32_e32 v11, 1, v2
	s_mov_b32 s41, -1
	s_mov_b32 s40, exec_lo
	v_cmpx_lt_i32_e32 0x270e, v2
	s_cbranch_execz .LBB6_226
; %bb.230:                              ;   in Loop: Header=BB6_228 Depth=3
	s_cbranch_execz .LBB6_231
; %bb.17278:
	s_getpc_b64 s[48:49]
.Lpost_getpc310:
	s_add_u32 s48, s48, (.LBB6_16711-.Lpost_getpc310)&4294967295
	s_addc_u32 s49, s49, (.LBB6_16711-.Lpost_getpc310)>>32
	s_setpc_b64 s[48:49]
.LBB6_231:                              ;   in Loop: Header=BB6_228 Depth=3
	ds_load_b64 v[11:12], v0
	s_mov_b32 s42, exec_lo
	s_waitcnt vmcnt(0) lgkmcnt(0)
	s_waitcnt_vscnt null, 0x0
	flat_load_b32 v2, v[11:12] glc
	s_waitcnt vmcnt(0) lgkmcnt(0)
	buffer_gl1_inv
	buffer_gl0_inv
	v_cmpx_ne_u32_e32 0, v2
	s_cbranch_execz .LBB6_225
; %bb.232:                              ;   in Loop: Header=BB6_228 Depth=3
	ds_store_b32 v0, v2
	s_cbranch_execz .LBB6_233
; %bb.17280:
	s_getpc_b64 s[48:49]
.Lpost_getpc311:
	s_add_u32 s48, s48, (.LBB6_16723-.Lpost_getpc311)&4294967295
	s_addc_u32 s49, s49, (.LBB6_16723-.Lpost_getpc311)>>32
	s_setpc_b64 s[48:49]
.LBB6_233:                              ;   in Loop: Header=BB6_228 Depth=3
	v_or_b32_e32 v30, 64, v30
	s_xor_b32 s41, exec_lo, -1
	s_branch .LBB6_225
.LBB6_234:                              ;   in Loop: Header=BB6_222 Depth=2
	s_or_b32 exec_lo, exec_lo, s37
	v_and_b32_e32 v2, 8, v30
.LBB6_235:                              ;   in Loop: Header=BB6_222 Depth=2
	s_or_b32 exec_lo, exec_lo, s30
	s_delay_alu instid0(VALU_DEP_1)
	v_cmp_eq_u32_e32 vcc_lo, 0, v2
	;;#ASMSTART
	s_wakeup
	;;#ASMEND
	s_or_not1_b32 s30, vcc_lo, exec_lo
.LBB6_236:                              ;   in Loop: Header=BB6_222 Depth=2
	s_or_b32 exec_lo, exec_lo, s17
	v_sub_nc_u32_e32 v2, v16, v17
	s_xor_b32 s13, s13, -1
	s_delay_alu instid0(SALU_CYCLE_1) | instskip(NEXT) | instid1(SALU_CYCLE_1)
	s_and_b32 s13, exec_lo, s13
	s_or_b32 s16, s13, s16
	s_delay_alu instid0(VALU_DEP_1) | instskip(SKIP_1) | instid1(SALU_CYCLE_1)
	v_min_i32_e32 v8, v8, v2
	s_xor_b32 s13, s30, -1
	s_and_saveexec_b32 s17, s13
	s_cbranch_execz .LBB6_246
; %bb.237:                              ;   in Loop: Header=BB6_222 Depth=2
	v_and_b32_e32 v2, 0x100, v30
	s_mov_b32 s13, -1
                                        ; implicit-def: $vgpr9_vgpr10
	s_delay_alu instid0(VALU_DEP_1)
	v_cmp_ne_u32_e32 vcc_lo, 0, v2
	v_and_b32_e32 v2, 7, v66
	s_and_saveexec_b32 s30, vcc_lo
	s_cbranch_execz .LBB6_241
; %bb.238:                              ;   in Loop: Header=BB6_222 Depth=2
	s_delay_alu instid0(VALU_DEP_1)
	v_mad_u64_u32 v[11:12], null, v2, 24, v[6:7]
	v_ashrrev_i32_e32 v9, 31, v8
	flat_load_b32 v10, v[11:12]
	flat_store_b64 v[11:12], v[8:9] offset:8
	s_waitcnt vmcnt(0) lgkmcnt(1)
	v_cmp_ne_u32_e32 vcc_lo, 1, v10
	v_cmp_eq_u32_e64 s13, 1, v10
                                        ; implicit-def: $vgpr9_vgpr10
	s_delay_alu instid0(VALU_DEP_1)
	s_and_saveexec_b32 s37, s13
	s_cbranch_execz .LBB6_240
; %bb.239:                              ;   in Loop: Header=BB6_222 Depth=2
	flat_load_b32 v9, v[11:12] offset:4 glc
	s_waitcnt vmcnt(0) lgkmcnt(0)
	v_ashrrev_i32_e32 v10, 31, v9
.LBB6_240:                              ;   in Loop: Header=BB6_222 Depth=2
	s_or_b32 exec_lo, exec_lo, s37
	s_delay_alu instid0(SALU_CYCLE_1)
	s_or_not1_b32 s13, vcc_lo, exec_lo
.LBB6_241:                              ;   in Loop: Header=BB6_222 Depth=2
	s_or_b32 exec_lo, exec_lo, s30
	s_and_saveexec_b32 vcc_lo, s13
; %bb.242:                              ;   in Loop: Header=BB6_222 Depth=2
	v_mad_i64_i32 v[9:10], null, v2, v118, 0
; %bb.243:                              ;   in Loop: Header=BB6_222 Depth=2
	s_or_b32 exec_lo, exec_lo, vcc_lo
	s_delay_alu instid0(VALU_DEP_1) | instskip(SKIP_1) | instid1(VALU_DEP_3)
	v_add_co_u32 v9, vcc_lo, v68, v9
	v_and_b32_e32 v2, 0x2000, v30
	v_add_co_ci_u32_e32 v10, vcc_lo, v69, v10, vcc_lo
	s_mov_b32 s13, exec_lo
	ds_store_b64 v0, v[9:10] offset:784
	v_cmpx_ne_u32_e32 0, v2
	s_cbranch_execz .LBB6_245
; %bb.244:                              ;   in Loop: Header=BB6_222 Depth=2
	ds_load_b64 v[9:10], v0 offset:584
	s_waitcnt lgkmcnt(0)
	v_add_co_u32 v9, vcc_lo, v9, 1
	v_add_co_ci_u32_e32 v10, vcc_lo, 0, v10, vcc_lo
	ds_store_b64 v0, v[9:10] offset:584
.LBB6_245:                              ;   in Loop: Header=BB6_222 Depth=2
	s_or_b32 exec_lo, exec_lo, s13
	v_add_co_u32 v66, vcc_lo, v66, 2
	v_add_co_ci_u32_e32 v67, vcc_lo, 0, v67, vcc_lo
.LBB6_246:                              ;   in Loop: Header=BB6_222 Depth=2
	s_or_b32 exec_lo, exec_lo, s17
	s_and_saveexec_b32 s13, s3
	s_cbranch_execz .LBB6_268
; %bb.247:                              ;   in Loop: Header=BB6_222 Depth=2
	s_and_saveexec_b32 s17, s4
	s_delay_alu instid0(SALU_CYCLE_1)
	s_xor_b32 s17, exec_lo, s17
	s_cbranch_execz .LBB6_265
; %bb.248:                              ;   in Loop: Header=BB6_222 Depth=2
	s_and_saveexec_b32 s30, s1
	s_cbranch_execz .LBB6_264
; %bb.249:                              ;   in Loop: Header=BB6_222 Depth=2
	s_mov_b32 s38, exec_lo
	s_mov_b32 s37, exec_lo
	v_mbcnt_lo_u32_b32 v2, s38, 0
	s_waitcnt lgkmcnt(0)
	s_waitcnt_vscnt null, 0x0
	buffer_gl1_inv
	buffer_gl0_inv
	v_cmpx_eq_u32_e32 0, v2
	s_cbranch_execz .LBB6_251
; %bb.250:                              ;   in Loop: Header=BB6_222 Depth=2
	s_bcnt1_i32_b32 vcc_lo, s38
	s_delay_alu instid0(SALU_CYCLE_1)
	v_mov_b32_e32 v2, vcc_lo
	ds_add_u64 v0, v[2:3]
	s_cbranch_execz .LBB6_251
; %bb.17282:
	s_getpc_b64 s[48:49]
.Lpost_getpc312:
	s_add_u32 s48, s48, (.LBB6_16754-.Lpost_getpc312)&4294967295
	s_addc_u32 s49, s49, (.LBB6_16754-.Lpost_getpc312)>>32
	s_setpc_b64 s[48:49]
.LBB6_251:                              ;   in Loop: Header=BB6_222 Depth=2
	s_or_b32 exec_lo, exec_lo, s37
	s_cbranch_execz .LBB6_252
; %bb.17284:
	s_getpc_b64 s[48:49]
.Lpost_getpc313:
	s_add_u32 s48, s48, (.LBB6_16736-.Lpost_getpc313)&4294967295
	s_addc_u32 s49, s49, (.LBB6_16736-.Lpost_getpc313)>>32
	s_setpc_b64 s[48:49]
.LBB6_252:                              ;   in Loop: Header=BB6_222 Depth=2
	ds_load_b64 v[9:10], v0
	v_add_co_u32 v80, vcc_lo, v80, v129
	v_add_co_ci_u32_e32 v81, vcc_lo, 0, v81, vcc_lo
	s_mov_b32 s37, exec_lo
	s_waitcnt lgkmcnt(0)
	s_delay_alu instid0(VALU_DEP_1)
	v_cmpx_lt_u64_e64 v[9:10], v[80:81]
	s_cbranch_execz .LBB6_263
; %bb.253:                              ;   in Loop: Header=BB6_222 Depth=2
	s_mov_b32 s38, 0
	s_mov_b32 s41, 0
                                        ; implicit-def: $sgpr39
                                        ; implicit-def: $sgpr40
	s_branch .LBB6_255
.LBB6_254:                              ;   in Loop: Header=BB6_255 Depth=3
	s_or_b32 exec_lo, exec_lo, s43
	s_delay_alu instid0(SALU_CYCLE_1) | instskip(NEXT) | instid1(SALU_CYCLE_1)
	s_and_b32 vcc_lo, exec_lo, vcc_lo
	s_or_b32 s38, vcc_lo, s38
	s_and_not1_b32 vcc_lo, s39, exec_lo
	s_and_b32 s39, s40, exec_lo
	s_delay_alu instid0(SALU_CYCLE_1)
	s_or_b32 s39, vcc_lo, s39
	s_and_not1_b32 exec_lo, exec_lo, s38
	s_cbranch_execz .LBB6_261
.LBB6_255:                              ;   Parent Loop BB6_51 Depth=1
                                        ;     Parent Loop BB6_222 Depth=2
                                        ; =>    This Inner Loop Header: Depth=3
	s_add_i32 s41, s41, 1
                                        ; implicit-def: $sgpr43
	s_delay_alu instid0(SALU_CYCLE_1) | instskip(SKIP_1) | instid1(SALU_CYCLE_1)
	s_cmpk_lg_i32 s41, 0x2710
	s_cselect_b32 s42, -1, 0
	s_and_b32 vcc_lo, exec_lo, s42
	s_cbranch_vccz .LBB6_259
.LBB6_256:                              ;   in Loop: Header=BB6_255 Depth=3
	s_and_not1_b32 s40, s40, exec_lo
	s_and_b32 s43, s43, exec_lo
	s_mov_b32 vcc_lo, -1
	s_or_b32 s40, s40, s43
	s_and_saveexec_b32 s43, s42
	s_cbranch_execz .LBB6_254
; %bb.257:                              ;   in Loop: Header=BB6_255 Depth=3
	s_sleep 1
	s_cbranch_execz .LBB6_258
; %bb.17286:
	s_getpc_b64 s[48:49]
.Lpost_getpc314:
	s_add_u32 s48, s48, (.LBB6_16784-.Lpost_getpc314)&4294967295
	s_addc_u32 s49, s49, (.LBB6_16784-.Lpost_getpc314)>>32
	s_setpc_b64 s[48:49]
.LBB6_258:                              ;   in Loop: Header=BB6_255 Depth=3
	ds_load_b64 v[9:10], v0
	s_and_not1_b32 s40, s40, exec_lo
	s_waitcnt lgkmcnt(0)
	v_cmp_ge_u64_e32 vcc_lo, v[9:10], v[80:81]
	s_or_not1_b32 vcc_lo, vcc_lo, exec_lo
	s_branch .LBB6_254
.LBB6_259:                              ;   in Loop: Header=BB6_255 Depth=3
	s_cbranch_execz .LBB6_260
; %bb.17288:
	s_getpc_b64 s[48:49]
.Lpost_getpc315:
	s_add_u32 s48, s48, (.LBB6_16790-.Lpost_getpc315)&4294967295
	s_addc_u32 s49, s49, (.LBB6_16790-.Lpost_getpc315)>>32
	s_setpc_b64 s[48:49]
.LBB6_260:                              ;   in Loop: Header=BB6_255 Depth=3
	ds_load_b64 v[9:10], v0
	s_and_not1_b32 s42, s42, exec_lo
	s_mov_b32 s41, 0
	s_mov_b32 s43, -1
	s_waitcnt lgkmcnt(0)
	flat_load_b32 v2, v[9:10] glc
	s_waitcnt vmcnt(0) lgkmcnt(0)
	buffer_gl1_inv
	buffer_gl0_inv
	v_cmp_eq_u32_e32 vcc_lo, 0, v2
	s_and_b32 vcc_lo, vcc_lo, exec_lo
	s_delay_alu instid0(SALU_CYCLE_1)
	s_or_b32 s42, s42, vcc_lo
	s_branch .LBB6_256
.LBB6_261:                              ;   in Loop: Header=BB6_222 Depth=2
	s_or_b32 exec_lo, exec_lo, s38
	s_and_saveexec_b32 vcc_lo, s39
	s_delay_alu instid0(SALU_CYCLE_1)
	s_xor_b32 vcc_lo, exec_lo, vcc_lo
	s_cbranch_execz .LBB6_263
; %bb.262:                              ;   in Loop: Header=BB6_222 Depth=2
	ds_store_b32 v0, v176
	s_cbranch_execz .LBB6_263
; %bb.17290:
	s_getpc_b64 s[48:49]
.Lpost_getpc316:
	s_add_u32 s48, s48, (.LBB6_16998-.Lpost_getpc316)&4294967295
	s_addc_u32 s49, s49, (.LBB6_16998-.Lpost_getpc316)>>32
	s_setpc_b64 s[48:49]
.LBB6_263:                              ;   in Loop: Header=BB6_222 Depth=2
	s_or_b32 exec_lo, exec_lo, s37
	;;#ASMSTART
	s_wakeup
	;;#ASMEND
.LBB6_264:                              ;   in Loop: Header=BB6_222 Depth=2
	s_or_b32 exec_lo, exec_lo, s30
.LBB6_265:                              ;   in Loop: Header=BB6_222 Depth=2
	s_and_not1_saveexec_b32 s17, s17
	s_cbranch_execz .LBB6_267
; %bb.266:                              ;   in Loop: Header=BB6_222 Depth=2
	s_waitcnt lgkmcnt(0)
	s_waitcnt_vscnt null, 0x0
	buffer_gl1_inv
	buffer_gl0_inv
	s_barrier
.LBB6_267:                              ;   in Loop: Header=BB6_222 Depth=2
	s_or_b32 exec_lo, exec_lo, s17
.LBB6_268:                              ;   in Loop: Header=BB6_222 Depth=2
	s_delay_alu instid0(SALU_CYCLE_1) | instskip(SKIP_1) | instid1(SALU_CYCLE_1)
	s_or_b32 exec_lo, exec_lo, s13
                                        ; implicit-def: $vgpr2
	s_and_saveexec_b32 s13, s7
	s_xor_b32 s17, exec_lo, s13
	s_cbranch_execz .LBB6_273
; %bb.269:                              ;   in Loop: Header=BB6_222 Depth=2
	s_cbranch_execz .LBB6_270
; %bb.17292:
	s_getpc_b64 s[48:49]
.Lpost_getpc317:
	s_add_u32 s48, s48, (.LBB6_16709-.Lpost_getpc317)&4294967295
	s_addc_u32 s49, s49, (.LBB6_16709-.Lpost_getpc317)>>32
	s_setpc_b64 s[48:49]
.LBB6_270:                              ;   in Loop: Header=BB6_222 Depth=2
	ds_load_b32 v2, v0
	v_cmp_lt_i32_e32 vcc_lo, 0, v8
	s_waitcnt lgkmcnt(0)
	v_readfirstlane_b32 s13, v2
	v_and_b32_e32 v2, 16, v30
	s_delay_alu instid0(VALU_DEP_2) | instskip(NEXT) | instid1(VALU_DEP_1)
	s_cmp_eq_u32 s13, 0
	v_cmp_ne_u32_e64 s13, 0, v2
	s_cselect_b32 s30, -1, 0
	v_and_b32_e32 v2, 16, v30
	s_and_b32 vcc_lo, vcc_lo, s30
	s_delay_alu instid0(VALU_DEP_2) | instid1(SALU_CYCLE_1)
	s_and_b32 vcc_lo, s13, vcc_lo
	s_delay_alu instid0(SALU_CYCLE_1)
	s_and_saveexec_b32 s13, vcc_lo
	s_cbranch_execz .LBB6_272
; %bb.271:                              ;   in Loop: Header=BB6_222 Depth=2
	v_mov_b32_e32 v2, 1
	s_waitcnt_vscnt null, 0x0
	buffer_gl1_inv
	buffer_gl0_inv
.LBB6_272:                              ;   in Loop: Header=BB6_222 Depth=2
	s_or_b32 exec_lo, exec_lo, s13
.LBB6_273:                              ;   in Loop: Header=BB6_222 Depth=2
	s_and_not1_saveexec_b32 s13, s17
	s_cbranch_execz .LBB6_295
; %bb.274:                              ;   in Loop: Header=BB6_222 Depth=2
	s_and_saveexec_b32 s17, s4
	s_delay_alu instid0(SALU_CYCLE_1)
	s_xor_b32 s17, exec_lo, s17
	s_cbranch_execz .LBB6_292
; %bb.275:                              ;   in Loop: Header=BB6_222 Depth=2
	s_and_saveexec_b32 s30, s1
	s_cbranch_execz .LBB6_291
; %bb.276:                              ;   in Loop: Header=BB6_222 Depth=2
	s_mov_b32 s38, exec_lo
	s_mov_b32 s37, exec_lo
	v_mbcnt_lo_u32_b32 v2, s38, 0
	;;#ASMSTART
	s_waitcnt lgkmcnt(0) vmcnt(0)
	;;#ASMEND
	s_delay_alu instid0(VALU_DEP_1)
	v_cmpx_eq_u32_e32 0, v2
	s_cbranch_execz .LBB6_278
; %bb.277:                              ;   in Loop: Header=BB6_222 Depth=2
	s_bcnt1_i32_b32 vcc_lo, s38
	s_delay_alu instid0(SALU_CYCLE_1)
	v_mov_b32_e32 v2, vcc_lo
	ds_add_u64 v0, v[2:3]
	s_cbranch_execz .LBB6_278
; %bb.17294:
	s_getpc_b64 s[48:49]
.Lpost_getpc318:
	s_add_u32 s48, s48, (.LBB6_16772-.Lpost_getpc318)&4294967295
	s_addc_u32 s49, s49, (.LBB6_16772-.Lpost_getpc318)>>32
	s_setpc_b64 s[48:49]
.LBB6_278:                              ;   in Loop: Header=BB6_222 Depth=2
	s_or_b32 exec_lo, exec_lo, s37
	s_cbranch_execz .LBB6_279
; %bb.17296:
	s_getpc_b64 s[48:49]
.Lpost_getpc319:
	s_add_u32 s48, s48, (.LBB6_16750-.Lpost_getpc319)&4294967295
	s_addc_u32 s49, s49, (.LBB6_16750-.Lpost_getpc319)>>32
	s_setpc_b64 s[48:49]
.LBB6_279:                              ;   in Loop: Header=BB6_222 Depth=2
	ds_load_b64 v[9:10], v0
	v_add_co_u32 v80, vcc_lo, v80, v129
	v_add_co_ci_u32_e32 v81, vcc_lo, 0, v81, vcc_lo
	s_mov_b32 s37, exec_lo
	s_waitcnt lgkmcnt(0)
	s_delay_alu instid0(VALU_DEP_1)
	v_cmpx_lt_u64_e64 v[9:10], v[80:81]
	s_cbranch_execz .LBB6_290
; %bb.280:                              ;   in Loop: Header=BB6_222 Depth=2
	s_mov_b32 s38, 0
	s_mov_b32 s41, 0
                                        ; implicit-def: $sgpr39
                                        ; implicit-def: $sgpr40
	s_branch .LBB6_282
.LBB6_281:                              ;   in Loop: Header=BB6_282 Depth=3
	s_or_b32 exec_lo, exec_lo, s43
	s_delay_alu instid0(SALU_CYCLE_1) | instskip(NEXT) | instid1(SALU_CYCLE_1)
	s_and_b32 vcc_lo, exec_lo, vcc_lo
	s_or_b32 s38, vcc_lo, s38
	s_and_not1_b32 vcc_lo, s39, exec_lo
	s_and_b32 s39, s40, exec_lo
	s_delay_alu instid0(SALU_CYCLE_1)
	s_or_b32 s39, vcc_lo, s39
	s_and_not1_b32 exec_lo, exec_lo, s38
	s_cbranch_execz .LBB6_288
.LBB6_282:                              ;   Parent Loop BB6_51 Depth=1
                                        ;     Parent Loop BB6_222 Depth=2
                                        ; =>    This Inner Loop Header: Depth=3
	s_add_i32 s41, s41, 1
                                        ; implicit-def: $sgpr43
	s_delay_alu instid0(SALU_CYCLE_1) | instskip(SKIP_1) | instid1(SALU_CYCLE_1)
	s_cmpk_lg_i32 s41, 0x2710
	s_cselect_b32 s42, -1, 0
	s_and_b32 vcc_lo, exec_lo, s42
	s_cbranch_vccz .LBB6_286
.LBB6_283:                              ;   in Loop: Header=BB6_282 Depth=3
	s_and_not1_b32 s40, s40, exec_lo
	s_and_b32 s43, s43, exec_lo
	s_mov_b32 vcc_lo, -1
	s_or_b32 s40, s40, s43
	s_and_saveexec_b32 s43, s42
	s_cbranch_execz .LBB6_281
; %bb.284:                              ;   in Loop: Header=BB6_282 Depth=3
	s_sleep 1
	s_cbranch_execz .LBB6_285
; %bb.17298:
	s_getpc_b64 s[48:49]
.Lpost_getpc320:
	s_add_u32 s48, s48, (.LBB6_16796-.Lpost_getpc320)&4294967295
	s_addc_u32 s49, s49, (.LBB6_16796-.Lpost_getpc320)>>32
	s_setpc_b64 s[48:49]
.LBB6_285:                              ;   in Loop: Header=BB6_282 Depth=3
	ds_load_b64 v[9:10], v0
	s_and_not1_b32 s40, s40, exec_lo
	s_waitcnt lgkmcnt(0)
	v_cmp_ge_u64_e32 vcc_lo, v[9:10], v[80:81]
	s_or_not1_b32 vcc_lo, vcc_lo, exec_lo
	s_branch .LBB6_281
.LBB6_286:                              ;   in Loop: Header=BB6_282 Depth=3
	s_cbranch_execz .LBB6_287
; %bb.17300:
	s_getpc_b64 s[48:49]
.Lpost_getpc321:
	s_add_u32 s48, s48, (.LBB6_16808-.Lpost_getpc321)&4294967295
	s_addc_u32 s49, s49, (.LBB6_16808-.Lpost_getpc321)>>32
	s_setpc_b64 s[48:49]
.LBB6_287:                              ;   in Loop: Header=BB6_282 Depth=3
	ds_load_b64 v[9:10], v0
	s_and_not1_b32 s42, s42, exec_lo
	s_mov_b32 s41, 0
	s_mov_b32 s43, -1
	s_waitcnt lgkmcnt(0)
	s_waitcnt_vscnt null, 0x0
	flat_load_b32 v2, v[9:10] glc
	s_waitcnt vmcnt(0) lgkmcnt(0)
	buffer_gl1_inv
	buffer_gl0_inv
	v_cmp_eq_u32_e32 vcc_lo, 0, v2
	s_and_b32 vcc_lo, vcc_lo, exec_lo
	s_delay_alu instid0(SALU_CYCLE_1)
	s_or_b32 s42, s42, vcc_lo
	s_branch .LBB6_283
.LBB6_288:                              ;   in Loop: Header=BB6_222 Depth=2
	s_or_b32 exec_lo, exec_lo, s38
	s_and_saveexec_b32 vcc_lo, s39
	s_delay_alu instid0(SALU_CYCLE_1)
	s_xor_b32 vcc_lo, exec_lo, vcc_lo
	s_cbranch_execz .LBB6_290
; %bb.289:                              ;   in Loop: Header=BB6_222 Depth=2
	ds_store_b32 v0, v176
	s_cbranch_execz .LBB6_290
; %bb.17302:
	s_getpc_b64 s[48:49]
.Lpost_getpc322:
	s_add_u32 s48, s48, (.LBB6_17016-.Lpost_getpc322)&4294967295
	s_addc_u32 s49, s49, (.LBB6_17016-.Lpost_getpc322)>>32
	s_setpc_b64 s[48:49]
.LBB6_290:                              ;   in Loop: Header=BB6_222 Depth=2
	s_or_b32 exec_lo, exec_lo, s37
	;;#ASMSTART
	s_wakeup
	;;#ASMEND
.LBB6_291:                              ;   in Loop: Header=BB6_222 Depth=2
	s_or_b32 exec_lo, exec_lo, s30
.LBB6_292:                              ;   in Loop: Header=BB6_222 Depth=2
	s_and_not1_saveexec_b32 s17, s17
	s_cbranch_execz .LBB6_294
; %bb.293:                              ;   in Loop: Header=BB6_222 Depth=2
	;;#ASMSTART
	s_waitcnt lgkmcnt(0) vmcnt(0)
	;;#ASMEND
	s_waitcnt lgkmcnt(0)
	s_waitcnt_vscnt null, 0x0
	s_barrier
.LBB6_294:                              ;   in Loop: Header=BB6_222 Depth=2
	s_or_b32 exec_lo, exec_lo, s17
	v_and_b32_e32 v2, 16, v30
.LBB6_295:                              ;   in Loop: Header=BB6_222 Depth=2
	s_or_b32 exec_lo, exec_lo, s13
	s_delay_alu instid0(SALU_CYCLE_1) | instskip(NEXT) | instid1(VALU_DEP_1)
	s_mov_b32 s13, exec_lo
	v_cmpx_ne_u32_e32 0, v2
	s_cbranch_execz .LBB6_299
; %bb.296:                              ;   in Loop: Header=BB6_222 Depth=2
	s_and_saveexec_b32 s17, s11
	s_cbranch_execz .LBB6_298
; %bb.297:                              ;   in Loop: Header=BB6_222 Depth=2
	s_waitcnt lgkmcnt(0)
	s_waitcnt_vscnt null, 0x0
	flat_store_b32 v[70:71], v176
.LBB6_298:                              ;   in Loop: Header=BB6_222 Depth=2
	s_or_b32 exec_lo, exec_lo, s17
	v_add_co_u32 v66, vcc_lo, v66, 2
	v_add_co_ci_u32_e32 v67, vcc_lo, 0, v67, vcc_lo
	s_waitcnt lgkmcnt(0)
	s_waitcnt_vscnt null, 0x0
	flat_store_b64 v[64:65], v[66:67]
.LBB6_299:                              ;   in Loop: Header=BB6_222 Depth=2
	s_or_b32 exec_lo, exec_lo, s13
	v_add_nc_u32_e32 v17, v8, v17
	s_mov_b32 s13, 0
	s_and_not1_b32 exec_lo, exec_lo, s16
	s_cbranch_execnz .LBB6_222
; %bb.300:                              ;   in Loop: Header=BB6_51 Depth=1
	s_or_b32 exec_lo, exec_lo, s16
.LBB6_301:                              ;   in Loop: Header=BB6_51 Depth=1
	s_delay_alu instid0(SALU_CYCLE_1) | instskip(NEXT) | instid1(SALU_CYCLE_1)
	s_or_b32 exec_lo, exec_lo, s15
	s_and_not1_b32 vcc_lo, exec_lo, s29
                                        ; implicit-def: $vgpr122 : SGPR spill to VGPR lane
	s_cbranch_vccz .LBB6_302
; %bb.17304:                            ;   in Loop: Header=BB6_51 Depth=1
	s_getpc_b64 s[48:49]
.Lpost_getpc323:
	s_add_u32 s48, s48, (.LBB6_5642-.Lpost_getpc323)&4294967295
	s_addc_u32 s49, s49, (.LBB6_5642-.Lpost_getpc323)>>32
	s_setpc_b64 s[48:49]
.LBB6_302:                              ;   in Loop: Header=BB6_51 Depth=1
	s_mov_b32 s15, 2
.LBB6_303:                              ;   Parent Loop BB6_51 Depth=1
                                        ; =>  This Loop Header: Depth=2
                                        ;       Child Loop BB6_305 Depth 3
                                        ;         Child Loop BB6_314 Depth 4
                                        ;         Child Loop BB6_344 Depth 4
	;; [unrolled: 1-line block ×9, first 2 shown]
                                        ;       Child Loop BB6_5557 Depth 3
                                        ;         Child Loop BB6_5563 Depth 4
                                        ;         Child Loop BB6_5595 Depth 4
	;; [unrolled: 1-line block ×3, first 2 shown]
	s_delay_alu instid0(SALU_CYCLE_1) | instskip(SKIP_4) | instid1(SALU_CYCLE_1)
	s_sub_i32 s13, s25, s15
	v_mov_b32_e32 v180, 0
	s_cmp_le_i32 s19, s13
	s_mov_b32 s17, 0
	s_cselect_b32 s16, s19, 0
	s_sub_i32 s13, s13, s16
	s_delay_alu instid0(SALU_CYCLE_1) | instskip(SKIP_3) | instid1(VALU_DEP_1)
	s_ashr_i32 s16, s13, 31
	v_mul_lo_u32 v2, v97, s13
	v_mad_u64_u32 v[102:103], null, v96, s13, 0
	v_mul_lo_u32 v8, v96, s16
	v_add3_u32 v103, v103, v8, v2
	s_delay_alu instid0(VALU_DEP_3) | instskip(NEXT) | instid1(VALU_DEP_2)
	v_sub_co_u32 v8, vcc_lo, v98, v102
	v_sub_co_ci_u32_e32 v9, vcc_lo, v99, v103, vcc_lo
	s_delay_alu instid0(VALU_DEP_1) | instskip(SKIP_1) | instid1(VALU_DEP_1)
	v_cmp_lt_i64_e32 vcc_lo, v[96:97], v[8:9]
	v_cndmask_b32_e32 v8, v8, v96, vcc_lo
	v_max_i32_e32 v179, 0, v8
	s_delay_alu instid0(VALU_DEP_1) | instskip(NEXT) | instid1(VALU_DEP_1)
	v_add_nc_u32_e32 v2, 31, v179
	v_lshrrev_b32_e32 v2, 1, v2
	s_delay_alu instid0(VALU_DEP_1) | instskip(SKIP_2) | instid1(VALU_DEP_3)
	v_and_b32_e32 v9, 0x3ffffff0, v2
	v_cmp_lt_i32_e32 vcc_lo, 0, v8
	v_mov_b32_e32 v2, 0
	v_max_i32_e32 v100, s28, v9
	s_and_b32 s13, s14, vcc_lo
	s_delay_alu instid0(SALU_CYCLE_1)
	s_and_saveexec_b32 s16, s13
	s_cbranch_execnz .LBB6_304
; %bb.17306:                            ;   in Loop: Header=BB6_303 Depth=2
	s_getpc_b64 s[48:49]
.Lpost_getpc324:
	s_add_u32 s48, s48, (.LBB6_5555-.Lpost_getpc324)&4294967295
	s_addc_u32 s49, s49, (.LBB6_5555-.Lpost_getpc324)>>32
	s_setpc_b64 s[48:49]
.LBB6_304:                              ;   in Loop: Header=BB6_303 Depth=2
	v_mov_b32_e32 v180, 0
	s_mov_b32 s38, 1
	s_mov_b32 s37, -1
.LBB6_305:                              ;   Parent Loop BB6_51 Depth=1
                                        ;     Parent Loop BB6_303 Depth=2
                                        ; =>    This Loop Header: Depth=3
                                        ;         Child Loop BB6_314 Depth 4
                                        ;         Child Loop BB6_344 Depth 4
	;; [unrolled: 1-line block ×9, first 2 shown]
	s_and_saveexec_b32 s13, s0
	s_cbranch_execz .LBB6_308
; %bb.306:                              ;   in Loop: Header=BB6_305 Depth=3
	s_cbranch_execz .LBB6_307
; %bb.17308:
	s_getpc_b64 s[48:49]
.Lpost_getpc325:
	s_add_u32 s48, s48, (.LBB6_16719-.Lpost_getpc325)&4294967295
	s_addc_u32 s49, s49, (.LBB6_16719-.Lpost_getpc325)>>32
	s_setpc_b64 s[48:49]
.LBB6_307:                              ;   in Loop: Header=BB6_305 Depth=3
	ds_load_b64 v[8:9], v0
	s_waitcnt lgkmcnt(0)
	v_add_co_u32 v2, vcc_lo, v8, v177
	v_add_co_ci_u32_e32 v8, vcc_lo, v9, v178, vcc_lo
	v_ashrrev_i32_e32 v9, 31, v180
	s_delay_alu instid0(VALU_DEP_3) | instskip(NEXT) | instid1(VALU_DEP_3)
	v_add_co_u32 v2, vcc_lo, v2, v102
	v_add_co_ci_u32_e32 v10, vcc_lo, v8, v103, vcc_lo
	s_delay_alu instid0(VALU_DEP_2) | instskip(NEXT) | instid1(VALU_DEP_2)
	v_add_co_u32 v8, vcc_lo, v2, v180
	v_add_co_ci_u32_e32 v9, vcc_lo, v10, v9, vcc_lo
	v_mov_b32_e32 v2, v3
	ds_store_b64 v0, v[8:9]
	ds_store_b64 v0, v[2:3]
.LBB6_308:                              ;   in Loop: Header=BB6_305 Depth=3
	s_or_b32 exec_lo, exec_lo, s13
	v_and_b32_e32 v2, 12, v30
	s_mov_b32 s39, -1
	s_mov_b32 s13, exec_lo
	s_delay_alu instid0(VALU_DEP_1)
	v_cmpx_ne_u32_e32 0, v2
	v_writelane_b32 v122, s38, 9
	s_cbranch_execz .LBB6_322
; %bb.309:                              ;   in Loop: Header=BB6_305 Depth=3
	v_and_b32_e32 v2, 8, v30
	s_mov_b32 s30, s37
	s_delay_alu instid0(VALU_DEP_1) | instskip(SKIP_3) | instid1(VALU_DEP_1)
	v_add_co_u32 v10, vcc_lo, v82, v2
	v_add_co_ci_u32_e32 v11, vcc_lo, 0, v83, vcc_lo
	v_add_co_u32 v8, vcc_lo, v66, 2
	v_add_co_ci_u32_e32 v9, vcc_lo, 0, v67, vcc_lo
	v_cmp_lt_u64_e32 vcc_lo, v[10:11], v[8:9]
	v_mov_b32_e32 v10, 1
	s_and_saveexec_b32 s37, vcc_lo
	s_cbranch_execz .LBB6_321
; %bb.310:                              ;   in Loop: Header=BB6_305 Depth=3
	v_mov_b32_e32 v10, 0
	s_mov_b32 s38, 0
                                        ; implicit-def: $sgpr39
	s_branch .LBB6_314
.LBB6_311:                              ;   in Loop: Header=BB6_314 Depth=4
	s_or_b32 exec_lo, exec_lo, s43
	v_mov_b32_e32 v11, 0
	s_or_not1_b32 s42, s42, exec_lo
.LBB6_312:                              ;   in Loop: Header=BB6_314 Depth=4
	s_or_b32 exec_lo, exec_lo, s41
	s_delay_alu instid0(VALU_DEP_1) | instskip(SKIP_2) | instid1(SALU_CYCLE_1)
	v_mov_b32_e32 v10, v11
	s_and_not1_b32 vcc_lo, s39, exec_lo
	s_and_b32 s39, s42, exec_lo
	s_or_b32 s39, vcc_lo, s39
.LBB6_313:                              ;   in Loop: Header=BB6_314 Depth=4
	s_or_b32 exec_lo, exec_lo, s40
	s_waitcnt vmcnt(0) lgkmcnt(0)
	v_add_co_u32 v11, vcc_lo, v82, v2
	v_add_co_ci_u32_e32 v12, vcc_lo, 0, v83, vcc_lo
	s_xor_b32 s40, s39, -1
	s_delay_alu instid0(VALU_DEP_1) | instskip(SKIP_1) | instid1(SALU_CYCLE_1)
	v_cmp_ge_u64_e32 vcc_lo, v[11:12], v[8:9]
	s_or_b32 vcc_lo, s40, vcc_lo
	s_and_b32 vcc_lo, exec_lo, vcc_lo
	s_delay_alu instid0(SALU_CYCLE_1) | instskip(NEXT) | instid1(SALU_CYCLE_1)
	s_or_b32 s38, vcc_lo, s38
	s_and_not1_b32 exec_lo, exec_lo, s38
	s_cbranch_execz .LBB6_320
.LBB6_314:                              ;   Parent Loop BB6_51 Depth=1
                                        ;     Parent Loop BB6_303 Depth=2
                                        ;       Parent Loop BB6_305 Depth=3
                                        ; =>      This Inner Loop Header: Depth=4
	s_sleep 1
	flat_load_b64 v[82:83], v[64:65] glc
	v_and_b32_e32 v11, 64, v30
	s_and_not1_b32 s39, s39, exec_lo
	s_mov_b32 s40, exec_lo
	s_delay_alu instid0(VALU_DEP_1)
	v_cmpx_eq_u32_e32 0, v11
	s_cbranch_execz .LBB6_313
; %bb.315:                              ;   in Loop: Header=BB6_314 Depth=4
	v_add_nc_u32_e32 v11, 1, v10
	s_mov_b32 s42, -1
	s_mov_b32 s41, exec_lo
	v_cmpx_lt_i32_e32 0x270e, v10
	s_cbranch_execz .LBB6_312
; %bb.316:                              ;   in Loop: Header=BB6_314 Depth=4
	s_cbranch_execz .LBB6_317
; %bb.17310:
	s_getpc_b64 s[48:49]
.Lpost_getpc326:
	s_add_u32 s48, s48, (.LBB6_16752-.Lpost_getpc326)&4294967295
	s_addc_u32 s49, s49, (.LBB6_16752-.Lpost_getpc326)>>32
	s_setpc_b64 s[48:49]
.LBB6_317:                              ;   in Loop: Header=BB6_314 Depth=4
	ds_load_b64 v[10:11], v0
	s_mov_b32 s43, exec_lo
	s_waitcnt vmcnt(0) lgkmcnt(0)
	s_waitcnt_vscnt null, 0x0
	flat_load_b32 v10, v[10:11] glc
	s_waitcnt vmcnt(0) lgkmcnt(0)
	buffer_gl1_inv
	buffer_gl0_inv
	v_cmpx_ne_u32_e32 0, v10
	s_cbranch_execz .LBB6_311
; %bb.318:                              ;   in Loop: Header=BB6_314 Depth=4
	ds_store_b32 v0, v10
	s_cbranch_execz .LBB6_319
; %bb.17312:
	s_getpc_b64 s[48:49]
.Lpost_getpc327:
	s_add_u32 s48, s48, (.LBB6_16802-.Lpost_getpc327)&4294967295
	s_addc_u32 s49, s49, (.LBB6_16802-.Lpost_getpc327)>>32
	s_setpc_b64 s[48:49]
.LBB6_319:                              ;   in Loop: Header=BB6_314 Depth=4
	v_or_b32_e32 v30, 64, v30
	s_xor_b32 s42, exec_lo, -1
	s_branch .LBB6_311
.LBB6_320:                              ;   in Loop: Header=BB6_305 Depth=3
	s_or_b32 exec_lo, exec_lo, s38
	v_and_b32_e32 v10, 12, v30
.LBB6_321:                              ;   in Loop: Header=BB6_305 Depth=3
	s_or_b32 exec_lo, exec_lo, s37
	s_delay_alu instid0(VALU_DEP_1)
	v_cmp_eq_u32_e32 vcc_lo, 0, v10
	s_mov_b32 s37, s30
	;;#ASMSTART
	s_wakeup
	;;#ASMEND
	s_or_not1_b32 s39, vcc_lo, exec_lo
.LBB6_322:                              ;   in Loop: Header=BB6_305 Depth=3
	s_or_b32 exec_lo, exec_lo, s13
	v_sub_nc_u32_e32 v2, v179, v180
	s_xor_b32 s13, s39, -1
	s_delay_alu instid0(VALU_DEP_1)
	v_min_i32_e32 v100, v100, v2
	s_and_saveexec_b32 s30, s13
	s_cbranch_execz .LBB6_335
; %bb.323:                              ;   in Loop: Header=BB6_305 Depth=3
	v_and_b32_e32 v2, 0x108, v30
	s_delay_alu instid0(VALU_DEP_1) | instskip(SKIP_2) | instid1(SALU_CYCLE_1)
	v_cmp_ne_u32_e32 vcc_lo, 0x108, v2
	v_and_b32_e32 v2, 7, v66
	s_and_saveexec_b32 s13, vcc_lo
	s_xor_b32 s13, exec_lo, s13
	s_delay_alu instid0(SALU_CYCLE_1)
	s_and_not1_saveexec_b32 s13, s13
	s_cbranch_execz .LBB6_325
; %bb.324:                              ;   in Loop: Header=BB6_305 Depth=3
	v_mad_u64_u32 v[8:9], null, v2, 24, v[6:7]
	v_ashrrev_i32_e32 v101, 31, v100
	flat_store_b64 v[8:9], v[100:101] offset:8
.LBB6_325:                              ;   in Loop: Header=BB6_305 Depth=3
	s_or_b32 exec_lo, exec_lo, s13
	v_and_b32_e32 v8, 0x100, v30
	s_mov_b32 s13, -1
	s_delay_alu instid0(VALU_DEP_1)
	v_cmp_ne_u32_e32 vcc_lo, 0, v8
                                        ; implicit-def: $vgpr8_vgpr9
	s_and_saveexec_b32 s38, vcc_lo
	s_cbranch_execnz .LBB6_328
; %bb.326:                              ;   in Loop: Header=BB6_305 Depth=3
	s_or_b32 exec_lo, exec_lo, s38
	s_and_saveexec_b32 vcc_lo, s13
	s_cbranch_execnz .LBB6_331
.LBB6_327:                              ;   in Loop: Header=BB6_305 Depth=3
	s_or_b32 exec_lo, exec_lo, vcc_lo
	s_cbranch_execz .LBB6_332
; %bb.17314:
	s_getpc_b64 s[48:49]
.Lpost_getpc328:
	s_add_u32 s48, s48, (.LBB6_16746-.Lpost_getpc328)&4294967295
	s_addc_u32 s49, s49, (.LBB6_16746-.Lpost_getpc328)>>32
	s_setpc_b64 s[48:49]
.LBB6_328:                              ;   in Loop: Header=BB6_305 Depth=3
	v_mad_u64_u32 v[10:11], null, v2, 24, v[6:7]
	s_delay_alu instid0(VALU_DEP_1) | instskip(NEXT) | instid1(VALU_DEP_1)
	v_mov_b32_e32 v8, v11
	v_mad_u64_u32 v[11:12], null, v3, 24, v[8:9]
	flat_load_b32 v8, v[10:11]
	s_waitcnt vmcnt(0) lgkmcnt(0)
	v_cmp_ne_u32_e32 vcc_lo, 1, v8
	v_cmp_eq_u32_e64 s13, 1, v8
                                        ; implicit-def: $vgpr8_vgpr9
	s_delay_alu instid0(VALU_DEP_1)
	s_and_saveexec_b32 s39, s13
	s_cbranch_execz .LBB6_330
; %bb.329:                              ;   in Loop: Header=BB6_305 Depth=3
	flat_load_b32 v8, v[10:11] offset:4 glc
	s_waitcnt vmcnt(0) lgkmcnt(0)
	v_ashrrev_i32_e32 v9, 31, v8
.LBB6_330:                              ;   in Loop: Header=BB6_305 Depth=3
	s_or_b32 exec_lo, exec_lo, s39
	s_delay_alu instid0(SALU_CYCLE_1)
	s_or_not1_b32 s13, vcc_lo, exec_lo
	s_or_b32 exec_lo, exec_lo, s38
	s_and_saveexec_b32 vcc_lo, s13
	s_cbranch_execz .LBB6_327
.LBB6_331:                              ;   in Loop: Header=BB6_305 Depth=3
	v_mul_lo_u32 v10, v3, v118
	v_mul_lo_u32 v11, v2, v128
	v_mad_u64_u32 v[8:9], null, v2, v118, 0
	s_delay_alu instid0(VALU_DEP_1)
	v_add3_u32 v9, v9, v11, v10
	s_or_b32 exec_lo, exec_lo, vcc_lo
	s_cbranch_execz .LBB6_332
; %bb.17316:
	s_getpc_b64 s[48:49]
.Lpost_getpc329:
	s_add_u32 s48, s48, (.LBB6_16746-.Lpost_getpc329)&4294967295
	s_addc_u32 s49, s49, (.LBB6_16746-.Lpost_getpc329)>>32
	s_setpc_b64 s[48:49]
.LBB6_332:                              ;   in Loop: Header=BB6_305 Depth=3
	s_delay_alu instid0(VALU_DEP_2)
	v_add_co_u32 v8, vcc_lo, v68, v8
	v_and_b32_e32 v2, 0x2000, v30
	v_add_co_ci_u32_e32 v9, vcc_lo, v69, v9, vcc_lo
	s_mov_b32 s13, exec_lo
	ds_store_b64 v0, v[8:9]
	v_cmpx_ne_u32_e32 0, v2
	s_cbranch_execz .LBB6_334
; %bb.333:                              ;   in Loop: Header=BB6_305 Depth=3
	ds_load_b64 v[8:9], v0 offset:584
	s_waitcnt lgkmcnt(0)
	v_add_co_u32 v8, vcc_lo, v8, 1
	v_add_co_ci_u32_e32 v9, vcc_lo, 0, v9, vcc_lo
	ds_store_b64 v0, v[8:9] offset:584
.LBB6_334:                              ;   in Loop: Header=BB6_305 Depth=3
	s_or_b32 exec_lo, exec_lo, s13
	v_add_co_u32 v66, vcc_lo, v66, 2
	v_add_co_ci_u32_e32 v67, vcc_lo, 0, v67, vcc_lo
.LBB6_335:                              ;   in Loop: Header=BB6_305 Depth=3
	s_or_b32 exec_lo, exec_lo, s30
	v_writelane_b32 v122, s37, 10
	s_and_saveexec_b32 s13, s3
	s_cbranch_execz .LBB6_357
; %bb.336:                              ;   in Loop: Header=BB6_305 Depth=3
	s_and_saveexec_b32 vcc_lo, s4
	s_delay_alu instid0(SALU_CYCLE_1)
	s_xor_b32 s30, exec_lo, vcc_lo
	s_cbranch_execz .LBB6_354
; %bb.337:                              ;   in Loop: Header=BB6_305 Depth=3
	s_and_saveexec_b32 s37, s1
	s_cbranch_execz .LBB6_353
; %bb.338:                              ;   in Loop: Header=BB6_305 Depth=3
	s_mov_b32 s39, exec_lo
	s_mov_b32 s38, exec_lo
	v_mbcnt_lo_u32_b32 v2, s39, 0
	s_waitcnt vmcnt(0) lgkmcnt(0)
	s_waitcnt_vscnt null, 0x0
	buffer_gl1_inv
	buffer_gl0_inv
	v_cmpx_eq_u32_e32 0, v2
	s_cbranch_execz .LBB6_340
; %bb.339:                              ;   in Loop: Header=BB6_305 Depth=3
	s_bcnt1_i32_b32 vcc_lo, s39
	s_delay_alu instid0(SALU_CYCLE_1)
	v_mov_b32_e32 v2, vcc_lo
	ds_add_u64 v0, v[2:3]
	s_cbranch_execz .LBB6_340
; %bb.17318:
	s_getpc_b64 s[48:49]
.Lpost_getpc330:
	s_add_u32 s48, s48, (.LBB6_16858-.Lpost_getpc330)&4294967295
	s_addc_u32 s49, s49, (.LBB6_16858-.Lpost_getpc330)>>32
	s_setpc_b64 s[48:49]
.LBB6_340:                              ;   in Loop: Header=BB6_305 Depth=3
	s_or_b32 exec_lo, exec_lo, s38
	s_cbranch_execz .LBB6_341
; %bb.17320:
	s_getpc_b64 s[48:49]
.Lpost_getpc331:
	s_add_u32 s48, s48, (.LBB6_16824-.Lpost_getpc331)&4294967295
	s_addc_u32 s49, s49, (.LBB6_16824-.Lpost_getpc331)>>32
	s_setpc_b64 s[48:49]
.LBB6_341:                              ;   in Loop: Header=BB6_305 Depth=3
	ds_load_b64 v[8:9], v0
	v_add_co_u32 v80, vcc_lo, v80, v129
	v_add_co_ci_u32_e32 v81, vcc_lo, 0, v81, vcc_lo
	s_mov_b32 s38, exec_lo
	s_waitcnt lgkmcnt(0)
	s_delay_alu instid0(VALU_DEP_1)
	v_cmpx_lt_u64_e64 v[8:9], v[80:81]
	s_cbranch_execz .LBB6_352
; %bb.342:                              ;   in Loop: Header=BB6_305 Depth=3
	s_mov_b32 s39, 0
	s_mov_b32 s42, 0
                                        ; implicit-def: $sgpr40
                                        ; implicit-def: $sgpr41
	s_branch .LBB6_344
.LBB6_343:                              ;   in Loop: Header=BB6_344 Depth=4
	s_or_b32 exec_lo, exec_lo, s44
	s_delay_alu instid0(SALU_CYCLE_1) | instskip(NEXT) | instid1(SALU_CYCLE_1)
	s_and_b32 vcc_lo, exec_lo, vcc_lo
	s_or_b32 s39, vcc_lo, s39
	s_and_not1_b32 vcc_lo, s40, exec_lo
	s_and_b32 s40, s41, exec_lo
	s_delay_alu instid0(SALU_CYCLE_1)
	s_or_b32 s40, vcc_lo, s40
	s_and_not1_b32 exec_lo, exec_lo, s39
	s_cbranch_execz .LBB6_350
.LBB6_344:                              ;   Parent Loop BB6_51 Depth=1
                                        ;     Parent Loop BB6_303 Depth=2
                                        ;       Parent Loop BB6_305 Depth=3
                                        ; =>      This Inner Loop Header: Depth=4
	s_add_i32 s42, s42, 1
                                        ; implicit-def: $sgpr44
	s_delay_alu instid0(SALU_CYCLE_1) | instskip(SKIP_1) | instid1(SALU_CYCLE_1)
	s_cmpk_lg_i32 s42, 0x2710
	s_cselect_b32 s43, -1, 0
	s_and_b32 vcc_lo, exec_lo, s43
	s_cbranch_vccz .LBB6_348
.LBB6_345:                              ;   in Loop: Header=BB6_344 Depth=4
	s_and_not1_b32 s41, s41, exec_lo
	s_and_b32 s44, s44, exec_lo
	s_mov_b32 vcc_lo, -1
	s_or_b32 s41, s41, s44
	s_and_saveexec_b32 s44, s43
	s_cbranch_execz .LBB6_343
; %bb.346:                              ;   in Loop: Header=BB6_344 Depth=4
	s_sleep 1
	s_cbranch_execz .LBB6_347
; %bb.17322:
	s_getpc_b64 s[48:49]
.Lpost_getpc332:
	s_add_u32 s48, s48, (.LBB6_16906-.Lpost_getpc332)&4294967295
	s_addc_u32 s49, s49, (.LBB6_16906-.Lpost_getpc332)>>32
	s_setpc_b64 s[48:49]
.LBB6_347:                              ;   in Loop: Header=BB6_344 Depth=4
	ds_load_b64 v[8:9], v0
	s_and_not1_b32 s41, s41, exec_lo
	s_waitcnt lgkmcnt(0)
	v_cmp_ge_u64_e32 vcc_lo, v[8:9], v[80:81]
	s_or_not1_b32 vcc_lo, vcc_lo, exec_lo
	s_branch .LBB6_343
.LBB6_348:                              ;   in Loop: Header=BB6_344 Depth=4
	s_cbranch_execz .LBB6_349
; %bb.17324:
	s_getpc_b64 s[48:49]
.Lpost_getpc333:
	s_add_u32 s48, s48, (.LBB6_16914-.Lpost_getpc333)&4294967295
	s_addc_u32 s49, s49, (.LBB6_16914-.Lpost_getpc333)>>32
	s_setpc_b64 s[48:49]
.LBB6_349:                              ;   in Loop: Header=BB6_344 Depth=4
	ds_load_b64 v[8:9], v0
	s_and_not1_b32 s43, s43, exec_lo
	s_mov_b32 s42, 0
	s_mov_b32 s44, -1
	s_waitcnt lgkmcnt(0)
	flat_load_b32 v2, v[8:9] glc
	s_waitcnt vmcnt(0) lgkmcnt(0)
	buffer_gl1_inv
	buffer_gl0_inv
	v_cmp_eq_u32_e32 vcc_lo, 0, v2
	s_and_b32 vcc_lo, vcc_lo, exec_lo
	s_delay_alu instid0(SALU_CYCLE_1)
	s_or_b32 s43, s43, vcc_lo
	s_branch .LBB6_345
.LBB6_350:                              ;   in Loop: Header=BB6_305 Depth=3
	s_or_b32 exec_lo, exec_lo, s39
	s_and_saveexec_b32 vcc_lo, s40
	s_delay_alu instid0(SALU_CYCLE_1)
	s_xor_b32 vcc_lo, exec_lo, vcc_lo
	s_cbranch_execz .LBB6_352
; %bb.351:                              ;   in Loop: Header=BB6_305 Depth=3
	ds_store_b32 v0, v176
	s_cbranch_execz .LBB6_352
; %bb.17326:
	s_getpc_b64 s[48:49]
.Lpost_getpc334:
	s_add_u32 s48, s48, (.LBB6_17116-.Lpost_getpc334)&4294967295
	s_addc_u32 s49, s49, (.LBB6_17116-.Lpost_getpc334)>>32
	s_setpc_b64 s[48:49]
.LBB6_352:                              ;   in Loop: Header=BB6_305 Depth=3
	s_or_b32 exec_lo, exec_lo, s38
	;;#ASMSTART
	s_wakeup
	;;#ASMEND
.LBB6_353:                              ;   in Loop: Header=BB6_305 Depth=3
	s_or_b32 exec_lo, exec_lo, s37
.LBB6_354:                              ;   in Loop: Header=BB6_305 Depth=3
	s_and_not1_saveexec_b32 vcc_lo, s30
	s_cbranch_execz .LBB6_356
; %bb.355:                              ;   in Loop: Header=BB6_305 Depth=3
	s_waitcnt vmcnt(0) lgkmcnt(0)
	s_waitcnt_vscnt null, 0x0
	buffer_gl1_inv
	buffer_gl0_inv
	s_barrier
.LBB6_356:                              ;   in Loop: Header=BB6_305 Depth=3
	s_or_b32 exec_lo, exec_lo, vcc_lo
.LBB6_357:                              ;   in Loop: Header=BB6_305 Depth=3
	v_writelane_b32 v122, s31, 6
	s_mov_b32 s30, s36
	v_writelane_b32 v122, s34, 5
	v_writelane_b32 v122, s35, 7
	;; [unrolled: 1-line block ×3, first 2 shown]
	s_or_b32 exec_lo, exec_lo, s13
	s_cbranch_execz .LBB6_358
; %bb.17328:
	s_getpc_b64 s[48:49]
.Lpost_getpc335:
	s_add_u32 s48, s48, (.LBB6_16725-.Lpost_getpc335)&4294967295
	s_addc_u32 s49, s49, (.LBB6_16725-.Lpost_getpc335)>>32
	s_setpc_b64 s[48:49]
.LBB6_358:                              ;   in Loop: Header=BB6_305 Depth=3
	ds_load_b32 v8, v0
	v_and_b32_e32 v2, 0x4000, v30
	s_xor_b32 s13, s2, -1
	s_delay_alu instid0(VALU_DEP_1) | instskip(SKIP_1) | instid1(SALU_CYCLE_1)
	v_cmp_ne_u32_e32 vcc_lo, 0, v2
	s_and_b32 s14, s13, vcc_lo
	s_and_saveexec_b32 s13, s14
	s_cbranch_execz .LBB6_380
; %bb.359:                              ;   in Loop: Header=BB6_305 Depth=3
	s_and_saveexec_b32 s14, s4
	s_delay_alu instid0(SALU_CYCLE_1)
	s_xor_b32 s14, exec_lo, s14
	s_cbranch_execz .LBB6_377
; %bb.360:                              ;   in Loop: Header=BB6_305 Depth=3
	s_and_saveexec_b32 s31, s1
	s_cbranch_execz .LBB6_376
; %bb.361:                              ;   in Loop: Header=BB6_305 Depth=3
	s_mov_b32 s35, exec_lo
	s_mov_b32 s34, exec_lo
	v_mbcnt_lo_u32_b32 v2, s35, 0
	s_waitcnt vmcnt(0) lgkmcnt(0)
	s_waitcnt_vscnt null, 0x0
	buffer_gl1_inv
	buffer_gl0_inv
	v_cmpx_eq_u32_e32 0, v2
	s_cbranch_execz .LBB6_363
; %bb.362:                              ;   in Loop: Header=BB6_305 Depth=3
	s_bcnt1_i32_b32 vcc_lo, s35
	s_delay_alu instid0(SALU_CYCLE_1)
	v_mov_b32_e32 v2, vcc_lo
	ds_add_u64 v0, v[2:3]
	s_cbranch_execz .LBB6_363
; %bb.17330:
	s_getpc_b64 s[48:49]
.Lpost_getpc336:
	s_add_u32 s48, s48, (.LBB6_16890-.Lpost_getpc336)&4294967295
	s_addc_u32 s49, s49, (.LBB6_16890-.Lpost_getpc336)>>32
	s_setpc_b64 s[48:49]
.LBB6_363:                              ;   in Loop: Header=BB6_305 Depth=3
	s_or_b32 exec_lo, exec_lo, s34
	s_cbranch_execz .LBB6_364
; %bb.17332:
	s_getpc_b64 s[48:49]
.Lpost_getpc337:
	s_add_u32 s48, s48, (.LBB6_16880-.Lpost_getpc337)&4294967295
	s_addc_u32 s49, s49, (.LBB6_16880-.Lpost_getpc337)>>32
	s_setpc_b64 s[48:49]
.LBB6_364:                              ;   in Loop: Header=BB6_305 Depth=3
	ds_load_b64 v[9:10], v0
	v_add_co_u32 v80, vcc_lo, v80, v129
	v_add_co_ci_u32_e32 v81, vcc_lo, 0, v81, vcc_lo
	s_mov_b32 s34, exec_lo
	s_waitcnt lgkmcnt(0)
	s_delay_alu instid0(VALU_DEP_1)
	v_cmpx_lt_u64_e64 v[9:10], v[80:81]
	s_cbranch_execz .LBB6_375
; %bb.365:                              ;   in Loop: Header=BB6_305 Depth=3
	s_mov_b32 s35, 0
	s_mov_b32 s38, 0
                                        ; implicit-def: $sgpr36
                                        ; implicit-def: $sgpr37
	s_branch .LBB6_367
.LBB6_366:                              ;   in Loop: Header=BB6_367 Depth=4
	s_or_b32 exec_lo, exec_lo, s40
	s_delay_alu instid0(SALU_CYCLE_1) | instskip(NEXT) | instid1(SALU_CYCLE_1)
	s_and_b32 vcc_lo, exec_lo, vcc_lo
	s_or_b32 s35, vcc_lo, s35
	s_and_not1_b32 vcc_lo, s36, exec_lo
	s_and_b32 s36, s37, exec_lo
	s_delay_alu instid0(SALU_CYCLE_1)
	s_or_b32 s36, vcc_lo, s36
	s_and_not1_b32 exec_lo, exec_lo, s35
	s_cbranch_execz .LBB6_373
.LBB6_367:                              ;   Parent Loop BB6_51 Depth=1
                                        ;     Parent Loop BB6_303 Depth=2
                                        ;       Parent Loop BB6_305 Depth=3
                                        ; =>      This Inner Loop Header: Depth=4
	s_add_i32 s38, s38, 1
                                        ; implicit-def: $sgpr40
	s_delay_alu instid0(SALU_CYCLE_1) | instskip(SKIP_1) | instid1(SALU_CYCLE_1)
	s_cmpk_lg_i32 s38, 0x2710
	s_cselect_b32 s39, -1, 0
	s_and_b32 vcc_lo, exec_lo, s39
	s_cbranch_vccz .LBB6_371
.LBB6_368:                              ;   in Loop: Header=BB6_367 Depth=4
	s_and_not1_b32 s37, s37, exec_lo
	s_and_b32 s40, s40, exec_lo
	s_mov_b32 vcc_lo, -1
	s_or_b32 s37, s37, s40
	s_and_saveexec_b32 s40, s39
	s_cbranch_execz .LBB6_366
; %bb.369:                              ;   in Loop: Header=BB6_367 Depth=4
	s_sleep 1
	s_cbranch_execz .LBB6_370
; %bb.17334:
	s_getpc_b64 s[48:49]
.Lpost_getpc338:
	s_add_u32 s48, s48, (.LBB6_16952-.Lpost_getpc338)&4294967295
	s_addc_u32 s49, s49, (.LBB6_16952-.Lpost_getpc338)>>32
	s_setpc_b64 s[48:49]
.LBB6_370:                              ;   in Loop: Header=BB6_367 Depth=4
	ds_load_b64 v[9:10], v0
	s_and_not1_b32 s37, s37, exec_lo
	s_waitcnt lgkmcnt(0)
	v_cmp_ge_u64_e32 vcc_lo, v[9:10], v[80:81]
	s_or_not1_b32 vcc_lo, vcc_lo, exec_lo
	s_branch .LBB6_366
.LBB6_371:                              ;   in Loop: Header=BB6_367 Depth=4
	s_cbranch_execz .LBB6_372
; %bb.17336:
	s_getpc_b64 s[48:49]
.Lpost_getpc339:
	s_add_u32 s48, s48, (.LBB6_16966-.Lpost_getpc339)&4294967295
	s_addc_u32 s49, s49, (.LBB6_16966-.Lpost_getpc339)>>32
	s_setpc_b64 s[48:49]
.LBB6_372:                              ;   in Loop: Header=BB6_367 Depth=4
	ds_load_b64 v[9:10], v0
	s_and_not1_b32 s39, s39, exec_lo
	s_mov_b32 s38, 0
	s_mov_b32 s40, -1
	s_waitcnt lgkmcnt(0)
	flat_load_b32 v2, v[9:10] glc
	s_waitcnt vmcnt(0) lgkmcnt(0)
	buffer_gl1_inv
	buffer_gl0_inv
	v_cmp_eq_u32_e32 vcc_lo, 0, v2
	s_and_b32 vcc_lo, vcc_lo, exec_lo
	s_delay_alu instid0(SALU_CYCLE_1)
	s_or_b32 s39, s39, vcc_lo
	s_branch .LBB6_368
.LBB6_373:                              ;   in Loop: Header=BB6_305 Depth=3
	s_or_b32 exec_lo, exec_lo, s35
	s_and_saveexec_b32 vcc_lo, s36
	s_delay_alu instid0(SALU_CYCLE_1)
	s_xor_b32 vcc_lo, exec_lo, vcc_lo
	s_cbranch_execz .LBB6_375
; %bb.374:                              ;   in Loop: Header=BB6_305 Depth=3
	ds_store_b32 v0, v176
	s_cbranch_execz .LBB6_375
; %bb.17338:
	s_getpc_b64 s[48:49]
.Lpost_getpc340:
	s_add_u32 s48, s48, (.LBB6_17148-.Lpost_getpc340)&4294967295
	s_addc_u32 s49, s49, (.LBB6_17148-.Lpost_getpc340)>>32
	s_setpc_b64 s[48:49]
.LBB6_375:                              ;   in Loop: Header=BB6_305 Depth=3
	s_or_b32 exec_lo, exec_lo, s34
	;;#ASMSTART
	s_wakeup
	;;#ASMEND
.LBB6_376:                              ;   in Loop: Header=BB6_305 Depth=3
	s_or_b32 exec_lo, exec_lo, s31
.LBB6_377:                              ;   in Loop: Header=BB6_305 Depth=3
	s_and_not1_saveexec_b32 s14, s14
	s_cbranch_execz .LBB6_379
; %bb.378:                              ;   in Loop: Header=BB6_305 Depth=3
	s_waitcnt vmcnt(0) lgkmcnt(0)
	s_waitcnt_vscnt null, 0x0
	buffer_gl1_inv
	buffer_gl0_inv
	s_barrier
.LBB6_379:                              ;   in Loop: Header=BB6_305 Depth=3
	s_or_b32 exec_lo, exec_lo, s14
.LBB6_380:                              ;   in Loop: Header=BB6_305 Depth=3
	s_delay_alu instid0(SALU_CYCLE_1)
	s_or_b32 exec_lo, exec_lo, s13
	s_cbranch_execz .LBB6_381
; %bb.17340:
	s_getpc_b64 s[48:49]
.Lpost_getpc341:
	s_add_u32 s48, s48, (.LBB6_16768-.Lpost_getpc341)&4294967295
	s_addc_u32 s49, s49, (.LBB6_16768-.Lpost_getpc341)>>32
	s_setpc_b64 s[48:49]
.LBB6_381:                              ;   in Loop: Header=BB6_305 Depth=3
	ds_load_b64 v[9:10], v0
	v_mov_b32_e32 v101, 0
	s_waitcnt lgkmcnt(0)
	v_cmp_eq_u64_e32 vcc_lo, 0, v[9:10]
	s_or_b32 s13, vcc_lo, vcc_lo
	s_delay_alu instid0(SALU_CYCLE_1)
	s_and_b32 vcc_lo, exec_lo, s13
	s_cbranch_vccz .LBB6_382
; %bb.17342:                            ;   in Loop: Header=BB6_305 Depth=3
	s_getpc_b64 s[48:49]
.Lpost_getpc342:
	s_add_u32 s48, s48, (.LBB6_5501-.Lpost_getpc342)&4294967295
	s_addc_u32 s49, s49, (.LBB6_5501-.Lpost_getpc342)>>32
	s_setpc_b64 s[48:49]
.LBB6_382:                              ;   in Loop: Header=BB6_305 Depth=3
	s_cbranch_execz .LBB6_383
; %bb.17344:
	s_getpc_b64 s[48:49]
.Lpost_getpc343:
	s_add_u32 s48, s48, (.LBB6_16822-.Lpost_getpc343)&4294967295
	s_addc_u32 s49, s49, (.LBB6_16822-.Lpost_getpc343)>>32
	s_setpc_b64 s[48:49]
.LBB6_383:                              ;   in Loop: Header=BB6_305 Depth=3
	ds_load_b64 v[9:10], v0
	s_mov_b32 s13, -1
	s_waitcnt lgkmcnt(0)
	v_readfirstlane_b32 s31, v9
	s_and_saveexec_b32 s14, s12
	s_cbranch_execz .LBB6_385
; %bb.384:                              ;   in Loop: Header=BB6_305 Depth=3
	ds_load_b32 v2, v0 offset:720
	s_waitcnt lgkmcnt(0)
	v_and_b32_e32 v2, 15, v2
	s_delay_alu instid0(VALU_DEP_1)
	v_cmp_eq_u32_e32 vcc_lo, 0, v2
	s_or_not1_b32 s13, vcc_lo, exec_lo
.LBB6_385:                              ;   in Loop: Header=BB6_305 Depth=3
	s_or_b32 exec_lo, exec_lo, s14
	s_and_saveexec_b32 s14, s6
	s_cbranch_execz .LBB6_387
; %bb.386:                              ;   in Loop: Header=BB6_305 Depth=3
	ds_load_b32 v2, v0 offset:784
	s_waitcnt lgkmcnt(0)
	v_and_b32_e32 v2, 15, v2
	s_delay_alu instid0(VALU_DEP_1) | instskip(SKIP_3) | instid1(SALU_CYCLE_1)
	v_cmp_eq_u32_e32 vcc_lo, 0, v2
	s_and_b32 vcc_lo, s13, vcc_lo
	s_and_not1_b32 s13, s13, exec_lo
	s_and_b32 vcc_lo, vcc_lo, exec_lo
	s_or_b32 s13, s13, vcc_lo
.LBB6_387:                              ;   in Loop: Header=BB6_305 Depth=3
	s_or_b32 exec_lo, exec_lo, s14
	v_cmp_eq_u32_e32 vcc_lo, 0, v8
	s_xor_b32 s13, s13, -1
	v_mov_b32_e32 v8, v130
	v_cndmask_b32_e64 v2, 0, 1, s13
	;;#ASMSTART
	;;#ASMEND
	v_dual_cndmask_b32 v101, 0, v100 :: v_dual_mov_b32 v14, 0
	s_delay_alu instid0(VALU_DEP_2) | instskip(SKIP_2) | instid1(VALU_DEP_2)
	v_cmp_ne_u32_e32 vcc_lo, 0, v2
	s_mov_b32 s13, -1
	s_waitcnt vmcnt(0)
	v_dual_mov_b32 v16, v0 :: v_dual_mov_b32 v15, v101
	s_cbranch_vccnz .LBB6_4003
; %bb.388:                              ;   in Loop: Header=BB6_305 Depth=3
	v_ashrrev_i32_e32 v2, 31, v101
	s_mov_b32 s14, exec_lo
	s_delay_alu instid0(VALU_DEP_1) | instskip(NEXT) | instid1(VALU_DEP_1)
	v_lshrrev_b32_e32 v2, 21, v2
	v_add_nc_u32_e32 v2, v101, v2
	s_delay_alu instid0(VALU_DEP_1) | instskip(NEXT) | instid1(VALU_DEP_1)
	v_ashrrev_i32_e32 v181, 11, v2
	v_sub_nc_u32_e32 v2, v181, v130
	s_delay_alu instid0(VALU_DEP_1)
	v_cmpx_lt_i32_e32 0, v2
	s_cbranch_execz .LBB6_3273
; %bb.389:                              ;   in Loop: Header=BB6_305 Depth=3
	s_cbranch_execz .LBB6_390
; %bb.17346:
	s_getpc_b64 s[48:49]
.Lpost_getpc344:
	s_add_u32 s48, s48, (.LBB6_16964-.Lpost_getpc344)&4294967295
	s_addc_u32 s49, s49, (.LBB6_16964-.Lpost_getpc344)>>32
	s_setpc_b64 s[48:49]
.LBB6_390:                              ;   in Loop: Header=BB6_305 Depth=3
	ds_load_b128 v[8:11], v0
	ds_load_b64 v[12:13], v0
	s_bitcmp1_b32 s31, 0
	s_mov_b32 s34, 0
	s_cselect_b32 s35, -1, 0
	s_waitcnt lgkmcnt(1)
	v_add_co_u32 v112, vcc_lo, v8, v164
	v_add_co_ci_u32_e32 v113, vcc_lo, v9, v165, vcc_lo
	v_add_co_u32 v114, vcc_lo, v10, v164
	v_add_co_ci_u32_e32 v115, vcc_lo, v11, v165, vcc_lo
	s_waitcnt lgkmcnt(0)
	v_add_co_u32 v116, vcc_lo, v12, v164
	v_add_co_ci_u32_e32 v117, vcc_lo, v13, v165, vcc_lo
	s_branch .LBB6_394
.LBB6_391:                              ;   in Loop: Header=BB6_394 Depth=4
	s_or_b32 exec_lo, exec_lo, s13
	s_delay_alu instid0(VALU_DEP_1) | instskip(NEXT) | instid1(VALU_DEP_2)
	v_lshrrev_b32_e32 v15, 20, v15
	v_min_i32_e32 v95, 15, v11
	v_cmp_gt_i32_e32 vcc_lo, 16, v11
	v_lshrrev_b32_e32 v104, 24, v105
	s_delay_alu instid0(VALU_DEP_3) | instskip(NEXT) | instid1(VALU_DEP_2)
	v_lshlrev_b32_e32 v95, 3, v95
	v_dual_cndmask_b32 v15, 7, v15 :: v_dual_and_b32 v104, 0x80, v104
	s_delay_alu instid0(VALU_DEP_2) | instskip(NEXT) | instid1(VALU_DEP_2)
	v_and_b32_e32 v95, 0xf8, v95
	v_and_b32_e32 v105, 7, v15
	v_or_b32_e32 v11, v11, v15
	s_delay_alu instid0(VALU_DEP_2) | instskip(NEXT) | instid1(VALU_DEP_2)
	v_or3_b32 v95, v104, v95, v105
	v_cmp_ne_u32_e32 vcc_lo, 0, v11
	s_delay_alu instid0(VALU_DEP_2) | instskip(NEXT) | instid1(VALU_DEP_1)
	v_lshlrev_b32_e32 v15, 8, v95
	v_cndmask_b32_e32 v11, 0, v15, vcc_lo
.LBB6_392:                              ;   in Loop: Header=BB6_394 Depth=4
	s_or_b32 exec_lo, exec_lo, s37
.LBB6_393:                              ;   in Loop: Header=BB6_394 Depth=4
	s_delay_alu instid0(SALU_CYCLE_1)
	s_or_b32 exec_lo, exec_lo, s36
	v_lshlrev_b32_e32 v15, 8, v73
	v_and_b32_e32 v72, 0xff, v72
	v_or_b32_e32 v17, v17, v74
	v_lshlrev_b32_e32 v73, 24, v16
	v_lshlrev_b32_e32 v16, 8, v63
	v_perm_b32 v15, v15, v20, 0xc0c0500
	v_lshlrev_b32_e32 v20, 16, v72
	v_and_b32_e32 v63, 0xff, v76
	v_lshlrev_b32_e32 v72, 8, v75
	v_lshlrev_b32_e32 v74, 8, v77
	;; [unrolled: 1-line block ×3, first 2 shown]
	v_or_b32_e32 v19, v19, v78
	v_lshlrev_b32_e32 v63, 16, v63
	v_perm_b32 v21, v72, v21, 0xc0c0500
	v_perm_b32 v22, v74, v22, 0xc0c0500
	;; [unrolled: 1-line block ×3, first 2 shown]
	v_lshl_or_b32 v16, v17, 16, v15
	v_lshlrev_b32_e32 v57, 8, v57
	v_or3_b32 v17, v18, v63, v21
	v_lshl_or_b32 v18, v19, 16, v22
	v_and_b32_e32 v21, 0xff, v56
	v_lshlrev_b32_e32 v22, 8, v47
	v_or3_b32 v15, v73, v20, v35
	v_or_b32_e32 v19, v25, v58
	v_perm_b32 v20, v57, v32, 0xc0c0500
	v_lshlrev_b32_e32 v24, 24, v24
	v_and_b32_e32 v25, 0xff, v60
	v_lshlrev_b32_e32 v32, 8, v59
	v_lshlrev_b32_e32 v21, 16, v21
	v_perm_b32 v22, v22, v51, 0xc0c0500
	v_lshlrev_b32_e32 v26, 24, v26
	v_lshlrev_b32_e32 v25, 16, v25
	v_perm_b32 v32, v32, v33, 0xc0c0500
	v_lshlrev_b32_e32 v33, 8, v61
	v_lshl_or_b32 v20, v19, 16, v20
	v_or3_b32 v19, v24, v21, v22
	v_lshlrev_b32_e32 v22, 8, v41
	v_or3_b32 v21, v26, v25, v32
	v_perm_b32 v24, v33, v34, 0xc0c0500
	v_or_b32_e32 v25, v27, v62
	v_or_b32_e32 v26, v37, v42
	v_perm_b32 v27, v22, v48, 0xc0c0500
	v_and_b32_e32 v22, 0xff, v40
	v_lshlrev_b32_e32 v32, 8, v183
	v_and_b32_e32 v34, 0xff, v44
	v_lshlrev_b32_e32 v35, 8, v43
	v_lshlrev_b32_e32 v33, 24, v36
	;; [unrolled: 1-line block ×3, first 2 shown]
	v_perm_b32 v32, v32, v182, 0xc0c0500
	v_lshlrev_b32_e32 v37, 24, v38
	v_lshlrev_b32_e32 v34, 16, v34
	v_perm_b32 v35, v35, v49, 0xc0c0500
	v_lshl_or_b32 v22, v25, 16, v24
	v_lshl_or_b32 v25, v26, 16, v27
	v_lshlrev_b32_e32 v27, 8, v89
	v_lshlrev_b32_e32 v38, 8, v45
	v_or3_b32 v24, v33, v36, v32
	v_or3_b32 v26, v37, v34, v35
	v_and_b32_e32 v34, 0xff, v88
	v_perm_b32 v12, v27, v12, 0xc0c0500
	v_lshlrev_b32_e32 v27, 8, v79
	v_and_b32_e32 v35, 0xff, v92
	v_lshlrev_b32_e32 v36, 8, v91
	v_lshlrev_b32_e32 v37, 8, v93
	v_perm_b32 v32, v38, v50, 0xc0c0500
	v_or_b32_e32 v33, v39, v46
	v_or_b32_e32 v9, v9, v90
	v_lshlrev_b32_e32 v8, 24, v8
	v_lshlrev_b32_e32 v34, 16, v34
	v_perm_b32 v23, v27, v23, 0xc0c0500
	v_lshlrev_b32_e32 v10, 24, v10
	v_lshlrev_b32_e32 v35, 16, v35
	v_perm_b32 v13, v36, v13, 0xc0c0500
	v_perm_b32 v14, v37, v14, 0xc0c0500
	v_or_b32_e32 v11, v11, v94
	v_add_co_u32 v112, vcc_lo, v112, v166
	v_lshl_or_b32 v27, v33, 16, v32
	v_sub_nc_u32_e32 v2, v2, v129
	v_add_co_ci_u32_e32 v113, vcc_lo, v113, v167, vcc_lo
	v_add_co_u32 v114, vcc_lo, v114, v166
	v_lshl_or_b32 v9, v9, 16, v12
	v_or3_b32 v8, v8, v34, v23
	v_or3_b32 v10, v10, v35, v13
	v_lshl_or_b32 v11, v11, 16, v14
	v_add_co_ci_u32_e32 v115, vcc_lo, v115, v167, vcc_lo
	s_clause 0x3
	global_store_b128 v[116:117], v[24:27], off glc slc dlc
	global_store_b128 v[116:117], v[19:22], off offset:512 glc slc dlc
	global_store_b128 v[116:117], v[15:18], off offset:1024 glc slc dlc
	;; [unrolled: 1-line block ×3, first 2 shown]
	v_cmp_gt_i32_e32 vcc_lo, 1, v2
	v_add_co_u32 v116, s13, v116, v166
	s_delay_alu instid0(VALU_DEP_1) | instskip(SKIP_1) | instid1(SALU_CYCLE_1)
	v_add_co_ci_u32_e64 v117, s13, v117, v167, s13
	s_or_b32 s34, vcc_lo, s34
	s_and_not1_b32 exec_lo, exec_lo, s34
	s_cbranch_execz .LBB6_3272
.LBB6_394:                              ;   Parent Loop BB6_51 Depth=1
                                        ;     Parent Loop BB6_303 Depth=2
                                        ;       Parent Loop BB6_305 Depth=3
                                        ; =>      This Inner Loop Header: Depth=4
	s_clause 0x3
	global_load_b128 v[48:51], v[112:113], off slc dlc
	global_load_b128 v[32:35], v[112:113], off offset:512 slc dlc
	global_load_b128 v[20:23], v[112:113], off offset:1024 slc dlc
	;; [unrolled: 1-line block ×3, first 2 shown]
	s_clause 0x3
	global_load_b128 v[36:39], v[114:115], off slc dlc
	global_load_b128 v[24:27], v[114:115], off offset:512 slc dlc
	global_load_b128 v[16:19], v[114:115], off offset:1024 slc dlc
	;; [unrolled: 1-line block ×3, first 2 shown]
	s_and_b32 vcc_lo, exec_lo, s35
	s_waitcnt vmcnt(7)
	v_and_b32_e32 v182, 0xff, v48
	s_delay_alu instid0(VALU_DEP_1)
	v_cmp_lt_i16_e64 s13, 0x7f, v182
	s_cbranch_vccz .LBB6_404
; %bb.395:                              ;   in Loop: Header=BB6_394 Depth=4
	s_mov_b32 s36, 0
                                        ; implicit-def: $sgpr37
	s_delay_alu instid0(VALU_DEP_1) | instskip(NEXT) | instid1(SALU_CYCLE_1)
	s_and_saveexec_b32 vcc_lo, s13
	s_xor_b32 s13, exec_lo, vcc_lo
	s_cbranch_execnz .LBB6_2248
; %bb.396:                              ;   in Loop: Header=BB6_394 Depth=4
	s_or_saveexec_b32 s13, s13
	v_mov_b32_e32 v183, s37
	s_xor_b32 exec_lo, exec_lo, s13
	s_cbranch_execnz .LBB6_2251
.LBB6_397:                              ;   in Loop: Header=BB6_394 Depth=4
	s_or_b32 exec_lo, exec_lo, s13
	s_and_saveexec_b32 s13, s36
	s_cbranch_execz .LBB6_399
.LBB6_398:                              ;   in Loop: Header=BB6_394 Depth=4
	v_and_b32_e32 v183, 7, v48
	v_bfe_u32 v42, v48, 3, 4
	v_lshlrev_b32_e32 v43, 24, v48
	s_delay_alu instid0(VALU_DEP_3) | instskip(NEXT) | instid1(VALU_DEP_3)
	v_clz_i32_u32_e32 v40, v183
	v_cmp_eq_u32_e32 vcc_lo, 0, v42
	s_delay_alu instid0(VALU_DEP_2) | instskip(NEXT) | instid1(VALU_DEP_1)
	v_min_u32_e32 v40, 32, v40
	v_subrev_nc_u32_e32 v41, 28, v40
	v_sub_nc_u32_e32 v40, 29, v40
	s_delay_alu instid0(VALU_DEP_2) | instskip(NEXT) | instid1(VALU_DEP_1)
	v_lshlrev_b32_e32 v41, v41, v48
	v_dual_cndmask_b32 v40, v42, v40 :: v_dual_and_b32 v41, 7, v41
	s_delay_alu instid0(VALU_DEP_1) | instskip(NEXT) | instid1(VALU_DEP_2)
	v_lshl_add_u32 v40, v40, 23, 0x3b800000
	v_cndmask_b32_e32 v183, v183, v41, vcc_lo
	v_and_b32_e32 v41, 0x80000000, v43
	s_delay_alu instid0(VALU_DEP_2) | instskip(NEXT) | instid1(VALU_DEP_1)
	v_lshlrev_b32_e32 v183, 20, v183
	v_or3_b32 v183, v41, v40, v183
.LBB6_399:                              ;   in Loop: Header=BB6_394 Depth=4
	s_or_b32 exec_lo, exec_lo, s13
	s_waitcnt vmcnt(3)
	v_and_b32_e32 v41, 0xff, v36
	s_mov_b32 s13, 0
	s_mov_b32 s37, exec_lo
                                        ; implicit-def: $sgpr36
	s_delay_alu instid0(VALU_DEP_1)
	v_cmpx_lt_i16_e32 0x7f, v41
	s_xor_b32 s37, exec_lo, s37
	s_cbranch_execnz .LBB6_2252
; %bb.400:                              ;   in Loop: Header=BB6_394 Depth=4
	s_or_saveexec_b32 s37, s37
	v_mov_b32_e32 v40, s36
	s_xor_b32 exec_lo, exec_lo, s37
	s_cbranch_execnz .LBB6_2255
.LBB6_401:                              ;   in Loop: Header=BB6_394 Depth=4
	s_or_b32 exec_lo, exec_lo, s37
	s_and_saveexec_b32 s36, s13
	s_cbranch_execz .LBB6_403
.LBB6_402:                              ;   in Loop: Header=BB6_394 Depth=4
	v_bfe_u32 v43, v36, 3, 4
	v_lshlrev_b32_e32 v44, 24, v36
	s_delay_alu instid0(VALU_DEP_2) | instskip(SKIP_1) | instid1(VALU_DEP_1)
	v_cmp_eq_u32_e32 vcc_lo, 0, v43
	v_and_b32_e32 v40, 7, v36
	v_clz_i32_u32_e32 v41, v40
	s_delay_alu instid0(VALU_DEP_1) | instskip(NEXT) | instid1(VALU_DEP_1)
	v_min_u32_e32 v41, 32, v41
	v_subrev_nc_u32_e32 v42, 28, v41
	v_sub_nc_u32_e32 v41, 29, v41
	s_delay_alu instid0(VALU_DEP_1) | instskip(NEXT) | instid1(VALU_DEP_1)
	v_dual_cndmask_b32 v41, v43, v41 :: v_dual_lshlrev_b32 v42, v42, v36
	v_and_b32_e32 v42, 7, v42
	s_delay_alu instid0(VALU_DEP_2) | instskip(NEXT) | instid1(VALU_DEP_2)
	v_lshl_add_u32 v41, v41, 23, 0x3b800000
	v_cndmask_b32_e32 v40, v40, v42, vcc_lo
	v_and_b32_e32 v42, 0x80000000, v44
	s_delay_alu instid0(VALU_DEP_2) | instskip(NEXT) | instid1(VALU_DEP_1)
	v_lshlrev_b32_e32 v40, 20, v40
	v_or3_b32 v40, v42, v41, v40
.LBB6_403:                              ;   in Loop: Header=BB6_394 Depth=4
	s_or_b32 exec_lo, exec_lo, s36
	s_delay_alu instid0(VALU_DEP_1) | instskip(SKIP_1) | instid1(VALU_DEP_1)
	v_dual_max_f32 v40, v40, v40 :: v_dual_max_f32 v183, v183, v183
	s_mov_b32 s13, 0
	v_max_f32_e32 v183, v183, v40
	s_branch .LBB6_405
.LBB6_404:                              ;   in Loop: Header=BB6_394 Depth=4
	s_mov_b32 s13, -1
                                        ; implicit-def: $vgpr183
.LBB6_405:                              ;   in Loop: Header=BB6_394 Depth=4
	s_delay_alu instid0(SALU_CYCLE_1)
	s_and_b32 vcc_lo, exec_lo, s13
	s_cbranch_vccz .LBB6_415
; %bb.406:                              ;   in Loop: Header=BB6_394 Depth=4
	s_mov_b32 s13, 0
	s_mov_b32 s37, exec_lo
                                        ; implicit-def: $sgpr36
	v_cmpx_lt_i16_e64 0x7f, v182
	s_xor_b32 s37, exec_lo, s37
	s_cbranch_execnz .LBB6_2256
; %bb.407:                              ;   in Loop: Header=BB6_394 Depth=4
	s_or_saveexec_b32 s37, s37
	v_mov_b32_e32 v183, s36
	s_xor_b32 exec_lo, exec_lo, s37
	s_cbranch_execnz .LBB6_2259
.LBB6_408:                              ;   in Loop: Header=BB6_394 Depth=4
	s_or_b32 exec_lo, exec_lo, s37
	s_and_saveexec_b32 s36, s13
	s_cbranch_execz .LBB6_410
.LBB6_409:                              ;   in Loop: Header=BB6_394 Depth=4
	v_bfe_u32 v41, v48, 3, 4
	v_lshlrev_b32_e32 v42, 24, v48
	s_delay_alu instid0(VALU_DEP_2) | instskip(SKIP_1) | instid1(VALU_DEP_1)
	v_cmp_eq_u32_e32 vcc_lo, 0, v41
	v_and_b32_e32 v182, 7, v48
	v_clz_i32_u32_e32 v183, v182
	s_delay_alu instid0(VALU_DEP_1) | instskip(NEXT) | instid1(VALU_DEP_1)
	v_min_u32_e32 v183, 32, v183
	v_subrev_nc_u32_e32 v40, 28, v183
	v_sub_nc_u32_e32 v183, 29, v183
	s_delay_alu instid0(VALU_DEP_1) | instskip(NEXT) | instid1(VALU_DEP_1)
	v_dual_cndmask_b32 v183, v41, v183 :: v_dual_lshlrev_b32 v40, v40, v48
	v_and_b32_e32 v40, 7, v40
	s_delay_alu instid0(VALU_DEP_2) | instskip(NEXT) | instid1(VALU_DEP_2)
	v_lshl_add_u32 v183, v183, 23, 0x3b800000
	v_cndmask_b32_e32 v182, v182, v40, vcc_lo
	v_and_b32_e32 v40, 0x80000000, v42
	s_delay_alu instid0(VALU_DEP_2) | instskip(NEXT) | instid1(VALU_DEP_1)
	v_lshlrev_b32_e32 v182, 20, v182
	v_or3_b32 v183, v40, v183, v182
.LBB6_410:                              ;   in Loop: Header=BB6_394 Depth=4
	s_or_b32 exec_lo, exec_lo, s36
	s_waitcnt vmcnt(3)
	v_and_b32_e32 v40, 0xff, v36
	s_mov_b32 s13, 0
	s_mov_b32 s37, exec_lo
                                        ; implicit-def: $sgpr36
	s_delay_alu instid0(VALU_DEP_1)
	v_cmpx_lt_i16_e32 0x7f, v40
	s_xor_b32 s37, exec_lo, s37
	s_cbranch_execnz .LBB6_2260
; %bb.411:                              ;   in Loop: Header=BB6_394 Depth=4
	s_or_saveexec_b32 s37, s37
	v_mov_b32_e32 v182, s36
	s_xor_b32 exec_lo, exec_lo, s37
	s_cbranch_execnz .LBB6_2263
.LBB6_412:                              ;   in Loop: Header=BB6_394 Depth=4
	s_or_b32 exec_lo, exec_lo, s37
	s_and_saveexec_b32 s36, s13
	s_cbranch_execz .LBB6_414
.LBB6_413:                              ;   in Loop: Header=BB6_394 Depth=4
	v_and_b32_e32 v182, 7, v36
	v_bfe_u32 v42, v36, 3, 4
	s_delay_alu instid0(VALU_DEP_2) | instskip(NEXT) | instid1(VALU_DEP_2)
	v_clz_i32_u32_e32 v40, v182
	v_cmp_eq_u32_e32 vcc_lo, 0, v42
	s_delay_alu instid0(VALU_DEP_2) | instskip(NEXT) | instid1(VALU_DEP_1)
	v_min_u32_e32 v40, 32, v40
	v_subrev_nc_u32_e32 v41, 28, v40
	v_sub_nc_u32_e32 v40, 29, v40
	s_delay_alu instid0(VALU_DEP_2) | instskip(NEXT) | instid1(VALU_DEP_1)
	v_lshlrev_b32_e32 v41, v41, v36
	v_dual_cndmask_b32 v40, v42, v40 :: v_dual_and_b32 v41, 7, v41
	v_lshlrev_b32_e32 v43, 24, v36
	s_delay_alu instid0(VALU_DEP_2) | instskip(NEXT) | instid1(VALU_DEP_2)
	v_lshl_add_u32 v40, v40, 23, 0x3b800000
	v_dual_cndmask_b32 v182, v182, v41 :: v_dual_and_b32 v41, 0x80000000, v43
	s_delay_alu instid0(VALU_DEP_1) | instskip(NEXT) | instid1(VALU_DEP_1)
	v_lshlrev_b32_e32 v182, 20, v182
	v_or3_b32 v182, v41, v40, v182
.LBB6_414:                              ;   in Loop: Header=BB6_394 Depth=4
	s_or_b32 exec_lo, exec_lo, s36
	s_delay_alu instid0(VALU_DEP_1) | instskip(NEXT) | instid1(VALU_DEP_1)
	v_dual_max_f32 v182, v182, v182 :: v_dual_max_f32 v183, v183, v183
	v_min_f32_e32 v183, v183, v182
.LBB6_415:                              ;   in Loop: Header=BB6_394 Depth=4
	s_delay_alu instid0(VALU_DEP_1) | instskip(NEXT) | instid1(VALU_DEP_1)
	v_and_b32_e32 v182, 0x7f800000, v183
	v_cmp_ne_u32_e32 vcc_lo, 0x7f800000, v182
	v_mov_b32_e32 v182, 0x80
	s_and_saveexec_b32 s36, vcc_lo
	s_cbranch_execz .LBB6_423
; %bb.416:                              ;   in Loop: Header=BB6_394 Depth=4
	v_mov_b32_e32 v182, 0
	s_mov_b32 s37, exec_lo
	v_cmpx_ne_u32_e32 0, v183
	s_cbranch_execz .LBB6_422
; %bb.417:                              ;   in Loop: Header=BB6_394 Depth=4
	v_bfe_u32 v182, v183, 23, 8
	s_delay_alu instid0(VALU_DEP_1) | instskip(SKIP_1) | instid1(VALU_DEP_2)
	v_sub_nc_u32_e32 v41, 0x78, v182
	v_cmp_gt_u32_e32 vcc_lo, 0x79, v182
	v_dual_cndmask_b32 v41, 0, v41 :: v_dual_and_b32 v40, 0x7fffff, v183
	s_delay_alu instid0(VALU_DEP_1) | instskip(SKIP_2) | instid1(VALU_DEP_4)
	v_or_b32_e32 v42, 0x800000, v40
	v_cmp_eq_u32_e32 vcc_lo, 0, v182
	v_add_nc_u32_e32 v182, 0xffffff89, v182
	v_cndmask_b32_e64 v41, v41, 0x77, vcc_lo
	s_delay_alu instid0(VALU_DEP_2) | instskip(SKIP_1) | instid1(VALU_DEP_3)
	v_cndmask_b32_e64 v182, v182, 0xffffff8a, vcc_lo
	v_cndmask_b32_e32 v40, v42, v40, vcc_lo
	v_lshl_add_u32 v42, 0x100000, v41, -1
	v_lshlrev_b32_e64 v45, v41, 0x80000
	s_delay_alu instid0(VALU_DEP_3) | instskip(SKIP_1) | instid1(VALU_DEP_4)
	v_lshrrev_b32_e32 v43, v41, v40
	v_add_nc_u32_e32 v41, v41, v182
	v_and_b32_e32 v40, v42, v40
	s_delay_alu instid0(VALU_DEP_3) | instskip(NEXT) | instid1(VALU_DEP_2)
	v_bfe_u32 v44, v43, 20, 1
	v_cmp_eq_u32_e64 s13, v40, v45
	s_delay_alu instid0(VALU_DEP_2) | instskip(NEXT) | instid1(VALU_DEP_1)
	v_add_nc_u32_e32 v42, -1, v44
	v_cndmask_b32_e64 v40, 0, v42, s13
	v_lshrrev_b32_e32 v42, 23, v43
	s_mov_b32 s13, exec_lo
	s_delay_alu instid0(VALU_DEP_2) | instskip(NEXT) | instid1(VALU_DEP_2)
	v_add_nc_u32_e32 v40, v40, v43
	v_xor_b32_e32 v42, 1, v42
	s_delay_alu instid0(VALU_DEP_2) | instskip(NEXT) | instid1(VALU_DEP_1)
	v_and_b32_e32 v182, 0xfffff, v40
	v_add_nc_u32_e32 v40, v182, v43
                                        ; implicit-def: $vgpr182
	s_delay_alu instid0(VALU_DEP_3)
	v_cmpx_ne_u32_e64 v41, v42
	s_xor_b32 s13, exec_lo, s13
; %bb.418:                              ;   in Loop: Header=BB6_394 Depth=4
	s_delay_alu instid0(VALU_DEP_2) | instskip(SKIP_2) | instid1(VALU_DEP_2)
	v_cmp_lt_u32_e32 vcc_lo, 0xffffff, v40
	v_sub_nc_u32_e32 v182, v41, v42
	v_cndmask_b32_e64 v41, 0, 1, vcc_lo
	v_add_co_ci_u32_e32 v182, vcc_lo, 0, v182, vcc_lo
	s_delay_alu instid0(VALU_DEP_2)
	v_lshrrev_b32_e32 v40, v41, v40
; %bb.419:                              ;   in Loop: Header=BB6_394 Depth=4
	s_and_not1_saveexec_b32 s13, s13
; %bb.420:                              ;   in Loop: Header=BB6_394 Depth=4
	s_delay_alu instid0(VALU_DEP_1)
	v_bfe_u32 v182, v40, 23, 1
; %bb.421:                              ;   in Loop: Header=BB6_394 Depth=4
	s_or_b32 exec_lo, exec_lo, s13
	v_lshrrev_b32_e32 v40, 20, v40
	s_delay_alu instid0(VALU_DEP_2) | instskip(SKIP_2) | instid1(VALU_DEP_2)
	v_cmp_gt_i32_e32 vcc_lo, 16, v182
	v_lshrrev_b32_e32 v183, 24, v183
	v_min_i32_e32 v41, 15, v182
	v_dual_cndmask_b32 v40, 7, v40 :: v_dual_and_b32 v183, 0x80, v183
	s_delay_alu instid0(VALU_DEP_1) | instskip(SKIP_1) | instid1(VALU_DEP_2)
	v_or_b32_e32 v182, v182, v40
	v_and_b32_e32 v42, 7, v40
	v_cmp_ne_u32_e32 vcc_lo, 0, v182
	v_lshlrev_b32_e32 v41, 3, v41
	s_delay_alu instid0(VALU_DEP_1) | instskip(NEXT) | instid1(VALU_DEP_1)
	v_or3_b32 v183, v41, v183, v42
	v_cndmask_b32_e32 v182, 0, v183, vcc_lo
.LBB6_422:                              ;   in Loop: Header=BB6_394 Depth=4
	s_or_b32 exec_lo, exec_lo, s37
.LBB6_423:                              ;   in Loop: Header=BB6_394 Depth=4
	s_delay_alu instid0(SALU_CYCLE_1) | instskip(SKIP_4) | instid1(VALU_DEP_2)
	s_or_b32 exec_lo, exec_lo, s36
	v_lshrrev_b16 v40, 8, v48
	s_waitcnt vmcnt(3)
	v_lshrrev_b16 v183, 8, v36
	s_and_b32 vcc_lo, exec_lo, s35
	v_cmp_lt_i16_e64 s13, 0x7f, v40
	s_cbranch_vccz .LBB6_433
; %bb.424:                              ;   in Loop: Header=BB6_394 Depth=4
	s_mov_b32 s36, 0
                                        ; implicit-def: $sgpr37
	s_delay_alu instid0(VALU_DEP_1) | instskip(NEXT) | instid1(SALU_CYCLE_1)
	s_and_saveexec_b32 vcc_lo, s13
	s_xor_b32 s13, exec_lo, vcc_lo
	s_cbranch_execnz .LBB6_2264
; %bb.425:                              ;   in Loop: Header=BB6_394 Depth=4
	s_or_saveexec_b32 s13, s13
	v_mov_b32_e32 v41, s37
	s_xor_b32 exec_lo, exec_lo, s13
	s_cbranch_execnz .LBB6_2267
.LBB6_426:                              ;   in Loop: Header=BB6_394 Depth=4
	s_or_b32 exec_lo, exec_lo, s13
	s_and_saveexec_b32 s13, s36
	s_cbranch_execz .LBB6_428
.LBB6_427:                              ;   in Loop: Header=BB6_394 Depth=4
	v_and_b32_e32 v41, 0xffff, v40
	v_lshlrev_b32_e32 v45, 16, v48
	s_delay_alu instid0(VALU_DEP_2) | instskip(NEXT) | instid1(VALU_DEP_1)
	v_and_b32_e32 v42, 7, v41
	v_clz_i32_u32_e32 v43, v42
	s_delay_alu instid0(VALU_DEP_1) | instskip(NEXT) | instid1(VALU_DEP_1)
	v_min_u32_e32 v43, 32, v43
	v_subrev_nc_u32_e32 v44, 28, v43
	v_sub_nc_u32_e32 v43, 29, v43
	s_delay_alu instid0(VALU_DEP_2) | instskip(SKIP_1) | instid1(VALU_DEP_2)
	v_lshlrev_b32_e32 v44, v44, v41
	v_bfe_u32 v41, v41, 3, 4
	v_and_b32_e32 v44, 7, v44
	s_delay_alu instid0(VALU_DEP_2) | instskip(NEXT) | instid1(VALU_DEP_2)
	v_cmp_eq_u32_e32 vcc_lo, 0, v41
	v_dual_cndmask_b32 v41, v41, v43 :: v_dual_cndmask_b32 v42, v42, v44
	v_and_b32_e32 v43, 0x80000000, v45
	s_delay_alu instid0(VALU_DEP_2) | instskip(NEXT) | instid1(VALU_DEP_3)
	v_lshl_add_u32 v41, v41, 23, 0x3b800000
	v_lshlrev_b32_e32 v42, 20, v42
	s_delay_alu instid0(VALU_DEP_1)
	v_or3_b32 v41, v43, v41, v42
.LBB6_428:                              ;   in Loop: Header=BB6_394 Depth=4
	s_or_b32 exec_lo, exec_lo, s13
	s_mov_b32 s13, 0
	s_mov_b32 s37, exec_lo
                                        ; implicit-def: $sgpr36
	v_cmpx_lt_i16_e64 0x7f, v183
	s_xor_b32 s37, exec_lo, s37
	s_cbranch_execnz .LBB6_2268
; %bb.429:                              ;   in Loop: Header=BB6_394 Depth=4
	s_or_saveexec_b32 s37, s37
	v_mov_b32_e32 v42, s36
	s_xor_b32 exec_lo, exec_lo, s37
	s_cbranch_execnz .LBB6_2271
.LBB6_430:                              ;   in Loop: Header=BB6_394 Depth=4
	s_or_b32 exec_lo, exec_lo, s37
	s_and_saveexec_b32 s36, s13
	s_cbranch_execz .LBB6_432
.LBB6_431:                              ;   in Loop: Header=BB6_394 Depth=4
	v_and_b32_e32 v42, 0xffff, v183
	v_lshlrev_b32_e32 v46, 16, v36
	s_delay_alu instid0(VALU_DEP_2) | instskip(NEXT) | instid1(VALU_DEP_1)
	v_and_b32_e32 v43, 7, v42
	v_clz_i32_u32_e32 v44, v43
	s_delay_alu instid0(VALU_DEP_1) | instskip(NEXT) | instid1(VALU_DEP_1)
	v_min_u32_e32 v44, 32, v44
	v_subrev_nc_u32_e32 v45, 28, v44
	v_sub_nc_u32_e32 v44, 29, v44
	s_delay_alu instid0(VALU_DEP_2) | instskip(SKIP_1) | instid1(VALU_DEP_2)
	v_lshlrev_b32_e32 v45, v45, v42
	v_bfe_u32 v42, v42, 3, 4
	v_and_b32_e32 v45, 7, v45
	s_delay_alu instid0(VALU_DEP_2) | instskip(NEXT) | instid1(VALU_DEP_2)
	v_cmp_eq_u32_e32 vcc_lo, 0, v42
	v_dual_cndmask_b32 v42, v42, v44 :: v_dual_cndmask_b32 v43, v43, v45
	v_and_b32_e32 v44, 0x80000000, v46
	s_delay_alu instid0(VALU_DEP_2) | instskip(NEXT) | instid1(VALU_DEP_3)
	v_lshl_add_u32 v42, v42, 23, 0x3b800000
	v_lshlrev_b32_e32 v43, 20, v43
	s_delay_alu instid0(VALU_DEP_1)
	v_or3_b32 v42, v44, v42, v43
.LBB6_432:                              ;   in Loop: Header=BB6_394 Depth=4
	s_or_b32 exec_lo, exec_lo, s36
	s_delay_alu instid0(VALU_DEP_1) | instskip(SKIP_1) | instid1(VALU_DEP_1)
	v_dual_max_f32 v42, v42, v42 :: v_dual_max_f32 v41, v41, v41
	s_mov_b32 s13, 0
	v_max_f32_e32 v41, v41, v42
	s_branch .LBB6_434
.LBB6_433:                              ;   in Loop: Header=BB6_394 Depth=4
	s_mov_b32 s13, -1
                                        ; implicit-def: $vgpr41
.LBB6_434:                              ;   in Loop: Header=BB6_394 Depth=4
	s_delay_alu instid0(SALU_CYCLE_1)
	s_and_b32 vcc_lo, exec_lo, s13
	s_cbranch_vccz .LBB6_444
; %bb.435:                              ;   in Loop: Header=BB6_394 Depth=4
	s_mov_b32 s13, 0
	s_mov_b32 s37, exec_lo
                                        ; implicit-def: $sgpr36
	v_cmpx_lt_i16_e32 0x7f, v40
	s_xor_b32 s37, exec_lo, s37
	s_cbranch_execnz .LBB6_2272
; %bb.436:                              ;   in Loop: Header=BB6_394 Depth=4
	s_or_saveexec_b32 s37, s37
	v_mov_b32_e32 v41, s36
	s_xor_b32 exec_lo, exec_lo, s37
	s_cbranch_execnz .LBB6_2275
.LBB6_437:                              ;   in Loop: Header=BB6_394 Depth=4
	s_or_b32 exec_lo, exec_lo, s37
	s_and_saveexec_b32 s36, s13
	s_cbranch_execz .LBB6_439
.LBB6_438:                              ;   in Loop: Header=BB6_394 Depth=4
	v_and_b32_e32 v40, 0xffff, v40
	v_lshlrev_b32_e32 v44, 16, v48
	s_delay_alu instid0(VALU_DEP_2) | instskip(NEXT) | instid1(VALU_DEP_1)
	v_and_b32_e32 v41, 7, v40
	v_clz_i32_u32_e32 v42, v41
	s_delay_alu instid0(VALU_DEP_1) | instskip(NEXT) | instid1(VALU_DEP_1)
	v_min_u32_e32 v42, 32, v42
	v_subrev_nc_u32_e32 v43, 28, v42
	v_sub_nc_u32_e32 v42, 29, v42
	s_delay_alu instid0(VALU_DEP_2) | instskip(SKIP_1) | instid1(VALU_DEP_2)
	v_lshlrev_b32_e32 v43, v43, v40
	v_bfe_u32 v40, v40, 3, 4
	v_and_b32_e32 v43, 7, v43
	s_delay_alu instid0(VALU_DEP_2) | instskip(NEXT) | instid1(VALU_DEP_2)
	v_cmp_eq_u32_e32 vcc_lo, 0, v40
	v_dual_cndmask_b32 v40, v40, v42 :: v_dual_cndmask_b32 v41, v41, v43
	v_and_b32_e32 v42, 0x80000000, v44
	s_delay_alu instid0(VALU_DEP_2) | instskip(NEXT) | instid1(VALU_DEP_3)
	v_lshl_add_u32 v40, v40, 23, 0x3b800000
	v_lshlrev_b32_e32 v41, 20, v41
	s_delay_alu instid0(VALU_DEP_1)
	v_or3_b32 v41, v42, v40, v41
.LBB6_439:                              ;   in Loop: Header=BB6_394 Depth=4
	s_or_b32 exec_lo, exec_lo, s36
	s_mov_b32 s13, 0
	s_mov_b32 s37, exec_lo
                                        ; implicit-def: $sgpr36
	v_cmpx_lt_i16_e64 0x7f, v183
	s_xor_b32 s37, exec_lo, s37
	s_cbranch_execnz .LBB6_2276
; %bb.440:                              ;   in Loop: Header=BB6_394 Depth=4
	s_or_saveexec_b32 s37, s37
	v_mov_b32_e32 v40, s36
	s_xor_b32 exec_lo, exec_lo, s37
	s_cbranch_execnz .LBB6_2279
.LBB6_441:                              ;   in Loop: Header=BB6_394 Depth=4
	s_or_b32 exec_lo, exec_lo, s37
	s_and_saveexec_b32 s36, s13
	s_cbranch_execz .LBB6_443
.LBB6_442:                              ;   in Loop: Header=BB6_394 Depth=4
	v_and_b32_e32 v183, 0xffff, v183
	v_lshlrev_b32_e32 v44, 16, v36
	s_delay_alu instid0(VALU_DEP_2) | instskip(NEXT) | instid1(VALU_DEP_1)
	v_and_b32_e32 v40, 7, v183
	v_clz_i32_u32_e32 v42, v40
	s_delay_alu instid0(VALU_DEP_1) | instskip(NEXT) | instid1(VALU_DEP_1)
	v_min_u32_e32 v42, 32, v42
	v_subrev_nc_u32_e32 v43, 28, v42
	v_sub_nc_u32_e32 v42, 29, v42
	s_delay_alu instid0(VALU_DEP_2) | instskip(SKIP_1) | instid1(VALU_DEP_2)
	v_lshlrev_b32_e32 v43, v43, v183
	v_bfe_u32 v183, v183, 3, 4
	v_and_b32_e32 v43, 7, v43
	s_delay_alu instid0(VALU_DEP_2) | instskip(NEXT) | instid1(VALU_DEP_2)
	v_cmp_eq_u32_e32 vcc_lo, 0, v183
	v_dual_cndmask_b32 v183, v183, v42 :: v_dual_cndmask_b32 v40, v40, v43
	v_and_b32_e32 v42, 0x80000000, v44
	s_delay_alu instid0(VALU_DEP_2) | instskip(NEXT) | instid1(VALU_DEP_3)
	v_lshl_add_u32 v183, v183, 23, 0x3b800000
	v_lshlrev_b32_e32 v40, 20, v40
	s_delay_alu instid0(VALU_DEP_1)
	v_or3_b32 v40, v42, v183, v40
.LBB6_443:                              ;   in Loop: Header=BB6_394 Depth=4
	s_or_b32 exec_lo, exec_lo, s36
	s_delay_alu instid0(VALU_DEP_1) | instskip(NEXT) | instid1(VALU_DEP_1)
	v_dual_max_f32 v183, v40, v40 :: v_dual_max_f32 v40, v41, v41
	v_min_f32_e32 v41, v40, v183
.LBB6_444:                              ;   in Loop: Header=BB6_394 Depth=4
	s_delay_alu instid0(VALU_DEP_1) | instskip(NEXT) | instid1(VALU_DEP_1)
	v_and_b32_e32 v183, 0x7f800000, v41
	v_cmp_ne_u32_e32 vcc_lo, 0x7f800000, v183
	v_mov_b32_e32 v183, 0x80
	s_and_saveexec_b32 s36, vcc_lo
	s_cbranch_execz .LBB6_452
; %bb.445:                              ;   in Loop: Header=BB6_394 Depth=4
	v_mov_b32_e32 v183, 0
	s_mov_b32 s37, exec_lo
	v_cmpx_ne_u32_e32 0, v41
	s_cbranch_execz .LBB6_451
; %bb.446:                              ;   in Loop: Header=BB6_394 Depth=4
	v_bfe_u32 v183, v41, 23, 8
	v_and_b32_e32 v40, 0x7fffff, v41
	s_delay_alu instid0(VALU_DEP_2) | instskip(SKIP_1) | instid1(VALU_DEP_3)
	v_sub_nc_u32_e32 v42, 0x78, v183
	v_cmp_gt_u32_e32 vcc_lo, 0x79, v183
	v_or_b32_e32 v43, 0x800000, v40
	s_delay_alu instid0(VALU_DEP_3) | instskip(SKIP_2) | instid1(VALU_DEP_3)
	v_cndmask_b32_e32 v42, 0, v42, vcc_lo
	v_cmp_eq_u32_e32 vcc_lo, 0, v183
	v_add_nc_u32_e32 v183, 0xffffff89, v183
	v_cndmask_b32_e64 v42, v42, 0x77, vcc_lo
	v_cndmask_b32_e32 v40, v43, v40, vcc_lo
	s_delay_alu instid0(VALU_DEP_3) | instskip(NEXT) | instid1(VALU_DEP_3)
	v_cndmask_b32_e64 v183, v183, 0xffffff8a, vcc_lo
	v_lshl_add_u32 v43, 0x100000, v42, -1
	s_delay_alu instid0(VALU_DEP_3) | instskip(SKIP_1) | instid1(VALU_DEP_4)
	v_lshrrev_b32_e32 v44, v42, v40
	v_lshlrev_b32_e64 v46, v42, 0x80000
	v_add_nc_u32_e32 v42, v42, v183
	s_delay_alu instid0(VALU_DEP_4) | instskip(NEXT) | instid1(VALU_DEP_4)
	v_and_b32_e32 v40, v43, v40
	v_bfe_u32 v45, v44, 20, 1
	s_delay_alu instid0(VALU_DEP_2) | instskip(NEXT) | instid1(VALU_DEP_2)
	v_cmp_eq_u32_e64 s13, v40, v46
	v_add_nc_u32_e32 v43, -1, v45
	s_delay_alu instid0(VALU_DEP_1) | instskip(SKIP_2) | instid1(VALU_DEP_2)
	v_cndmask_b32_e64 v40, 0, v43, s13
	v_lshrrev_b32_e32 v43, 23, v44
	s_mov_b32 s13, exec_lo
	v_add_nc_u32_e32 v40, v40, v44
	s_delay_alu instid0(VALU_DEP_2) | instskip(NEXT) | instid1(VALU_DEP_2)
	v_xor_b32_e32 v43, 1, v43
	v_and_b32_e32 v183, 0xfffff, v40
	s_delay_alu instid0(VALU_DEP_1) | instskip(NEXT) | instid1(VALU_DEP_3)
	v_add_nc_u32_e32 v40, v183, v44
                                        ; implicit-def: $vgpr183
	v_cmpx_ne_u32_e64 v42, v43
	s_xor_b32 s13, exec_lo, s13
; %bb.447:                              ;   in Loop: Header=BB6_394 Depth=4
	s_delay_alu instid0(VALU_DEP_2) | instskip(SKIP_2) | instid1(VALU_DEP_2)
	v_cmp_lt_u32_e32 vcc_lo, 0xffffff, v40
	v_sub_nc_u32_e32 v183, v42, v43
	v_cndmask_b32_e64 v42, 0, 1, vcc_lo
	v_add_co_ci_u32_e32 v183, vcc_lo, 0, v183, vcc_lo
	s_delay_alu instid0(VALU_DEP_2)
	v_lshrrev_b32_e32 v40, v42, v40
; %bb.448:                              ;   in Loop: Header=BB6_394 Depth=4
	s_and_not1_saveexec_b32 s13, s13
; %bb.449:                              ;   in Loop: Header=BB6_394 Depth=4
	s_delay_alu instid0(VALU_DEP_1)
	v_bfe_u32 v183, v40, 23, 1
; %bb.450:                              ;   in Loop: Header=BB6_394 Depth=4
	s_or_b32 exec_lo, exec_lo, s13
	v_lshrrev_b32_e32 v40, 20, v40
	s_delay_alu instid0(VALU_DEP_2) | instskip(SKIP_2) | instid1(VALU_DEP_2)
	v_cmp_gt_i32_e32 vcc_lo, 16, v183
	v_lshrrev_b32_e32 v41, 24, v41
	v_min_i32_e32 v42, 15, v183
	v_dual_cndmask_b32 v40, 7, v40 :: v_dual_and_b32 v41, 0x80, v41
	s_delay_alu instid0(VALU_DEP_1) | instskip(SKIP_1) | instid1(VALU_DEP_2)
	v_or_b32_e32 v183, v183, v40
	v_and_b32_e32 v43, 7, v40
	v_cmp_ne_u32_e32 vcc_lo, 0, v183
	v_lshlrev_b32_e32 v42, 3, v42
	s_delay_alu instid0(VALU_DEP_1) | instskip(NEXT) | instid1(VALU_DEP_1)
	v_or3_b32 v40, v42, v41, v43
	v_cndmask_b32_e32 v183, 0, v40, vcc_lo
.LBB6_451:                              ;   in Loop: Header=BB6_394 Depth=4
	s_or_b32 exec_lo, exec_lo, s37
.LBB6_452:                              ;   in Loop: Header=BB6_394 Depth=4
	s_delay_alu instid0(SALU_CYCLE_1) | instskip(SKIP_3) | instid1(VALU_DEP_2)
	s_or_b32 exec_lo, exec_lo, s36
	v_lshrrev_b32_e32 v41, 16, v48
	v_lshrrev_b32_e32 v40, 16, v36
	s_and_b32 vcc_lo, exec_lo, s35
	v_and_b32_e32 v42, 0xff, v41
	s_delay_alu instid0(VALU_DEP_1)
	v_cmp_lt_i16_e64 s13, 0x7f, v42
	s_cbranch_vccz .LBB6_462
; %bb.453:                              ;   in Loop: Header=BB6_394 Depth=4
	s_mov_b32 s36, 0
                                        ; implicit-def: $sgpr37
	s_delay_alu instid0(VALU_DEP_1) | instskip(NEXT) | instid1(SALU_CYCLE_1)
	s_and_saveexec_b32 vcc_lo, s13
	s_xor_b32 s13, exec_lo, vcc_lo
	s_cbranch_execnz .LBB6_2280
; %bb.454:                              ;   in Loop: Header=BB6_394 Depth=4
	s_or_saveexec_b32 s13, s13
	v_mov_b32_e32 v43, s37
	s_xor_b32 exec_lo, exec_lo, s13
	s_cbranch_execnz .LBB6_2283
.LBB6_455:                              ;   in Loop: Header=BB6_394 Depth=4
	s_or_b32 exec_lo, exec_lo, s13
	s_and_saveexec_b32 s13, s36
	s_cbranch_execz .LBB6_457
.LBB6_456:                              ;   in Loop: Header=BB6_394 Depth=4
	v_bfe_u32 v43, v48, 16, 3
	v_bfe_u32 v46, v48, 19, 4
	v_lshlrev_b32_e32 v47, 24, v41
	s_delay_alu instid0(VALU_DEP_3) | instskip(NEXT) | instid1(VALU_DEP_3)
	v_clz_i32_u32_e32 v44, v43
	v_cmp_eq_u32_e32 vcc_lo, 0, v46
	s_delay_alu instid0(VALU_DEP_2) | instskip(NEXT) | instid1(VALU_DEP_1)
	v_min_u32_e32 v44, 32, v44
	v_subrev_nc_u32_e32 v45, 28, v44
	v_sub_nc_u32_e32 v44, 29, v44
	s_delay_alu instid0(VALU_DEP_1) | instskip(NEXT) | instid1(VALU_DEP_1)
	v_dual_cndmask_b32 v44, v46, v44 :: v_dual_lshlrev_b32 v45, v45, v41
	v_and_b32_e32 v45, 7, v45
	s_delay_alu instid0(VALU_DEP_2) | instskip(NEXT) | instid1(VALU_DEP_2)
	v_lshl_add_u32 v44, v44, 23, 0x3b800000
	v_cndmask_b32_e32 v43, v43, v45, vcc_lo
	v_and_b32_e32 v45, 0x80000000, v47
	s_delay_alu instid0(VALU_DEP_2) | instskip(NEXT) | instid1(VALU_DEP_1)
	v_lshlrev_b32_e32 v43, 20, v43
	v_or3_b32 v43, v45, v44, v43
.LBB6_457:                              ;   in Loop: Header=BB6_394 Depth=4
	s_or_b32 exec_lo, exec_lo, s13
	v_and_b32_e32 v45, 0xff, v40
	s_mov_b32 s13, 0
	s_mov_b32 s37, exec_lo
                                        ; implicit-def: $sgpr36
	s_delay_alu instid0(VALU_DEP_1)
	v_cmpx_lt_i16_e32 0x7f, v45
	s_xor_b32 s37, exec_lo, s37
	s_cbranch_execnz .LBB6_2284
; %bb.458:                              ;   in Loop: Header=BB6_394 Depth=4
	s_or_saveexec_b32 s37, s37
	v_mov_b32_e32 v44, s36
	s_xor_b32 exec_lo, exec_lo, s37
	s_cbranch_execnz .LBB6_2287
.LBB6_459:                              ;   in Loop: Header=BB6_394 Depth=4
	s_or_b32 exec_lo, exec_lo, s37
	s_and_saveexec_b32 s36, s13
	s_cbranch_execz .LBB6_461
.LBB6_460:                              ;   in Loop: Header=BB6_394 Depth=4
	v_bfe_u32 v44, v36, 16, 3
	v_bfe_u32 v47, v36, 19, 4
	v_lshlrev_b32_e32 v56, 24, v40
	s_delay_alu instid0(VALU_DEP_3) | instskip(NEXT) | instid1(VALU_DEP_3)
	v_clz_i32_u32_e32 v45, v44
	v_cmp_eq_u32_e32 vcc_lo, 0, v47
	s_delay_alu instid0(VALU_DEP_2) | instskip(NEXT) | instid1(VALU_DEP_1)
	v_min_u32_e32 v45, 32, v45
	v_subrev_nc_u32_e32 v46, 28, v45
	v_sub_nc_u32_e32 v45, 29, v45
	s_delay_alu instid0(VALU_DEP_1) | instskip(NEXT) | instid1(VALU_DEP_1)
	v_dual_cndmask_b32 v45, v47, v45 :: v_dual_lshlrev_b32 v46, v46, v40
	v_and_b32_e32 v46, 7, v46
	s_delay_alu instid0(VALU_DEP_2) | instskip(NEXT) | instid1(VALU_DEP_2)
	v_lshl_add_u32 v45, v45, 23, 0x3b800000
	v_cndmask_b32_e32 v44, v44, v46, vcc_lo
	v_and_b32_e32 v46, 0x80000000, v56
	s_delay_alu instid0(VALU_DEP_2) | instskip(NEXT) | instid1(VALU_DEP_1)
	v_lshlrev_b32_e32 v44, 20, v44
	v_or3_b32 v44, v46, v45, v44
.LBB6_461:                              ;   in Loop: Header=BB6_394 Depth=4
	s_or_b32 exec_lo, exec_lo, s36
	s_delay_alu instid0(VALU_DEP_1) | instskip(SKIP_1) | instid1(VALU_DEP_1)
	v_dual_max_f32 v44, v44, v44 :: v_dual_max_f32 v43, v43, v43
	s_mov_b32 s13, 0
	v_max_f32_e32 v43, v43, v44
	s_branch .LBB6_463
.LBB6_462:                              ;   in Loop: Header=BB6_394 Depth=4
	s_mov_b32 s13, -1
                                        ; implicit-def: $vgpr43
.LBB6_463:                              ;   in Loop: Header=BB6_394 Depth=4
	s_delay_alu instid0(SALU_CYCLE_1)
	s_and_b32 vcc_lo, exec_lo, s13
	s_cbranch_vccz .LBB6_473
; %bb.464:                              ;   in Loop: Header=BB6_394 Depth=4
	s_mov_b32 s13, 0
	s_mov_b32 s37, exec_lo
                                        ; implicit-def: $sgpr36
	v_cmpx_lt_i16_e32 0x7f, v42
	s_xor_b32 s37, exec_lo, s37
	s_cbranch_execnz .LBB6_2288
; %bb.465:                              ;   in Loop: Header=BB6_394 Depth=4
	s_or_saveexec_b32 s37, s37
	v_mov_b32_e32 v43, s36
	s_xor_b32 exec_lo, exec_lo, s37
	s_cbranch_execnz .LBB6_2291
.LBB6_466:                              ;   in Loop: Header=BB6_394 Depth=4
	s_or_b32 exec_lo, exec_lo, s37
	s_and_saveexec_b32 s36, s13
	s_cbranch_execz .LBB6_468
.LBB6_467:                              ;   in Loop: Header=BB6_394 Depth=4
	v_bfe_u32 v42, v48, 16, 3
	v_bfe_u32 v45, v48, 19, 4
	s_delay_alu instid0(VALU_DEP_2) | instskip(NEXT) | instid1(VALU_DEP_2)
	v_clz_i32_u32_e32 v43, v42
	v_cmp_eq_u32_e32 vcc_lo, 0, v45
	s_delay_alu instid0(VALU_DEP_2) | instskip(NEXT) | instid1(VALU_DEP_1)
	v_min_u32_e32 v43, 32, v43
	v_subrev_nc_u32_e32 v44, 28, v43
	v_sub_nc_u32_e32 v43, 29, v43
	s_delay_alu instid0(VALU_DEP_1) | instskip(NEXT) | instid1(VALU_DEP_1)
	v_dual_cndmask_b32 v43, v45, v43 :: v_dual_lshlrev_b32 v44, v44, v41
	v_and_b32_e32 v44, 7, v44
	v_lshlrev_b32_e32 v41, 24, v41
	s_delay_alu instid0(VALU_DEP_3) | instskip(NEXT) | instid1(VALU_DEP_2)
	v_lshl_add_u32 v43, v43, 23, 0x3b800000
	v_dual_cndmask_b32 v42, v42, v44 :: v_dual_and_b32 v41, 0x80000000, v41
	s_delay_alu instid0(VALU_DEP_1) | instskip(NEXT) | instid1(VALU_DEP_1)
	v_lshlrev_b32_e32 v42, 20, v42
	v_or3_b32 v43, v41, v43, v42
.LBB6_468:                              ;   in Loop: Header=BB6_394 Depth=4
	s_or_b32 exec_lo, exec_lo, s36
	v_and_b32_e32 v42, 0xff, v40
	s_mov_b32 s13, 0
	s_mov_b32 s37, exec_lo
                                        ; implicit-def: $sgpr36
	s_delay_alu instid0(VALU_DEP_1)
	v_cmpx_lt_i16_e32 0x7f, v42
	s_xor_b32 s37, exec_lo, s37
	s_cbranch_execnz .LBB6_2292
; %bb.469:                              ;   in Loop: Header=BB6_394 Depth=4
	s_or_saveexec_b32 s37, s37
	v_mov_b32_e32 v41, s36
	s_xor_b32 exec_lo, exec_lo, s37
	s_cbranch_execnz .LBB6_2295
.LBB6_470:                              ;   in Loop: Header=BB6_394 Depth=4
	s_or_b32 exec_lo, exec_lo, s37
	s_and_saveexec_b32 s36, s13
	s_cbranch_execz .LBB6_472
.LBB6_471:                              ;   in Loop: Header=BB6_394 Depth=4
	v_bfe_u32 v41, v36, 16, 3
	v_bfe_u32 v45, v36, 19, 4
	s_delay_alu instid0(VALU_DEP_2) | instskip(NEXT) | instid1(VALU_DEP_2)
	v_clz_i32_u32_e32 v42, v41
	v_cmp_eq_u32_e32 vcc_lo, 0, v45
	s_delay_alu instid0(VALU_DEP_2) | instskip(NEXT) | instid1(VALU_DEP_1)
	v_min_u32_e32 v42, 32, v42
	v_subrev_nc_u32_e32 v44, 28, v42
	v_sub_nc_u32_e32 v42, 29, v42
	s_delay_alu instid0(VALU_DEP_2) | instskip(SKIP_1) | instid1(VALU_DEP_2)
	v_lshlrev_b32_e32 v44, v44, v40
	v_lshlrev_b32_e32 v40, 24, v40
	v_and_b32_e32 v44, 7, v44
	s_delay_alu instid0(VALU_DEP_2) | instskip(NEXT) | instid1(VALU_DEP_2)
	v_and_b32_e32 v40, 0x80000000, v40
	v_cndmask_b32_e32 v41, v41, v44, vcc_lo
	s_delay_alu instid0(VALU_DEP_1) | instskip(NEXT) | instid1(VALU_DEP_1)
	v_dual_cndmask_b32 v42, v45, v42 :: v_dual_lshlrev_b32 v41, 20, v41
	v_lshl_add_u32 v42, v42, 23, 0x3b800000
	s_delay_alu instid0(VALU_DEP_1)
	v_or3_b32 v41, v40, v42, v41
.LBB6_472:                              ;   in Loop: Header=BB6_394 Depth=4
	s_or_b32 exec_lo, exec_lo, s36
	s_delay_alu instid0(VALU_DEP_1) | instskip(NEXT) | instid1(VALU_DEP_1)
	v_dual_max_f32 v40, v41, v41 :: v_dual_max_f32 v41, v43, v43
	v_min_f32_e32 v43, v41, v40
.LBB6_473:                              ;   in Loop: Header=BB6_394 Depth=4
	s_delay_alu instid0(VALU_DEP_1) | instskip(NEXT) | instid1(VALU_DEP_1)
	v_and_b32_e32 v40, 0x7f800000, v43
	v_cmp_ne_u32_e32 vcc_lo, 0x7f800000, v40
	v_mov_b32_e32 v40, 0x80
	s_and_saveexec_b32 s36, vcc_lo
	s_cbranch_execz .LBB6_481
; %bb.474:                              ;   in Loop: Header=BB6_394 Depth=4
	v_mov_b32_e32 v40, 0
	s_mov_b32 s37, exec_lo
	v_cmpx_ne_u32_e32 0, v43
	s_cbranch_execz .LBB6_480
; %bb.475:                              ;   in Loop: Header=BB6_394 Depth=4
	v_bfe_u32 v40, v43, 23, 8
	s_delay_alu instid0(VALU_DEP_1) | instskip(SKIP_1) | instid1(VALU_DEP_2)
	v_sub_nc_u32_e32 v42, 0x78, v40
	v_cmp_gt_u32_e32 vcc_lo, 0x79, v40
	v_dual_cndmask_b32 v42, 0, v42 :: v_dual_and_b32 v41, 0x7fffff, v43
	s_delay_alu instid0(VALU_DEP_1) | instskip(SKIP_2) | instid1(VALU_DEP_4)
	v_or_b32_e32 v44, 0x800000, v41
	v_cmp_eq_u32_e32 vcc_lo, 0, v40
	v_add_nc_u32_e32 v40, 0xffffff89, v40
	v_cndmask_b32_e64 v42, v42, 0x77, vcc_lo
	s_delay_alu instid0(VALU_DEP_4) | instskip(NEXT) | instid1(VALU_DEP_3)
	v_cndmask_b32_e32 v41, v44, v41, vcc_lo
	v_cndmask_b32_e64 v40, v40, 0xffffff8a, vcc_lo
	s_delay_alu instid0(VALU_DEP_3) | instskip(NEXT) | instid1(VALU_DEP_3)
	v_lshl_add_u32 v44, 0x100000, v42, -1
	v_lshrrev_b32_e32 v45, v42, v41
	v_lshlrev_b32_e64 v47, v42, 0x80000
	s_delay_alu instid0(VALU_DEP_4) | instskip(NEXT) | instid1(VALU_DEP_4)
	v_add_nc_u32_e32 v42, v42, v40
	v_and_b32_e32 v41, v44, v41
	s_delay_alu instid0(VALU_DEP_4) | instskip(NEXT) | instid1(VALU_DEP_2)
	v_bfe_u32 v46, v45, 20, 1
	v_cmp_eq_u32_e64 s13, v41, v47
	s_delay_alu instid0(VALU_DEP_2) | instskip(NEXT) | instid1(VALU_DEP_1)
	v_add_nc_u32_e32 v44, -1, v46
	v_cndmask_b32_e64 v41, 0, v44, s13
	v_lshrrev_b32_e32 v44, 23, v45
	s_mov_b32 s13, exec_lo
	s_delay_alu instid0(VALU_DEP_2) | instskip(NEXT) | instid1(VALU_DEP_2)
	v_add_nc_u32_e32 v41, v41, v45
	v_xor_b32_e32 v44, 1, v44
	s_delay_alu instid0(VALU_DEP_2) | instskip(NEXT) | instid1(VALU_DEP_1)
	v_and_b32_e32 v40, 0xfffff, v41
	v_add_nc_u32_e32 v41, v40, v45
                                        ; implicit-def: $vgpr40
	s_delay_alu instid0(VALU_DEP_3)
	v_cmpx_ne_u32_e64 v42, v44
	s_xor_b32 s13, exec_lo, s13
; %bb.476:                              ;   in Loop: Header=BB6_394 Depth=4
	s_delay_alu instid0(VALU_DEP_2) | instskip(SKIP_2) | instid1(VALU_DEP_2)
	v_cmp_lt_u32_e32 vcc_lo, 0xffffff, v41
	v_sub_nc_u32_e32 v40, v42, v44
	v_cndmask_b32_e64 v42, 0, 1, vcc_lo
	v_add_co_ci_u32_e32 v40, vcc_lo, 0, v40, vcc_lo
	s_delay_alu instid0(VALU_DEP_2)
	v_lshrrev_b32_e32 v41, v42, v41
; %bb.477:                              ;   in Loop: Header=BB6_394 Depth=4
	s_and_not1_saveexec_b32 s13, s13
; %bb.478:                              ;   in Loop: Header=BB6_394 Depth=4
	s_delay_alu instid0(VALU_DEP_1)
	v_bfe_u32 v40, v41, 23, 1
; %bb.479:                              ;   in Loop: Header=BB6_394 Depth=4
	s_or_b32 exec_lo, exec_lo, s13
	v_lshrrev_b32_e32 v41, 20, v41
	s_delay_alu instid0(VALU_DEP_2) | instskip(SKIP_2) | instid1(VALU_DEP_2)
	v_cmp_gt_i32_e32 vcc_lo, 16, v40
	v_lshrrev_b32_e32 v42, 24, v43
	v_min_i32_e32 v43, 15, v40
	v_dual_cndmask_b32 v41, 7, v41 :: v_dual_and_b32 v42, 0x80, v42
	s_delay_alu instid0(VALU_DEP_1) | instskip(SKIP_1) | instid1(VALU_DEP_2)
	v_or_b32_e32 v40, v40, v41
	v_and_b32_e32 v44, 7, v41
	v_cmp_ne_u32_e32 vcc_lo, 0, v40
	v_lshlrev_b32_e32 v43, 3, v43
	s_delay_alu instid0(VALU_DEP_1) | instskip(NEXT) | instid1(VALU_DEP_1)
	v_or3_b32 v41, v43, v42, v44
	v_cndmask_b32_e32 v40, 0, v41, vcc_lo
.LBB6_480:                              ;   in Loop: Header=BB6_394 Depth=4
	s_or_b32 exec_lo, exec_lo, s37
.LBB6_481:                              ;   in Loop: Header=BB6_394 Depth=4
	s_delay_alu instid0(SALU_CYCLE_1) | instskip(SKIP_3) | instid1(VALU_DEP_2)
	s_or_b32 exec_lo, exec_lo, s36
	v_lshrrev_b32_e32 v42, 24, v48
	v_lshrrev_b32_e32 v41, 24, v36
	s_and_b32 vcc_lo, exec_lo, s35
	v_cmp_lt_i16_e64 s13, 0x7f, v42
	s_cbranch_vccz .LBB6_491
; %bb.482:                              ;   in Loop: Header=BB6_394 Depth=4
	s_mov_b32 s36, 0
                                        ; implicit-def: $sgpr37
	s_delay_alu instid0(VALU_DEP_1) | instskip(NEXT) | instid1(SALU_CYCLE_1)
	s_and_saveexec_b32 vcc_lo, s13
	s_xor_b32 s13, exec_lo, vcc_lo
	s_cbranch_execnz .LBB6_2296
; %bb.483:                              ;   in Loop: Header=BB6_394 Depth=4
	s_or_saveexec_b32 s13, s13
	v_mov_b32_e32 v43, s37
	s_xor_b32 exec_lo, exec_lo, s13
	s_cbranch_execnz .LBB6_2299
.LBB6_484:                              ;   in Loop: Header=BB6_394 Depth=4
	s_or_b32 exec_lo, exec_lo, s13
	s_and_saveexec_b32 s13, s36
	s_cbranch_execz .LBB6_486
.LBB6_485:                              ;   in Loop: Header=BB6_394 Depth=4
	v_bfe_u32 v43, v48, 24, 3
	v_bfe_u32 v46, v48, 27, 4
	s_delay_alu instid0(VALU_DEP_2) | instskip(NEXT) | instid1(VALU_DEP_2)
	v_clz_i32_u32_e32 v44, v43
	v_cmp_eq_u32_e32 vcc_lo, 0, v46
	s_delay_alu instid0(VALU_DEP_2) | instskip(NEXT) | instid1(VALU_DEP_1)
	v_min_u32_e32 v44, 32, v44
	v_subrev_nc_u32_e32 v45, 28, v44
	v_sub_nc_u32_e32 v44, 29, v44
	s_delay_alu instid0(VALU_DEP_1) | instskip(NEXT) | instid1(VALU_DEP_1)
	v_dual_cndmask_b32 v44, v46, v44 :: v_dual_lshlrev_b32 v45, v45, v42
	v_and_b32_e32 v45, 7, v45
	s_delay_alu instid0(VALU_DEP_2) | instskip(NEXT) | instid1(VALU_DEP_2)
	v_lshl_add_u32 v44, v44, 23, 0x3b800000
	v_cndmask_b32_e32 v43, v43, v45, vcc_lo
	v_and_b32_e32 v45, 0x80000000, v48
	s_delay_alu instid0(VALU_DEP_2) | instskip(NEXT) | instid1(VALU_DEP_1)
	v_lshlrev_b32_e32 v43, 20, v43
	v_or3_b32 v43, v45, v44, v43
.LBB6_486:                              ;   in Loop: Header=BB6_394 Depth=4
	s_or_b32 exec_lo, exec_lo, s13
	s_mov_b32 s13, 0
	s_mov_b32 s37, exec_lo
                                        ; implicit-def: $sgpr36
	v_cmpx_lt_i16_e32 0x7f, v41
	s_xor_b32 s37, exec_lo, s37
	s_cbranch_execnz .LBB6_2300
; %bb.487:                              ;   in Loop: Header=BB6_394 Depth=4
	s_or_saveexec_b32 s37, s37
	v_mov_b32_e32 v44, s36
	s_xor_b32 exec_lo, exec_lo, s37
	s_cbranch_execnz .LBB6_2303
.LBB6_488:                              ;   in Loop: Header=BB6_394 Depth=4
	s_or_b32 exec_lo, exec_lo, s37
	s_and_saveexec_b32 s36, s13
	s_cbranch_execz .LBB6_490
.LBB6_489:                              ;   in Loop: Header=BB6_394 Depth=4
	v_bfe_u32 v44, v36, 24, 3
	v_bfe_u32 v47, v36, 27, 4
	s_delay_alu instid0(VALU_DEP_2) | instskip(NEXT) | instid1(VALU_DEP_2)
	v_clz_i32_u32_e32 v45, v44
	v_cmp_eq_u32_e32 vcc_lo, 0, v47
	s_delay_alu instid0(VALU_DEP_2) | instskip(NEXT) | instid1(VALU_DEP_1)
	v_min_u32_e32 v45, 32, v45
	v_subrev_nc_u32_e32 v46, 28, v45
	v_sub_nc_u32_e32 v45, 29, v45
	s_delay_alu instid0(VALU_DEP_2) | instskip(NEXT) | instid1(VALU_DEP_1)
	v_lshlrev_b32_e32 v46, v46, v41
	v_dual_cndmask_b32 v45, v47, v45 :: v_dual_and_b32 v46, 7, v46
	s_delay_alu instid0(VALU_DEP_1) | instskip(NEXT) | instid1(VALU_DEP_2)
	v_lshl_add_u32 v45, v45, 23, 0x3b800000
	v_cndmask_b32_e32 v44, v44, v46, vcc_lo
	v_and_b32_e32 v46, 0x80000000, v36
	s_delay_alu instid0(VALU_DEP_2) | instskip(NEXT) | instid1(VALU_DEP_1)
	v_lshlrev_b32_e32 v44, 20, v44
	v_or3_b32 v44, v46, v45, v44
.LBB6_490:                              ;   in Loop: Header=BB6_394 Depth=4
	s_or_b32 exec_lo, exec_lo, s36
	s_delay_alu instid0(VALU_DEP_1) | instskip(SKIP_1) | instid1(VALU_DEP_1)
	v_dual_max_f32 v44, v44, v44 :: v_dual_max_f32 v43, v43, v43
	s_mov_b32 s13, 0
	v_max_f32_e32 v43, v43, v44
	s_branch .LBB6_492
.LBB6_491:                              ;   in Loop: Header=BB6_394 Depth=4
	s_mov_b32 s13, -1
                                        ; implicit-def: $vgpr43
.LBB6_492:                              ;   in Loop: Header=BB6_394 Depth=4
	s_delay_alu instid0(SALU_CYCLE_1)
	s_and_b32 vcc_lo, exec_lo, s13
	s_cbranch_vccz .LBB6_502
; %bb.493:                              ;   in Loop: Header=BB6_394 Depth=4
	s_mov_b32 s13, 0
	s_mov_b32 s37, exec_lo
                                        ; implicit-def: $sgpr36
	v_cmpx_lt_i16_e32 0x7f, v42
	s_xor_b32 s37, exec_lo, s37
	s_cbranch_execnz .LBB6_2304
; %bb.494:                              ;   in Loop: Header=BB6_394 Depth=4
	s_or_saveexec_b32 s37, s37
	v_mov_b32_e32 v43, s36
	s_xor_b32 exec_lo, exec_lo, s37
	s_cbranch_execnz .LBB6_2307
.LBB6_495:                              ;   in Loop: Header=BB6_394 Depth=4
	s_or_b32 exec_lo, exec_lo, s37
	s_and_saveexec_b32 s36, s13
	s_cbranch_execz .LBB6_497
.LBB6_496:                              ;   in Loop: Header=BB6_394 Depth=4
	v_bfe_u32 v43, v48, 24, 3
	s_delay_alu instid0(VALU_DEP_1) | instskip(NEXT) | instid1(VALU_DEP_1)
	v_clz_i32_u32_e32 v44, v43
	v_min_u32_e32 v44, 32, v44
	s_delay_alu instid0(VALU_DEP_1) | instskip(SKIP_1) | instid1(VALU_DEP_2)
	v_subrev_nc_u32_e32 v45, 28, v44
	v_sub_nc_u32_e32 v44, 29, v44
	v_lshlrev_b32_e32 v42, v45, v42
	v_bfe_u32 v45, v48, 27, 4
	v_and_b32_e32 v48, 0x80000000, v48
	s_delay_alu instid0(VALU_DEP_3) | instskip(NEXT) | instid1(VALU_DEP_3)
	v_and_b32_e32 v42, 7, v42
	v_cmp_eq_u32_e32 vcc_lo, 0, v45
	v_cndmask_b32_e32 v44, v45, v44, vcc_lo
	s_delay_alu instid0(VALU_DEP_3) | instskip(NEXT) | instid1(VALU_DEP_2)
	v_cndmask_b32_e32 v42, v43, v42, vcc_lo
	v_lshl_add_u32 v43, v44, 23, 0x3b800000
	s_delay_alu instid0(VALU_DEP_2) | instskip(NEXT) | instid1(VALU_DEP_1)
	v_lshlrev_b32_e32 v42, 20, v42
	v_or3_b32 v43, v48, v43, v42
.LBB6_497:                              ;   in Loop: Header=BB6_394 Depth=4
	s_or_b32 exec_lo, exec_lo, s36
	s_mov_b32 s13, 0
	s_mov_b32 s37, exec_lo
                                        ; implicit-def: $sgpr36
	v_cmpx_lt_i16_e32 0x7f, v41
	s_xor_b32 s37, exec_lo, s37
	s_cbranch_execnz .LBB6_2308
; %bb.498:                              ;   in Loop: Header=BB6_394 Depth=4
	s_or_saveexec_b32 s37, s37
	v_mov_b32_e32 v48, s36
	s_xor_b32 exec_lo, exec_lo, s37
	s_cbranch_execnz .LBB6_2311
.LBB6_499:                              ;   in Loop: Header=BB6_394 Depth=4
	s_or_b32 exec_lo, exec_lo, s37
	s_and_saveexec_b32 s36, s13
	s_cbranch_execz .LBB6_501
.LBB6_500:                              ;   in Loop: Header=BB6_394 Depth=4
	v_bfe_u32 v48, v36, 24, 3
	s_delay_alu instid0(VALU_DEP_1) | instskip(NEXT) | instid1(VALU_DEP_1)
	v_clz_i32_u32_e32 v42, v48
	v_min_u32_e32 v42, 32, v42
	s_delay_alu instid0(VALU_DEP_1) | instskip(SKIP_1) | instid1(VALU_DEP_2)
	v_subrev_nc_u32_e32 v44, 28, v42
	v_sub_nc_u32_e32 v42, 29, v42
	v_lshlrev_b32_e32 v41, v44, v41
	v_bfe_u32 v44, v36, 27, 4
	v_and_b32_e32 v36, 0x80000000, v36
	s_delay_alu instid0(VALU_DEP_2) | instskip(NEXT) | instid1(VALU_DEP_4)
	v_cmp_eq_u32_e32 vcc_lo, 0, v44
	v_dual_cndmask_b32 v42, v44, v42 :: v_dual_and_b32 v41, 7, v41
	s_delay_alu instid0(VALU_DEP_1) | instskip(NEXT) | instid1(VALU_DEP_2)
	v_cndmask_b32_e32 v48, v48, v41, vcc_lo
	v_lshl_add_u32 v41, v42, 23, 0x3b800000
	s_delay_alu instid0(VALU_DEP_2) | instskip(NEXT) | instid1(VALU_DEP_1)
	v_lshlrev_b32_e32 v48, 20, v48
	v_or3_b32 v48, v36, v41, v48
.LBB6_501:                              ;   in Loop: Header=BB6_394 Depth=4
	s_or_b32 exec_lo, exec_lo, s36
	s_delay_alu instid0(VALU_DEP_1) | instskip(SKIP_1) | instid1(VALU_DEP_1)
	v_max_f32_e32 v36, v48, v48
	v_max_f32_e32 v48, v43, v43
	v_min_f32_e32 v43, v48, v36
.LBB6_502:                              ;   in Loop: Header=BB6_394 Depth=4
	s_delay_alu instid0(VALU_DEP_1) | instskip(NEXT) | instid1(VALU_DEP_1)
	v_and_b32_e32 v36, 0x7f800000, v43
	v_cmp_ne_u32_e32 vcc_lo, 0x7f800000, v36
	v_mov_b32_e32 v36, 0x80
	s_and_saveexec_b32 s36, vcc_lo
	s_cbranch_execz .LBB6_510
; %bb.503:                              ;   in Loop: Header=BB6_394 Depth=4
	v_mov_b32_e32 v36, 0
	s_mov_b32 s37, exec_lo
	v_cmpx_ne_u32_e32 0, v43
	s_cbranch_execz .LBB6_509
; %bb.504:                              ;   in Loop: Header=BB6_394 Depth=4
	v_bfe_u32 v36, v43, 23, 8
	s_delay_alu instid0(VALU_DEP_1) | instskip(SKIP_1) | instid1(VALU_DEP_2)
	v_sub_nc_u32_e32 v41, 0x78, v36
	v_cmp_gt_u32_e32 vcc_lo, 0x79, v36
	v_dual_cndmask_b32 v41, 0, v41 :: v_dual_and_b32 v48, 0x7fffff, v43
	s_delay_alu instid0(VALU_DEP_1) | instskip(SKIP_2) | instid1(VALU_DEP_4)
	v_or_b32_e32 v42, 0x800000, v48
	v_cmp_eq_u32_e32 vcc_lo, 0, v36
	v_add_nc_u32_e32 v36, 0xffffff89, v36
	v_cndmask_b32_e64 v41, v41, 0x77, vcc_lo
	s_delay_alu instid0(VALU_DEP_4) | instskip(NEXT) | instid1(VALU_DEP_3)
	v_cndmask_b32_e32 v48, v42, v48, vcc_lo
	v_cndmask_b32_e64 v36, v36, 0xffffff8a, vcc_lo
	s_delay_alu instid0(VALU_DEP_3) | instskip(NEXT) | instid1(VALU_DEP_3)
	v_lshl_add_u32 v42, 0x100000, v41, -1
	v_lshrrev_b32_e32 v44, v41, v48
	v_lshlrev_b32_e64 v46, v41, 0x80000
	s_delay_alu instid0(VALU_DEP_4) | instskip(NEXT) | instid1(VALU_DEP_4)
	v_add_nc_u32_e32 v41, v41, v36
	v_and_b32_e32 v48, v42, v48
	s_delay_alu instid0(VALU_DEP_4) | instskip(NEXT) | instid1(VALU_DEP_2)
	v_bfe_u32 v45, v44, 20, 1
	v_cmp_eq_u32_e64 s13, v48, v46
	s_delay_alu instid0(VALU_DEP_2) | instskip(NEXT) | instid1(VALU_DEP_1)
	v_add_nc_u32_e32 v42, -1, v45
	v_cndmask_b32_e64 v48, 0, v42, s13
	v_lshrrev_b32_e32 v42, 23, v44
	s_mov_b32 s13, exec_lo
	s_delay_alu instid0(VALU_DEP_2) | instskip(NEXT) | instid1(VALU_DEP_2)
	v_add_nc_u32_e32 v48, v48, v44
	v_xor_b32_e32 v42, 1, v42
	s_delay_alu instid0(VALU_DEP_2) | instskip(NEXT) | instid1(VALU_DEP_1)
	v_and_b32_e32 v36, 0xfffff, v48
	v_add_nc_u32_e32 v48, v36, v44
                                        ; implicit-def: $vgpr36
	s_delay_alu instid0(VALU_DEP_3)
	v_cmpx_ne_u32_e64 v41, v42
	s_xor_b32 s13, exec_lo, s13
; %bb.505:                              ;   in Loop: Header=BB6_394 Depth=4
	s_delay_alu instid0(VALU_DEP_2) | instskip(SKIP_2) | instid1(VALU_DEP_2)
	v_cmp_lt_u32_e32 vcc_lo, 0xffffff, v48
	v_sub_nc_u32_e32 v36, v41, v42
	v_cndmask_b32_e64 v41, 0, 1, vcc_lo
	v_add_co_ci_u32_e32 v36, vcc_lo, 0, v36, vcc_lo
	s_delay_alu instid0(VALU_DEP_2)
	v_lshrrev_b32_e32 v48, v41, v48
; %bb.506:                              ;   in Loop: Header=BB6_394 Depth=4
	s_and_not1_saveexec_b32 s13, s13
; %bb.507:                              ;   in Loop: Header=BB6_394 Depth=4
	s_delay_alu instid0(VALU_DEP_1)
	v_bfe_u32 v36, v48, 23, 1
; %bb.508:                              ;   in Loop: Header=BB6_394 Depth=4
	s_or_b32 exec_lo, exec_lo, s13
	v_lshrrev_b32_e32 v48, 20, v48
	s_delay_alu instid0(VALU_DEP_2) | instskip(SKIP_2) | instid1(VALU_DEP_2)
	v_cmp_gt_i32_e32 vcc_lo, 16, v36
	v_lshrrev_b32_e32 v41, 24, v43
	v_min_i32_e32 v42, 15, v36
	v_dual_cndmask_b32 v48, 7, v48 :: v_dual_and_b32 v41, 0x80, v41
	s_delay_alu instid0(VALU_DEP_2) | instskip(NEXT) | instid1(VALU_DEP_2)
	v_lshlrev_b32_e32 v42, 3, v42
	v_and_b32_e32 v43, 7, v48
	v_or_b32_e32 v36, v36, v48
	s_delay_alu instid0(VALU_DEP_2) | instskip(NEXT) | instid1(VALU_DEP_2)
	v_or3_b32 v48, v42, v41, v43
	v_cmp_ne_u32_e32 vcc_lo, 0, v36
	s_delay_alu instid0(VALU_DEP_2)
	v_cndmask_b32_e32 v36, 0, v48, vcc_lo
.LBB6_509:                              ;   in Loop: Header=BB6_394 Depth=4
	s_or_b32 exec_lo, exec_lo, s37
.LBB6_510:                              ;   in Loop: Header=BB6_394 Depth=4
	s_delay_alu instid0(SALU_CYCLE_1) | instskip(SKIP_2) | instid1(VALU_DEP_1)
	s_or_b32 exec_lo, exec_lo, s36
	v_and_b32_e32 v48, 0xff, v49
	s_and_b32 vcc_lo, exec_lo, s35
	v_cmp_lt_i16_e64 s13, 0x7f, v48
	s_cbranch_vccz .LBB6_520
; %bb.511:                              ;   in Loop: Header=BB6_394 Depth=4
	s_mov_b32 s36, 0
                                        ; implicit-def: $sgpr37
	s_delay_alu instid0(VALU_DEP_1) | instskip(NEXT) | instid1(SALU_CYCLE_1)
	s_and_saveexec_b32 vcc_lo, s13
	s_xor_b32 s13, exec_lo, vcc_lo
	s_cbranch_execnz .LBB6_2312
; %bb.512:                              ;   in Loop: Header=BB6_394 Depth=4
	s_or_saveexec_b32 s13, s13
	v_mov_b32_e32 v41, s37
	s_xor_b32 exec_lo, exec_lo, s13
	s_cbranch_execnz .LBB6_2315
.LBB6_513:                              ;   in Loop: Header=BB6_394 Depth=4
	s_or_b32 exec_lo, exec_lo, s13
	s_and_saveexec_b32 s13, s36
	s_cbranch_execz .LBB6_515
.LBB6_514:                              ;   in Loop: Header=BB6_394 Depth=4
	v_bfe_u32 v44, v49, 3, 4
	v_lshlrev_b32_e32 v45, 24, v49
	s_delay_alu instid0(VALU_DEP_2) | instskip(SKIP_1) | instid1(VALU_DEP_1)
	v_cmp_eq_u32_e32 vcc_lo, 0, v44
	v_and_b32_e32 v41, 7, v49
	v_clz_i32_u32_e32 v42, v41
	s_delay_alu instid0(VALU_DEP_1) | instskip(NEXT) | instid1(VALU_DEP_1)
	v_min_u32_e32 v42, 32, v42
	v_subrev_nc_u32_e32 v43, 28, v42
	v_sub_nc_u32_e32 v42, 29, v42
	s_delay_alu instid0(VALU_DEP_1) | instskip(NEXT) | instid1(VALU_DEP_1)
	v_dual_cndmask_b32 v42, v44, v42 :: v_dual_lshlrev_b32 v43, v43, v49
	v_and_b32_e32 v43, 7, v43
	s_delay_alu instid0(VALU_DEP_2) | instskip(NEXT) | instid1(VALU_DEP_2)
	v_lshl_add_u32 v42, v42, 23, 0x3b800000
	v_cndmask_b32_e32 v41, v41, v43, vcc_lo
	v_and_b32_e32 v43, 0x80000000, v45
	s_delay_alu instid0(VALU_DEP_2) | instskip(NEXT) | instid1(VALU_DEP_1)
	v_lshlrev_b32_e32 v41, 20, v41
	v_or3_b32 v41, v43, v42, v41
.LBB6_515:                              ;   in Loop: Header=BB6_394 Depth=4
	s_or_b32 exec_lo, exec_lo, s13
	v_and_b32_e32 v43, 0xff, v37
	s_mov_b32 s13, 0
	s_mov_b32 s37, exec_lo
                                        ; implicit-def: $sgpr36
	s_delay_alu instid0(VALU_DEP_1)
	v_cmpx_lt_i16_e32 0x7f, v43
	s_xor_b32 s37, exec_lo, s37
	s_cbranch_execnz .LBB6_2316
; %bb.516:                              ;   in Loop: Header=BB6_394 Depth=4
	s_or_saveexec_b32 s37, s37
	v_mov_b32_e32 v42, s36
	s_xor_b32 exec_lo, exec_lo, s37
	s_cbranch_execnz .LBB6_2319
.LBB6_517:                              ;   in Loop: Header=BB6_394 Depth=4
	s_or_b32 exec_lo, exec_lo, s37
	s_and_saveexec_b32 s36, s13
	s_cbranch_execz .LBB6_519
.LBB6_518:                              ;   in Loop: Header=BB6_394 Depth=4
	v_bfe_u32 v45, v37, 3, 4
	v_lshlrev_b32_e32 v46, 24, v37
	s_delay_alu instid0(VALU_DEP_2) | instskip(SKIP_1) | instid1(VALU_DEP_1)
	v_cmp_eq_u32_e32 vcc_lo, 0, v45
	v_and_b32_e32 v42, 7, v37
	v_clz_i32_u32_e32 v43, v42
	s_delay_alu instid0(VALU_DEP_1) | instskip(NEXT) | instid1(VALU_DEP_1)
	v_min_u32_e32 v43, 32, v43
	v_subrev_nc_u32_e32 v44, 28, v43
	v_sub_nc_u32_e32 v43, 29, v43
	s_delay_alu instid0(VALU_DEP_1) | instskip(NEXT) | instid1(VALU_DEP_1)
	v_dual_cndmask_b32 v43, v45, v43 :: v_dual_lshlrev_b32 v44, v44, v37
	v_and_b32_e32 v44, 7, v44
	s_delay_alu instid0(VALU_DEP_2) | instskip(NEXT) | instid1(VALU_DEP_2)
	v_lshl_add_u32 v43, v43, 23, 0x3b800000
	v_cndmask_b32_e32 v42, v42, v44, vcc_lo
	v_and_b32_e32 v44, 0x80000000, v46
	s_delay_alu instid0(VALU_DEP_2) | instskip(NEXT) | instid1(VALU_DEP_1)
	v_lshlrev_b32_e32 v42, 20, v42
	v_or3_b32 v42, v44, v43, v42
.LBB6_519:                              ;   in Loop: Header=BB6_394 Depth=4
	s_or_b32 exec_lo, exec_lo, s36
	s_delay_alu instid0(VALU_DEP_1) | instskip(SKIP_1) | instid1(VALU_DEP_1)
	v_dual_max_f32 v42, v42, v42 :: v_dual_max_f32 v41, v41, v41
	s_mov_b32 s13, 0
	v_max_f32_e32 v41, v41, v42
	s_branch .LBB6_521
.LBB6_520:                              ;   in Loop: Header=BB6_394 Depth=4
	s_mov_b32 s13, -1
                                        ; implicit-def: $vgpr41
.LBB6_521:                              ;   in Loop: Header=BB6_394 Depth=4
	s_delay_alu instid0(SALU_CYCLE_1)
	s_and_b32 vcc_lo, exec_lo, s13
	s_cbranch_vccz .LBB6_531
; %bb.522:                              ;   in Loop: Header=BB6_394 Depth=4
	s_mov_b32 s13, 0
	s_mov_b32 s37, exec_lo
                                        ; implicit-def: $sgpr36
	v_cmpx_lt_i16_e32 0x7f, v48
	s_xor_b32 s37, exec_lo, s37
	s_cbranch_execnz .LBB6_2320
; %bb.523:                              ;   in Loop: Header=BB6_394 Depth=4
	s_or_saveexec_b32 s37, s37
	v_mov_b32_e32 v41, s36
	s_xor_b32 exec_lo, exec_lo, s37
	s_cbranch_execnz .LBB6_2323
.LBB6_524:                              ;   in Loop: Header=BB6_394 Depth=4
	s_or_b32 exec_lo, exec_lo, s37
	s_and_saveexec_b32 s36, s13
	s_cbranch_execz .LBB6_526
.LBB6_525:                              ;   in Loop: Header=BB6_394 Depth=4
	v_and_b32_e32 v48, 7, v49
	v_bfe_u32 v43, v49, 3, 4
	v_lshlrev_b32_e32 v44, 24, v49
	s_delay_alu instid0(VALU_DEP_3) | instskip(NEXT) | instid1(VALU_DEP_3)
	v_clz_i32_u32_e32 v41, v48
	v_cmp_eq_u32_e32 vcc_lo, 0, v43
	s_delay_alu instid0(VALU_DEP_2) | instskip(NEXT) | instid1(VALU_DEP_1)
	v_min_u32_e32 v41, 32, v41
	v_subrev_nc_u32_e32 v42, 28, v41
	v_sub_nc_u32_e32 v41, 29, v41
	s_delay_alu instid0(VALU_DEP_2) | instskip(NEXT) | instid1(VALU_DEP_1)
	v_lshlrev_b32_e32 v42, v42, v49
	v_dual_cndmask_b32 v41, v43, v41 :: v_dual_and_b32 v42, 7, v42
	s_delay_alu instid0(VALU_DEP_1) | instskip(NEXT) | instid1(VALU_DEP_2)
	v_lshl_add_u32 v41, v41, 23, 0x3b800000
	v_cndmask_b32_e32 v48, v48, v42, vcc_lo
	v_and_b32_e32 v42, 0x80000000, v44
	s_delay_alu instid0(VALU_DEP_2) | instskip(NEXT) | instid1(VALU_DEP_1)
	v_lshlrev_b32_e32 v48, 20, v48
	v_or3_b32 v41, v42, v41, v48
.LBB6_526:                              ;   in Loop: Header=BB6_394 Depth=4
	s_or_b32 exec_lo, exec_lo, s36
	v_and_b32_e32 v42, 0xff, v37
	s_mov_b32 s13, 0
	s_mov_b32 s37, exec_lo
                                        ; implicit-def: $sgpr36
	s_delay_alu instid0(VALU_DEP_1)
	v_cmpx_lt_i16_e32 0x7f, v42
	s_xor_b32 s37, exec_lo, s37
	s_cbranch_execnz .LBB6_2324
; %bb.527:                              ;   in Loop: Header=BB6_394 Depth=4
	s_or_saveexec_b32 s37, s37
	v_mov_b32_e32 v48, s36
	s_xor_b32 exec_lo, exec_lo, s37
	s_cbranch_execnz .LBB6_2327
.LBB6_528:                              ;   in Loop: Header=BB6_394 Depth=4
	s_or_b32 exec_lo, exec_lo, s37
	s_and_saveexec_b32 s36, s13
	s_cbranch_execz .LBB6_530
.LBB6_529:                              ;   in Loop: Header=BB6_394 Depth=4
	v_and_b32_e32 v48, 7, v37
	v_bfe_u32 v44, v37, 3, 4
	s_delay_alu instid0(VALU_DEP_2) | instskip(NEXT) | instid1(VALU_DEP_2)
	v_clz_i32_u32_e32 v42, v48
	v_cmp_eq_u32_e32 vcc_lo, 0, v44
	s_delay_alu instid0(VALU_DEP_2) | instskip(NEXT) | instid1(VALU_DEP_1)
	v_min_u32_e32 v42, 32, v42
	v_subrev_nc_u32_e32 v43, 28, v42
	v_sub_nc_u32_e32 v42, 29, v42
	s_delay_alu instid0(VALU_DEP_1) | instskip(NEXT) | instid1(VALU_DEP_1)
	v_dual_cndmask_b32 v42, v44, v42 :: v_dual_lshlrev_b32 v43, v43, v37
	v_and_b32_e32 v43, 7, v43
	v_lshlrev_b32_e32 v45, 24, v37
	s_delay_alu instid0(VALU_DEP_3) | instskip(NEXT) | instid1(VALU_DEP_2)
	v_lshl_add_u32 v42, v42, 23, 0x3b800000
	v_dual_cndmask_b32 v48, v48, v43 :: v_dual_and_b32 v43, 0x80000000, v45
	s_delay_alu instid0(VALU_DEP_1) | instskip(NEXT) | instid1(VALU_DEP_1)
	v_lshlrev_b32_e32 v48, 20, v48
	v_or3_b32 v48, v43, v42, v48
.LBB6_530:                              ;   in Loop: Header=BB6_394 Depth=4
	s_or_b32 exec_lo, exec_lo, s36
	s_delay_alu instid0(VALU_DEP_1) | instskip(NEXT) | instid1(VALU_DEP_1)
	v_dual_max_f32 v48, v48, v48 :: v_dual_max_f32 v41, v41, v41
	v_min_f32_e32 v41, v41, v48
.LBB6_531:                              ;   in Loop: Header=BB6_394 Depth=4
	s_delay_alu instid0(VALU_DEP_1) | instskip(NEXT) | instid1(VALU_DEP_1)
	v_and_b32_e32 v48, 0x7f800000, v41
	v_cmp_ne_u32_e32 vcc_lo, 0x7f800000, v48
	v_mov_b32_e32 v48, 0x80
	s_and_saveexec_b32 s36, vcc_lo
	s_cbranch_execz .LBB6_539
; %bb.532:                              ;   in Loop: Header=BB6_394 Depth=4
	v_mov_b32_e32 v48, 0
	s_mov_b32 s37, exec_lo
	v_cmpx_ne_u32_e32 0, v41
	s_cbranch_execz .LBB6_538
; %bb.533:                              ;   in Loop: Header=BB6_394 Depth=4
	v_bfe_u32 v48, v41, 23, 8
	s_delay_alu instid0(VALU_DEP_1) | instskip(SKIP_1) | instid1(VALU_DEP_2)
	v_sub_nc_u32_e32 v43, 0x78, v48
	v_cmp_gt_u32_e32 vcc_lo, 0x79, v48
	v_dual_cndmask_b32 v43, 0, v43 :: v_dual_and_b32 v42, 0x7fffff, v41
	s_delay_alu instid0(VALU_DEP_1) | instskip(SKIP_2) | instid1(VALU_DEP_4)
	v_or_b32_e32 v44, 0x800000, v42
	v_cmp_eq_u32_e32 vcc_lo, 0, v48
	v_add_nc_u32_e32 v48, 0xffffff89, v48
	v_cndmask_b32_e64 v43, v43, 0x77, vcc_lo
	s_delay_alu instid0(VALU_DEP_2) | instskip(SKIP_1) | instid1(VALU_DEP_3)
	v_cndmask_b32_e64 v48, v48, 0xffffff8a, vcc_lo
	v_cndmask_b32_e32 v42, v44, v42, vcc_lo
	v_lshl_add_u32 v44, 0x100000, v43, -1
	v_lshlrev_b32_e64 v47, v43, 0x80000
	s_delay_alu instid0(VALU_DEP_3) | instskip(SKIP_1) | instid1(VALU_DEP_4)
	v_lshrrev_b32_e32 v45, v43, v42
	v_add_nc_u32_e32 v43, v43, v48
	v_and_b32_e32 v42, v44, v42
	s_delay_alu instid0(VALU_DEP_3) | instskip(NEXT) | instid1(VALU_DEP_2)
	v_bfe_u32 v46, v45, 20, 1
	v_cmp_eq_u32_e64 s13, v42, v47
	s_delay_alu instid0(VALU_DEP_2) | instskip(NEXT) | instid1(VALU_DEP_1)
	v_add_nc_u32_e32 v44, -1, v46
	v_cndmask_b32_e64 v42, 0, v44, s13
	v_lshrrev_b32_e32 v44, 23, v45
	s_mov_b32 s13, exec_lo
	s_delay_alu instid0(VALU_DEP_2) | instskip(NEXT) | instid1(VALU_DEP_2)
	v_add_nc_u32_e32 v42, v42, v45
	v_xor_b32_e32 v44, 1, v44
	s_delay_alu instid0(VALU_DEP_2) | instskip(NEXT) | instid1(VALU_DEP_1)
	v_and_b32_e32 v48, 0xfffff, v42
	v_add_nc_u32_e32 v42, v48, v45
                                        ; implicit-def: $vgpr48
	s_delay_alu instid0(VALU_DEP_3)
	v_cmpx_ne_u32_e64 v43, v44
	s_xor_b32 s13, exec_lo, s13
; %bb.534:                              ;   in Loop: Header=BB6_394 Depth=4
	s_delay_alu instid0(VALU_DEP_2) | instskip(SKIP_2) | instid1(VALU_DEP_2)
	v_cmp_lt_u32_e32 vcc_lo, 0xffffff, v42
	v_sub_nc_u32_e32 v48, v43, v44
	v_cndmask_b32_e64 v43, 0, 1, vcc_lo
	v_add_co_ci_u32_e32 v48, vcc_lo, 0, v48, vcc_lo
	s_delay_alu instid0(VALU_DEP_2)
	v_lshrrev_b32_e32 v42, v43, v42
; %bb.535:                              ;   in Loop: Header=BB6_394 Depth=4
	s_and_not1_saveexec_b32 s13, s13
; %bb.536:                              ;   in Loop: Header=BB6_394 Depth=4
	s_delay_alu instid0(VALU_DEP_1)
	v_bfe_u32 v48, v42, 23, 1
; %bb.537:                              ;   in Loop: Header=BB6_394 Depth=4
	s_or_b32 exec_lo, exec_lo, s13
	v_lshrrev_b32_e32 v42, 20, v42
	s_delay_alu instid0(VALU_DEP_2) | instskip(SKIP_2) | instid1(VALU_DEP_2)
	v_cmp_gt_i32_e32 vcc_lo, 16, v48
	v_lshrrev_b32_e32 v41, 24, v41
	v_min_i32_e32 v43, 15, v48
	v_dual_cndmask_b32 v42, 7, v42 :: v_dual_and_b32 v41, 0x80, v41
	s_delay_alu instid0(VALU_DEP_1) | instskip(SKIP_1) | instid1(VALU_DEP_2)
	v_or_b32_e32 v48, v48, v42
	v_and_b32_e32 v44, 7, v42
	v_cmp_ne_u32_e32 vcc_lo, 0, v48
	v_lshlrev_b32_e32 v43, 3, v43
	s_delay_alu instid0(VALU_DEP_1) | instskip(NEXT) | instid1(VALU_DEP_1)
	v_or3_b32 v41, v43, v41, v44
	v_cndmask_b32_e32 v48, 0, v41, vcc_lo
.LBB6_538:                              ;   in Loop: Header=BB6_394 Depth=4
	s_or_b32 exec_lo, exec_lo, s37
.LBB6_539:                              ;   in Loop: Header=BB6_394 Depth=4
	s_delay_alu instid0(SALU_CYCLE_1) | instskip(SKIP_3) | instid1(VALU_DEP_2)
	s_or_b32 exec_lo, exec_lo, s36
	v_lshrrev_b16 v42, 8, v49
	v_lshrrev_b16 v41, 8, v37
	s_and_b32 vcc_lo, exec_lo, s35
	v_cmp_lt_i16_e64 s13, 0x7f, v42
	s_cbranch_vccz .LBB6_549
; %bb.540:                              ;   in Loop: Header=BB6_394 Depth=4
	s_mov_b32 s36, 0
                                        ; implicit-def: $sgpr37
	s_delay_alu instid0(VALU_DEP_1) | instskip(NEXT) | instid1(SALU_CYCLE_1)
	s_and_saveexec_b32 vcc_lo, s13
	s_xor_b32 s13, exec_lo, vcc_lo
	s_cbranch_execnz .LBB6_2328
; %bb.541:                              ;   in Loop: Header=BB6_394 Depth=4
	s_or_saveexec_b32 s13, s13
	v_mov_b32_e32 v43, s37
	s_xor_b32 exec_lo, exec_lo, s13
	s_cbranch_execnz .LBB6_2331
.LBB6_542:                              ;   in Loop: Header=BB6_394 Depth=4
	s_or_b32 exec_lo, exec_lo, s13
	s_and_saveexec_b32 s13, s36
	s_cbranch_execz .LBB6_544
.LBB6_543:                              ;   in Loop: Header=BB6_394 Depth=4
	v_and_b32_e32 v43, 0xffff, v42
	s_delay_alu instid0(VALU_DEP_1) | instskip(NEXT) | instid1(VALU_DEP_1)
	v_and_b32_e32 v44, 7, v43
	v_clz_i32_u32_e32 v45, v44
	s_delay_alu instid0(VALU_DEP_1) | instskip(NEXT) | instid1(VALU_DEP_1)
	v_min_u32_e32 v45, 32, v45
	v_subrev_nc_u32_e32 v46, 28, v45
	v_sub_nc_u32_e32 v45, 29, v45
	s_delay_alu instid0(VALU_DEP_2) | instskip(SKIP_1) | instid1(VALU_DEP_2)
	v_lshlrev_b32_e32 v46, v46, v43
	v_bfe_u32 v43, v43, 3, 4
	v_and_b32_e32 v46, 7, v46
	s_delay_alu instid0(VALU_DEP_2) | instskip(SKIP_1) | instid1(VALU_DEP_3)
	v_cmp_eq_u32_e32 vcc_lo, 0, v43
	v_cndmask_b32_e32 v43, v43, v45, vcc_lo
	v_dual_cndmask_b32 v44, v44, v46 :: v_dual_lshlrev_b32 v47, 16, v49
	s_delay_alu instid0(VALU_DEP_2) | instskip(NEXT) | instid1(VALU_DEP_2)
	v_lshl_add_u32 v43, v43, 23, 0x3b800000
	v_and_b32_e32 v45, 0x80000000, v47
	s_delay_alu instid0(VALU_DEP_3) | instskip(NEXT) | instid1(VALU_DEP_1)
	v_lshlrev_b32_e32 v44, 20, v44
	v_or3_b32 v43, v45, v43, v44
.LBB6_544:                              ;   in Loop: Header=BB6_394 Depth=4
	s_or_b32 exec_lo, exec_lo, s13
	s_mov_b32 s13, 0
	s_mov_b32 s37, exec_lo
                                        ; implicit-def: $sgpr36
	v_cmpx_lt_i16_e32 0x7f, v41
	s_xor_b32 s37, exec_lo, s37
	s_cbranch_execnz .LBB6_2332
; %bb.545:                              ;   in Loop: Header=BB6_394 Depth=4
	s_or_saveexec_b32 s37, s37
	v_mov_b32_e32 v44, s36
	s_xor_b32 exec_lo, exec_lo, s37
	s_cbranch_execnz .LBB6_2335
.LBB6_546:                              ;   in Loop: Header=BB6_394 Depth=4
	s_or_b32 exec_lo, exec_lo, s37
	s_and_saveexec_b32 s36, s13
	s_cbranch_execz .LBB6_548
.LBB6_547:                              ;   in Loop: Header=BB6_394 Depth=4
	v_and_b32_e32 v44, 0xffff, v41
	v_lshlrev_b32_e32 v56, 16, v37
	s_delay_alu instid0(VALU_DEP_2) | instskip(NEXT) | instid1(VALU_DEP_1)
	v_and_b32_e32 v45, 7, v44
	v_clz_i32_u32_e32 v46, v45
	s_delay_alu instid0(VALU_DEP_1) | instskip(NEXT) | instid1(VALU_DEP_1)
	v_min_u32_e32 v46, 32, v46
	v_subrev_nc_u32_e32 v47, 28, v46
	v_sub_nc_u32_e32 v46, 29, v46
	s_delay_alu instid0(VALU_DEP_2) | instskip(SKIP_1) | instid1(VALU_DEP_2)
	v_lshlrev_b32_e32 v47, v47, v44
	v_bfe_u32 v44, v44, 3, 4
	v_and_b32_e32 v47, 7, v47
	s_delay_alu instid0(VALU_DEP_2) | instskip(NEXT) | instid1(VALU_DEP_2)
	v_cmp_eq_u32_e32 vcc_lo, 0, v44
	v_dual_cndmask_b32 v44, v44, v46 :: v_dual_cndmask_b32 v45, v45, v47
	v_and_b32_e32 v46, 0x80000000, v56
	s_delay_alu instid0(VALU_DEP_2) | instskip(NEXT) | instid1(VALU_DEP_3)
	v_lshl_add_u32 v44, v44, 23, 0x3b800000
	v_lshlrev_b32_e32 v45, 20, v45
	s_delay_alu instid0(VALU_DEP_1)
	v_or3_b32 v44, v46, v44, v45
.LBB6_548:                              ;   in Loop: Header=BB6_394 Depth=4
	s_or_b32 exec_lo, exec_lo, s36
	s_delay_alu instid0(VALU_DEP_1) | instskip(SKIP_1) | instid1(VALU_DEP_1)
	v_dual_max_f32 v44, v44, v44 :: v_dual_max_f32 v43, v43, v43
	s_mov_b32 s13, 0
	v_max_f32_e32 v43, v43, v44
	s_branch .LBB6_550
.LBB6_549:                              ;   in Loop: Header=BB6_394 Depth=4
	s_mov_b32 s13, -1
                                        ; implicit-def: $vgpr43
.LBB6_550:                              ;   in Loop: Header=BB6_394 Depth=4
	s_delay_alu instid0(SALU_CYCLE_1)
	s_and_b32 vcc_lo, exec_lo, s13
	s_cbranch_vccz .LBB6_560
; %bb.551:                              ;   in Loop: Header=BB6_394 Depth=4
	s_mov_b32 s13, 0
	s_mov_b32 s37, exec_lo
                                        ; implicit-def: $sgpr36
	v_cmpx_lt_i16_e32 0x7f, v42
	s_xor_b32 s37, exec_lo, s37
	s_cbranch_execnz .LBB6_2336
; %bb.552:                              ;   in Loop: Header=BB6_394 Depth=4
	s_or_saveexec_b32 s37, s37
	v_mov_b32_e32 v43, s36
	s_xor_b32 exec_lo, exec_lo, s37
	s_cbranch_execnz .LBB6_2339
.LBB6_553:                              ;   in Loop: Header=BB6_394 Depth=4
	s_or_b32 exec_lo, exec_lo, s37
	s_and_saveexec_b32 s36, s13
	s_cbranch_execz .LBB6_555
.LBB6_554:                              ;   in Loop: Header=BB6_394 Depth=4
	v_and_b32_e32 v42, 0xffff, v42
	v_lshlrev_b32_e32 v46, 16, v49
	s_delay_alu instid0(VALU_DEP_2) | instskip(NEXT) | instid1(VALU_DEP_1)
	v_and_b32_e32 v43, 7, v42
	v_clz_i32_u32_e32 v44, v43
	s_delay_alu instid0(VALU_DEP_1) | instskip(NEXT) | instid1(VALU_DEP_1)
	v_min_u32_e32 v44, 32, v44
	v_subrev_nc_u32_e32 v45, 28, v44
	v_sub_nc_u32_e32 v44, 29, v44
	s_delay_alu instid0(VALU_DEP_2) | instskip(SKIP_1) | instid1(VALU_DEP_2)
	v_lshlrev_b32_e32 v45, v45, v42
	v_bfe_u32 v42, v42, 3, 4
	v_and_b32_e32 v45, 7, v45
	s_delay_alu instid0(VALU_DEP_2) | instskip(NEXT) | instid1(VALU_DEP_2)
	v_cmp_eq_u32_e32 vcc_lo, 0, v42
	v_dual_cndmask_b32 v42, v42, v44 :: v_dual_cndmask_b32 v43, v43, v45
	v_and_b32_e32 v44, 0x80000000, v46
	s_delay_alu instid0(VALU_DEP_2) | instskip(NEXT) | instid1(VALU_DEP_3)
	v_lshl_add_u32 v42, v42, 23, 0x3b800000
	v_lshlrev_b32_e32 v43, 20, v43
	s_delay_alu instid0(VALU_DEP_1)
	v_or3_b32 v43, v44, v42, v43
.LBB6_555:                              ;   in Loop: Header=BB6_394 Depth=4
	s_or_b32 exec_lo, exec_lo, s36
	s_mov_b32 s13, 0
	s_mov_b32 s37, exec_lo
                                        ; implicit-def: $sgpr36
	v_cmpx_lt_i16_e32 0x7f, v41
	s_xor_b32 s37, exec_lo, s37
	s_cbranch_execnz .LBB6_2340
; %bb.556:                              ;   in Loop: Header=BB6_394 Depth=4
	s_or_saveexec_b32 s37, s37
	v_mov_b32_e32 v42, s36
	s_xor_b32 exec_lo, exec_lo, s37
	s_cbranch_execnz .LBB6_2343
.LBB6_557:                              ;   in Loop: Header=BB6_394 Depth=4
	s_or_b32 exec_lo, exec_lo, s37
	s_and_saveexec_b32 s36, s13
	s_cbranch_execz .LBB6_559
.LBB6_558:                              ;   in Loop: Header=BB6_394 Depth=4
	v_and_b32_e32 v41, 0xffff, v41
	v_lshlrev_b32_e32 v46, 16, v37
	s_delay_alu instid0(VALU_DEP_2) | instskip(NEXT) | instid1(VALU_DEP_1)
	v_and_b32_e32 v42, 7, v41
	v_clz_i32_u32_e32 v44, v42
	s_delay_alu instid0(VALU_DEP_1) | instskip(NEXT) | instid1(VALU_DEP_1)
	v_min_u32_e32 v44, 32, v44
	v_subrev_nc_u32_e32 v45, 28, v44
	v_sub_nc_u32_e32 v44, 29, v44
	s_delay_alu instid0(VALU_DEP_2) | instskip(SKIP_1) | instid1(VALU_DEP_2)
	v_lshlrev_b32_e32 v45, v45, v41
	v_bfe_u32 v41, v41, 3, 4
	v_and_b32_e32 v45, 7, v45
	s_delay_alu instid0(VALU_DEP_2) | instskip(NEXT) | instid1(VALU_DEP_2)
	v_cmp_eq_u32_e32 vcc_lo, 0, v41
	v_dual_cndmask_b32 v41, v41, v44 :: v_dual_cndmask_b32 v42, v42, v45
	v_and_b32_e32 v44, 0x80000000, v46
	s_delay_alu instid0(VALU_DEP_2) | instskip(NEXT) | instid1(VALU_DEP_3)
	v_lshl_add_u32 v41, v41, 23, 0x3b800000
	v_lshlrev_b32_e32 v42, 20, v42
	s_delay_alu instid0(VALU_DEP_1)
	v_or3_b32 v42, v44, v41, v42
.LBB6_559:                              ;   in Loop: Header=BB6_394 Depth=4
	s_or_b32 exec_lo, exec_lo, s36
	s_delay_alu instid0(VALU_DEP_1) | instskip(NEXT) | instid1(VALU_DEP_1)
	v_dual_max_f32 v41, v42, v42 :: v_dual_max_f32 v42, v43, v43
	v_min_f32_e32 v43, v42, v41
.LBB6_560:                              ;   in Loop: Header=BB6_394 Depth=4
	s_delay_alu instid0(VALU_DEP_1) | instskip(NEXT) | instid1(VALU_DEP_1)
	v_and_b32_e32 v41, 0x7f800000, v43
	v_cmp_ne_u32_e32 vcc_lo, 0x7f800000, v41
	v_mov_b32_e32 v41, 0x80
	s_and_saveexec_b32 s36, vcc_lo
	s_cbranch_execz .LBB6_568
; %bb.561:                              ;   in Loop: Header=BB6_394 Depth=4
	v_mov_b32_e32 v41, 0
	s_mov_b32 s37, exec_lo
	v_cmpx_ne_u32_e32 0, v43
	s_cbranch_execz .LBB6_567
; %bb.562:                              ;   in Loop: Header=BB6_394 Depth=4
	v_bfe_u32 v41, v43, 23, 8
	v_and_b32_e32 v42, 0x7fffff, v43
	s_delay_alu instid0(VALU_DEP_2) | instskip(SKIP_1) | instid1(VALU_DEP_3)
	v_sub_nc_u32_e32 v44, 0x78, v41
	v_cmp_gt_u32_e32 vcc_lo, 0x79, v41
	v_or_b32_e32 v45, 0x800000, v42
	s_delay_alu instid0(VALU_DEP_3) | instskip(SKIP_2) | instid1(VALU_DEP_3)
	v_cndmask_b32_e32 v44, 0, v44, vcc_lo
	v_cmp_eq_u32_e32 vcc_lo, 0, v41
	v_add_nc_u32_e32 v41, 0xffffff89, v41
	v_cndmask_b32_e64 v44, v44, 0x77, vcc_lo
	v_cndmask_b32_e32 v42, v45, v42, vcc_lo
	s_delay_alu instid0(VALU_DEP_3) | instskip(NEXT) | instid1(VALU_DEP_3)
	v_cndmask_b32_e64 v41, v41, 0xffffff8a, vcc_lo
	v_lshl_add_u32 v45, 0x100000, v44, -1
	s_delay_alu instid0(VALU_DEP_3) | instskip(SKIP_1) | instid1(VALU_DEP_4)
	v_lshrrev_b32_e32 v46, v44, v42
	v_lshlrev_b32_e64 v56, v44, 0x80000
	v_add_nc_u32_e32 v44, v44, v41
	s_delay_alu instid0(VALU_DEP_4) | instskip(NEXT) | instid1(VALU_DEP_4)
	v_and_b32_e32 v42, v45, v42
	v_bfe_u32 v47, v46, 20, 1
	s_delay_alu instid0(VALU_DEP_2) | instskip(NEXT) | instid1(VALU_DEP_2)
	v_cmp_eq_u32_e64 s13, v42, v56
	v_add_nc_u32_e32 v45, -1, v47
	s_delay_alu instid0(VALU_DEP_1) | instskip(SKIP_2) | instid1(VALU_DEP_2)
	v_cndmask_b32_e64 v42, 0, v45, s13
	v_lshrrev_b32_e32 v45, 23, v46
	s_mov_b32 s13, exec_lo
	v_add_nc_u32_e32 v42, v42, v46
	s_delay_alu instid0(VALU_DEP_2) | instskip(NEXT) | instid1(VALU_DEP_2)
	v_xor_b32_e32 v45, 1, v45
	v_and_b32_e32 v41, 0xfffff, v42
	s_delay_alu instid0(VALU_DEP_1) | instskip(NEXT) | instid1(VALU_DEP_3)
	v_add_nc_u32_e32 v42, v41, v46
                                        ; implicit-def: $vgpr41
	v_cmpx_ne_u32_e64 v44, v45
	s_xor_b32 s13, exec_lo, s13
; %bb.563:                              ;   in Loop: Header=BB6_394 Depth=4
	s_delay_alu instid0(VALU_DEP_2) | instskip(SKIP_2) | instid1(VALU_DEP_2)
	v_cmp_lt_u32_e32 vcc_lo, 0xffffff, v42
	v_sub_nc_u32_e32 v41, v44, v45
	v_cndmask_b32_e64 v44, 0, 1, vcc_lo
	v_add_co_ci_u32_e32 v41, vcc_lo, 0, v41, vcc_lo
	s_delay_alu instid0(VALU_DEP_2)
	v_lshrrev_b32_e32 v42, v44, v42
; %bb.564:                              ;   in Loop: Header=BB6_394 Depth=4
	s_and_not1_saveexec_b32 s13, s13
; %bb.565:                              ;   in Loop: Header=BB6_394 Depth=4
	s_delay_alu instid0(VALU_DEP_1)
	v_bfe_u32 v41, v42, 23, 1
; %bb.566:                              ;   in Loop: Header=BB6_394 Depth=4
	s_or_b32 exec_lo, exec_lo, s13
	v_lshrrev_b32_e32 v42, 20, v42
	s_delay_alu instid0(VALU_DEP_2) | instskip(SKIP_2) | instid1(VALU_DEP_2)
	v_cmp_gt_i32_e32 vcc_lo, 16, v41
	v_lshrrev_b32_e32 v43, 24, v43
	v_min_i32_e32 v44, 15, v41
	v_dual_cndmask_b32 v42, 7, v42 :: v_dual_and_b32 v43, 0x80, v43
	s_delay_alu instid0(VALU_DEP_1) | instskip(SKIP_1) | instid1(VALU_DEP_2)
	v_or_b32_e32 v41, v41, v42
	v_and_b32_e32 v45, 7, v42
	v_cmp_ne_u32_e32 vcc_lo, 0, v41
	v_lshlrev_b32_e32 v44, 3, v44
	s_delay_alu instid0(VALU_DEP_1) | instskip(NEXT) | instid1(VALU_DEP_1)
	v_or3_b32 v42, v44, v43, v45
	v_cndmask_b32_e32 v41, 0, v42, vcc_lo
.LBB6_567:                              ;   in Loop: Header=BB6_394 Depth=4
	s_or_b32 exec_lo, exec_lo, s37
.LBB6_568:                              ;   in Loop: Header=BB6_394 Depth=4
	s_delay_alu instid0(SALU_CYCLE_1) | instskip(SKIP_3) | instid1(VALU_DEP_2)
	s_or_b32 exec_lo, exec_lo, s36
	v_lshrrev_b32_e32 v43, 16, v49
	v_lshrrev_b32_e32 v42, 16, v37
	s_and_b32 vcc_lo, exec_lo, s35
	v_and_b32_e32 v44, 0xff, v43
	s_delay_alu instid0(VALU_DEP_1)
	v_cmp_lt_i16_e64 s13, 0x7f, v44
	s_cbranch_vccz .LBB6_578
; %bb.569:                              ;   in Loop: Header=BB6_394 Depth=4
	s_mov_b32 s36, 0
                                        ; implicit-def: $sgpr37
	s_delay_alu instid0(VALU_DEP_1) | instskip(NEXT) | instid1(SALU_CYCLE_1)
	s_and_saveexec_b32 vcc_lo, s13
	s_xor_b32 s13, exec_lo, vcc_lo
	s_cbranch_execnz .LBB6_2344
; %bb.570:                              ;   in Loop: Header=BB6_394 Depth=4
	s_or_saveexec_b32 s13, s13
	v_mov_b32_e32 v45, s37
	s_xor_b32 exec_lo, exec_lo, s13
	s_cbranch_execnz .LBB6_2347
.LBB6_571:                              ;   in Loop: Header=BB6_394 Depth=4
	s_or_b32 exec_lo, exec_lo, s13
	s_and_saveexec_b32 s13, s36
	s_cbranch_execz .LBB6_573
.LBB6_572:                              ;   in Loop: Header=BB6_394 Depth=4
	v_bfe_u32 v45, v49, 16, 3
	v_bfe_u32 v56, v49, 19, 4
	v_lshlrev_b32_e32 v57, 24, v43
	s_delay_alu instid0(VALU_DEP_3) | instskip(NEXT) | instid1(VALU_DEP_3)
	v_clz_i32_u32_e32 v46, v45
	v_cmp_eq_u32_e32 vcc_lo, 0, v56
	s_delay_alu instid0(VALU_DEP_2) | instskip(NEXT) | instid1(VALU_DEP_1)
	v_min_u32_e32 v46, 32, v46
	v_subrev_nc_u32_e32 v47, 28, v46
	v_sub_nc_u32_e32 v46, 29, v46
	s_delay_alu instid0(VALU_DEP_1) | instskip(NEXT) | instid1(VALU_DEP_1)
	v_dual_cndmask_b32 v46, v56, v46 :: v_dual_lshlrev_b32 v47, v47, v43
	v_and_b32_e32 v47, 7, v47
	s_delay_alu instid0(VALU_DEP_2) | instskip(NEXT) | instid1(VALU_DEP_2)
	v_lshl_add_u32 v46, v46, 23, 0x3b800000
	v_cndmask_b32_e32 v45, v45, v47, vcc_lo
	v_and_b32_e32 v47, 0x80000000, v57
	s_delay_alu instid0(VALU_DEP_2) | instskip(NEXT) | instid1(VALU_DEP_1)
	v_lshlrev_b32_e32 v45, 20, v45
	v_or3_b32 v45, v47, v46, v45
.LBB6_573:                              ;   in Loop: Header=BB6_394 Depth=4
	s_or_b32 exec_lo, exec_lo, s13
	v_and_b32_e32 v47, 0xff, v42
	s_mov_b32 s13, 0
	s_mov_b32 s37, exec_lo
                                        ; implicit-def: $sgpr36
	s_delay_alu instid0(VALU_DEP_1)
	v_cmpx_lt_i16_e32 0x7f, v47
	s_xor_b32 s37, exec_lo, s37
	s_cbranch_execnz .LBB6_2348
; %bb.574:                              ;   in Loop: Header=BB6_394 Depth=4
	s_or_saveexec_b32 s37, s37
	v_mov_b32_e32 v46, s36
	s_xor_b32 exec_lo, exec_lo, s37
	s_cbranch_execnz .LBB6_2351
.LBB6_575:                              ;   in Loop: Header=BB6_394 Depth=4
	s_or_b32 exec_lo, exec_lo, s37
	s_and_saveexec_b32 s36, s13
	s_cbranch_execz .LBB6_577
.LBB6_576:                              ;   in Loop: Header=BB6_394 Depth=4
	v_bfe_u32 v46, v37, 16, 3
	v_bfe_u32 v57, v37, 19, 4
	v_lshlrev_b32_e32 v58, 24, v42
	s_delay_alu instid0(VALU_DEP_3) | instskip(NEXT) | instid1(VALU_DEP_3)
	v_clz_i32_u32_e32 v47, v46
	v_cmp_eq_u32_e32 vcc_lo, 0, v57
	s_delay_alu instid0(VALU_DEP_2) | instskip(NEXT) | instid1(VALU_DEP_1)
	v_min_u32_e32 v47, 32, v47
	v_subrev_nc_u32_e32 v56, 28, v47
	v_sub_nc_u32_e32 v47, 29, v47
	s_delay_alu instid0(VALU_DEP_1) | instskip(NEXT) | instid1(VALU_DEP_1)
	v_dual_cndmask_b32 v47, v57, v47 :: v_dual_lshlrev_b32 v56, v56, v42
	v_and_b32_e32 v56, 7, v56
	s_delay_alu instid0(VALU_DEP_2) | instskip(NEXT) | instid1(VALU_DEP_2)
	v_lshl_add_u32 v47, v47, 23, 0x3b800000
	v_cndmask_b32_e32 v46, v46, v56, vcc_lo
	v_and_b32_e32 v56, 0x80000000, v58
	s_delay_alu instid0(VALU_DEP_2) | instskip(NEXT) | instid1(VALU_DEP_1)
	v_lshlrev_b32_e32 v46, 20, v46
	v_or3_b32 v46, v56, v47, v46
.LBB6_577:                              ;   in Loop: Header=BB6_394 Depth=4
	s_or_b32 exec_lo, exec_lo, s36
	s_delay_alu instid0(VALU_DEP_1) | instskip(SKIP_1) | instid1(VALU_DEP_1)
	v_dual_max_f32 v46, v46, v46 :: v_dual_max_f32 v45, v45, v45
	s_mov_b32 s13, 0
	v_max_f32_e32 v45, v45, v46
	s_branch .LBB6_579
.LBB6_578:                              ;   in Loop: Header=BB6_394 Depth=4
	s_mov_b32 s13, -1
                                        ; implicit-def: $vgpr45
.LBB6_579:                              ;   in Loop: Header=BB6_394 Depth=4
	s_delay_alu instid0(SALU_CYCLE_1)
	s_and_b32 vcc_lo, exec_lo, s13
	s_cbranch_vccz .LBB6_589
; %bb.580:                              ;   in Loop: Header=BB6_394 Depth=4
	s_mov_b32 s13, 0
	s_mov_b32 s37, exec_lo
                                        ; implicit-def: $sgpr36
	v_cmpx_lt_i16_e32 0x7f, v44
	s_xor_b32 s37, exec_lo, s37
	s_cbranch_execnz .LBB6_2352
; %bb.581:                              ;   in Loop: Header=BB6_394 Depth=4
	s_or_saveexec_b32 s37, s37
	v_mov_b32_e32 v45, s36
	s_xor_b32 exec_lo, exec_lo, s37
	s_cbranch_execnz .LBB6_2355
.LBB6_582:                              ;   in Loop: Header=BB6_394 Depth=4
	s_or_b32 exec_lo, exec_lo, s37
	s_and_saveexec_b32 s36, s13
	s_cbranch_execz .LBB6_584
.LBB6_583:                              ;   in Loop: Header=BB6_394 Depth=4
	v_bfe_u32 v44, v49, 16, 3
	v_bfe_u32 v47, v49, 19, 4
	s_delay_alu instid0(VALU_DEP_2) | instskip(NEXT) | instid1(VALU_DEP_2)
	v_clz_i32_u32_e32 v45, v44
	v_cmp_eq_u32_e32 vcc_lo, 0, v47
	s_delay_alu instid0(VALU_DEP_2) | instskip(NEXT) | instid1(VALU_DEP_1)
	v_min_u32_e32 v45, 32, v45
	v_subrev_nc_u32_e32 v46, 28, v45
	v_sub_nc_u32_e32 v45, 29, v45
	s_delay_alu instid0(VALU_DEP_1) | instskip(NEXT) | instid1(VALU_DEP_1)
	v_dual_cndmask_b32 v45, v47, v45 :: v_dual_lshlrev_b32 v46, v46, v43
	v_and_b32_e32 v46, 7, v46
	v_lshlrev_b32_e32 v43, 24, v43
	s_delay_alu instid0(VALU_DEP_3) | instskip(NEXT) | instid1(VALU_DEP_2)
	v_lshl_add_u32 v45, v45, 23, 0x3b800000
	v_dual_cndmask_b32 v44, v44, v46 :: v_dual_and_b32 v43, 0x80000000, v43
	s_delay_alu instid0(VALU_DEP_1) | instskip(NEXT) | instid1(VALU_DEP_1)
	v_lshlrev_b32_e32 v44, 20, v44
	v_or3_b32 v45, v43, v45, v44
.LBB6_584:                              ;   in Loop: Header=BB6_394 Depth=4
	s_or_b32 exec_lo, exec_lo, s36
	v_and_b32_e32 v44, 0xff, v42
	s_mov_b32 s13, 0
	s_mov_b32 s37, exec_lo
                                        ; implicit-def: $sgpr36
	s_delay_alu instid0(VALU_DEP_1)
	v_cmpx_lt_i16_e32 0x7f, v44
	s_xor_b32 s37, exec_lo, s37
	s_cbranch_execnz .LBB6_2356
; %bb.585:                              ;   in Loop: Header=BB6_394 Depth=4
	s_or_saveexec_b32 s37, s37
	v_mov_b32_e32 v43, s36
	s_xor_b32 exec_lo, exec_lo, s37
	s_cbranch_execnz .LBB6_2359
.LBB6_586:                              ;   in Loop: Header=BB6_394 Depth=4
	s_or_b32 exec_lo, exec_lo, s37
	s_and_saveexec_b32 s36, s13
	s_cbranch_execz .LBB6_588
.LBB6_587:                              ;   in Loop: Header=BB6_394 Depth=4
	v_bfe_u32 v43, v37, 16, 3
	v_bfe_u32 v47, v37, 19, 4
	s_delay_alu instid0(VALU_DEP_2) | instskip(NEXT) | instid1(VALU_DEP_2)
	v_clz_i32_u32_e32 v44, v43
	v_cmp_eq_u32_e32 vcc_lo, 0, v47
	s_delay_alu instid0(VALU_DEP_2) | instskip(NEXT) | instid1(VALU_DEP_1)
	v_min_u32_e32 v44, 32, v44
	v_subrev_nc_u32_e32 v46, 28, v44
	v_sub_nc_u32_e32 v44, 29, v44
	s_delay_alu instid0(VALU_DEP_2) | instskip(SKIP_1) | instid1(VALU_DEP_2)
	v_lshlrev_b32_e32 v46, v46, v42
	v_lshlrev_b32_e32 v42, 24, v42
	v_and_b32_e32 v46, 7, v46
	s_delay_alu instid0(VALU_DEP_2) | instskip(NEXT) | instid1(VALU_DEP_2)
	v_and_b32_e32 v42, 0x80000000, v42
	v_cndmask_b32_e32 v43, v43, v46, vcc_lo
	s_delay_alu instid0(VALU_DEP_1) | instskip(NEXT) | instid1(VALU_DEP_1)
	v_dual_cndmask_b32 v44, v47, v44 :: v_dual_lshlrev_b32 v43, 20, v43
	v_lshl_add_u32 v44, v44, 23, 0x3b800000
	s_delay_alu instid0(VALU_DEP_1)
	v_or3_b32 v43, v42, v44, v43
.LBB6_588:                              ;   in Loop: Header=BB6_394 Depth=4
	s_or_b32 exec_lo, exec_lo, s36
	s_delay_alu instid0(VALU_DEP_1) | instskip(NEXT) | instid1(VALU_DEP_1)
	v_dual_max_f32 v42, v43, v43 :: v_dual_max_f32 v43, v45, v45
	v_min_f32_e32 v45, v43, v42
.LBB6_589:                              ;   in Loop: Header=BB6_394 Depth=4
	s_delay_alu instid0(VALU_DEP_1) | instskip(NEXT) | instid1(VALU_DEP_1)
	v_and_b32_e32 v42, 0x7f800000, v45
	v_cmp_ne_u32_e32 vcc_lo, 0x7f800000, v42
	v_mov_b32_e32 v42, 0x80
	s_and_saveexec_b32 s36, vcc_lo
	s_cbranch_execz .LBB6_597
; %bb.590:                              ;   in Loop: Header=BB6_394 Depth=4
	v_mov_b32_e32 v42, 0
	s_mov_b32 s37, exec_lo
	v_cmpx_ne_u32_e32 0, v45
	s_cbranch_execz .LBB6_596
; %bb.591:                              ;   in Loop: Header=BB6_394 Depth=4
	v_bfe_u32 v42, v45, 23, 8
	s_delay_alu instid0(VALU_DEP_1) | instskip(SKIP_1) | instid1(VALU_DEP_2)
	v_sub_nc_u32_e32 v44, 0x78, v42
	v_cmp_gt_u32_e32 vcc_lo, 0x79, v42
	v_dual_cndmask_b32 v44, 0, v44 :: v_dual_and_b32 v43, 0x7fffff, v45
	s_delay_alu instid0(VALU_DEP_1) | instskip(SKIP_2) | instid1(VALU_DEP_4)
	v_or_b32_e32 v46, 0x800000, v43
	v_cmp_eq_u32_e32 vcc_lo, 0, v42
	v_add_nc_u32_e32 v42, 0xffffff89, v42
	v_cndmask_b32_e64 v44, v44, 0x77, vcc_lo
	s_delay_alu instid0(VALU_DEP_4) | instskip(NEXT) | instid1(VALU_DEP_3)
	v_cndmask_b32_e32 v43, v46, v43, vcc_lo
	v_cndmask_b32_e64 v42, v42, 0xffffff8a, vcc_lo
	s_delay_alu instid0(VALU_DEP_3) | instskip(NEXT) | instid1(VALU_DEP_3)
	v_lshl_add_u32 v46, 0x100000, v44, -1
	v_lshrrev_b32_e32 v47, v44, v43
	v_lshlrev_b32_e64 v57, v44, 0x80000
	s_delay_alu instid0(VALU_DEP_4) | instskip(NEXT) | instid1(VALU_DEP_4)
	v_add_nc_u32_e32 v44, v44, v42
	v_and_b32_e32 v43, v46, v43
	s_delay_alu instid0(VALU_DEP_4) | instskip(NEXT) | instid1(VALU_DEP_2)
	v_bfe_u32 v56, v47, 20, 1
	v_cmp_eq_u32_e64 s13, v43, v57
	s_delay_alu instid0(VALU_DEP_2) | instskip(NEXT) | instid1(VALU_DEP_1)
	v_add_nc_u32_e32 v46, -1, v56
	v_cndmask_b32_e64 v43, 0, v46, s13
	v_lshrrev_b32_e32 v46, 23, v47
	s_mov_b32 s13, exec_lo
	s_delay_alu instid0(VALU_DEP_2) | instskip(NEXT) | instid1(VALU_DEP_2)
	v_add_nc_u32_e32 v43, v43, v47
	v_xor_b32_e32 v46, 1, v46
	s_delay_alu instid0(VALU_DEP_2) | instskip(NEXT) | instid1(VALU_DEP_1)
	v_and_b32_e32 v42, 0xfffff, v43
	v_add_nc_u32_e32 v43, v42, v47
                                        ; implicit-def: $vgpr42
	s_delay_alu instid0(VALU_DEP_3)
	v_cmpx_ne_u32_e64 v44, v46
	s_xor_b32 s13, exec_lo, s13
; %bb.592:                              ;   in Loop: Header=BB6_394 Depth=4
	s_delay_alu instid0(VALU_DEP_2) | instskip(SKIP_2) | instid1(VALU_DEP_2)
	v_cmp_lt_u32_e32 vcc_lo, 0xffffff, v43
	v_sub_nc_u32_e32 v42, v44, v46
	v_cndmask_b32_e64 v44, 0, 1, vcc_lo
	v_add_co_ci_u32_e32 v42, vcc_lo, 0, v42, vcc_lo
	s_delay_alu instid0(VALU_DEP_2)
	v_lshrrev_b32_e32 v43, v44, v43
; %bb.593:                              ;   in Loop: Header=BB6_394 Depth=4
	s_and_not1_saveexec_b32 s13, s13
; %bb.594:                              ;   in Loop: Header=BB6_394 Depth=4
	s_delay_alu instid0(VALU_DEP_1)
	v_bfe_u32 v42, v43, 23, 1
; %bb.595:                              ;   in Loop: Header=BB6_394 Depth=4
	s_or_b32 exec_lo, exec_lo, s13
	v_lshrrev_b32_e32 v43, 20, v43
	s_delay_alu instid0(VALU_DEP_2) | instskip(SKIP_2) | instid1(VALU_DEP_2)
	v_cmp_gt_i32_e32 vcc_lo, 16, v42
	v_min_i32_e32 v44, 15, v42
	v_lshrrev_b32_e32 v45, 24, v45
	v_dual_cndmask_b32 v43, 7, v43 :: v_dual_lshlrev_b32 v44, 3, v44
	s_delay_alu instid0(VALU_DEP_1) | instskip(SKIP_1) | instid1(VALU_DEP_3)
	v_or_b32_e32 v42, v42, v43
	v_and_b32_e32 v46, 7, v43
	v_and_b32_e32 v44, 0xf8, v44
	s_delay_alu instid0(VALU_DEP_3) | instskip(SKIP_1) | instid1(VALU_DEP_1)
	v_cmp_ne_u32_e32 vcc_lo, 0, v42
	v_and_b32_e32 v45, 0x80, v45
	v_or3_b32 v43, v44, v45, v46
	s_delay_alu instid0(VALU_DEP_1)
	v_cndmask_b32_e32 v42, 0, v43, vcc_lo
.LBB6_596:                              ;   in Loop: Header=BB6_394 Depth=4
	s_or_b32 exec_lo, exec_lo, s37
.LBB6_597:                              ;   in Loop: Header=BB6_394 Depth=4
	s_delay_alu instid0(SALU_CYCLE_1) | instskip(SKIP_3) | instid1(VALU_DEP_2)
	s_or_b32 exec_lo, exec_lo, s36
	v_lshrrev_b32_e32 v44, 24, v49
	v_lshrrev_b32_e32 v43, 24, v37
	s_and_b32 vcc_lo, exec_lo, s35
	v_cmp_lt_i16_e64 s13, 0x7f, v44
	s_cbranch_vccz .LBB6_607
; %bb.598:                              ;   in Loop: Header=BB6_394 Depth=4
	s_mov_b32 s36, 0
                                        ; implicit-def: $sgpr37
	s_delay_alu instid0(VALU_DEP_1) | instskip(NEXT) | instid1(SALU_CYCLE_1)
	s_and_saveexec_b32 vcc_lo, s13
	s_xor_b32 s13, exec_lo, vcc_lo
	s_cbranch_execnz .LBB6_2360
; %bb.599:                              ;   in Loop: Header=BB6_394 Depth=4
	s_or_saveexec_b32 s13, s13
	v_mov_b32_e32 v45, s37
	s_xor_b32 exec_lo, exec_lo, s13
	s_cbranch_execnz .LBB6_2363
.LBB6_600:                              ;   in Loop: Header=BB6_394 Depth=4
	s_or_b32 exec_lo, exec_lo, s13
	s_and_saveexec_b32 s13, s36
	s_cbranch_execz .LBB6_602
.LBB6_601:                              ;   in Loop: Header=BB6_394 Depth=4
	v_bfe_u32 v45, v49, 24, 3
	v_bfe_u32 v56, v49, 27, 4
	s_delay_alu instid0(VALU_DEP_2) | instskip(NEXT) | instid1(VALU_DEP_2)
	v_clz_i32_u32_e32 v46, v45
	v_cmp_eq_u32_e32 vcc_lo, 0, v56
	s_delay_alu instid0(VALU_DEP_2) | instskip(NEXT) | instid1(VALU_DEP_1)
	v_min_u32_e32 v46, 32, v46
	v_subrev_nc_u32_e32 v47, 28, v46
	v_sub_nc_u32_e32 v46, 29, v46
	s_delay_alu instid0(VALU_DEP_1) | instskip(NEXT) | instid1(VALU_DEP_1)
	v_dual_cndmask_b32 v46, v56, v46 :: v_dual_lshlrev_b32 v47, v47, v44
	v_and_b32_e32 v47, 7, v47
	s_delay_alu instid0(VALU_DEP_2) | instskip(NEXT) | instid1(VALU_DEP_2)
	v_lshl_add_u32 v46, v46, 23, 0x3b800000
	v_cndmask_b32_e32 v45, v45, v47, vcc_lo
	v_and_b32_e32 v47, 0x80000000, v49
	s_delay_alu instid0(VALU_DEP_2) | instskip(NEXT) | instid1(VALU_DEP_1)
	v_lshlrev_b32_e32 v45, 20, v45
	v_or3_b32 v45, v47, v46, v45
.LBB6_602:                              ;   in Loop: Header=BB6_394 Depth=4
	s_or_b32 exec_lo, exec_lo, s13
	s_mov_b32 s13, 0
	s_mov_b32 s37, exec_lo
                                        ; implicit-def: $sgpr36
	v_cmpx_lt_i16_e32 0x7f, v43
	s_xor_b32 s37, exec_lo, s37
	s_cbranch_execnz .LBB6_2364
; %bb.603:                              ;   in Loop: Header=BB6_394 Depth=4
	s_or_saveexec_b32 s37, s37
	v_mov_b32_e32 v46, s36
	s_xor_b32 exec_lo, exec_lo, s37
	s_cbranch_execnz .LBB6_2367
.LBB6_604:                              ;   in Loop: Header=BB6_394 Depth=4
	s_or_b32 exec_lo, exec_lo, s37
	s_and_saveexec_b32 s36, s13
	s_cbranch_execz .LBB6_606
.LBB6_605:                              ;   in Loop: Header=BB6_394 Depth=4
	v_bfe_u32 v46, v37, 24, 3
	v_bfe_u32 v57, v37, 27, 4
	s_delay_alu instid0(VALU_DEP_2) | instskip(NEXT) | instid1(VALU_DEP_2)
	v_clz_i32_u32_e32 v47, v46
	v_cmp_eq_u32_e32 vcc_lo, 0, v57
	s_delay_alu instid0(VALU_DEP_2) | instskip(NEXT) | instid1(VALU_DEP_1)
	v_min_u32_e32 v47, 32, v47
	v_subrev_nc_u32_e32 v56, 28, v47
	v_sub_nc_u32_e32 v47, 29, v47
	s_delay_alu instid0(VALU_DEP_2) | instskip(NEXT) | instid1(VALU_DEP_1)
	v_lshlrev_b32_e32 v56, v56, v43
	v_dual_cndmask_b32 v47, v57, v47 :: v_dual_and_b32 v56, 7, v56
	s_delay_alu instid0(VALU_DEP_1) | instskip(NEXT) | instid1(VALU_DEP_2)
	v_lshl_add_u32 v47, v47, 23, 0x3b800000
	v_cndmask_b32_e32 v46, v46, v56, vcc_lo
	v_and_b32_e32 v56, 0x80000000, v37
	s_delay_alu instid0(VALU_DEP_2) | instskip(NEXT) | instid1(VALU_DEP_1)
	v_lshlrev_b32_e32 v46, 20, v46
	v_or3_b32 v46, v56, v47, v46
.LBB6_606:                              ;   in Loop: Header=BB6_394 Depth=4
	s_or_b32 exec_lo, exec_lo, s36
	s_delay_alu instid0(VALU_DEP_1) | instskip(SKIP_1) | instid1(VALU_DEP_1)
	v_dual_max_f32 v46, v46, v46 :: v_dual_max_f32 v45, v45, v45
	s_mov_b32 s13, 0
	v_max_f32_e32 v45, v45, v46
	s_branch .LBB6_608
.LBB6_607:                              ;   in Loop: Header=BB6_394 Depth=4
	s_mov_b32 s13, -1
                                        ; implicit-def: $vgpr45
.LBB6_608:                              ;   in Loop: Header=BB6_394 Depth=4
	s_delay_alu instid0(SALU_CYCLE_1)
	s_and_b32 vcc_lo, exec_lo, s13
	s_cbranch_vccz .LBB6_618
; %bb.609:                              ;   in Loop: Header=BB6_394 Depth=4
	s_mov_b32 s13, 0
	s_mov_b32 s37, exec_lo
                                        ; implicit-def: $sgpr36
	v_cmpx_lt_i16_e32 0x7f, v44
	s_xor_b32 s37, exec_lo, s37
	s_cbranch_execnz .LBB6_2368
; %bb.610:                              ;   in Loop: Header=BB6_394 Depth=4
	s_or_saveexec_b32 s37, s37
	v_mov_b32_e32 v45, s36
	s_xor_b32 exec_lo, exec_lo, s37
	s_cbranch_execnz .LBB6_2371
.LBB6_611:                              ;   in Loop: Header=BB6_394 Depth=4
	s_or_b32 exec_lo, exec_lo, s37
	s_and_saveexec_b32 s36, s13
	s_cbranch_execz .LBB6_613
.LBB6_612:                              ;   in Loop: Header=BB6_394 Depth=4
	v_bfe_u32 v45, v49, 24, 3
	s_delay_alu instid0(VALU_DEP_1) | instskip(NEXT) | instid1(VALU_DEP_1)
	v_clz_i32_u32_e32 v46, v45
	v_min_u32_e32 v46, 32, v46
	s_delay_alu instid0(VALU_DEP_1) | instskip(SKIP_1) | instid1(VALU_DEP_2)
	v_subrev_nc_u32_e32 v47, 28, v46
	v_sub_nc_u32_e32 v46, 29, v46
	v_lshlrev_b32_e32 v44, v47, v44
	v_bfe_u32 v47, v49, 27, 4
	v_and_b32_e32 v49, 0x80000000, v49
	s_delay_alu instid0(VALU_DEP_3) | instskip(NEXT) | instid1(VALU_DEP_3)
	v_and_b32_e32 v44, 7, v44
	v_cmp_eq_u32_e32 vcc_lo, 0, v47
	v_cndmask_b32_e32 v46, v47, v46, vcc_lo
	s_delay_alu instid0(VALU_DEP_3) | instskip(NEXT) | instid1(VALU_DEP_2)
	v_cndmask_b32_e32 v44, v45, v44, vcc_lo
	v_lshl_add_u32 v45, v46, 23, 0x3b800000
	s_delay_alu instid0(VALU_DEP_2) | instskip(NEXT) | instid1(VALU_DEP_1)
	v_lshlrev_b32_e32 v44, 20, v44
	v_or3_b32 v45, v49, v45, v44
.LBB6_613:                              ;   in Loop: Header=BB6_394 Depth=4
	s_or_b32 exec_lo, exec_lo, s36
	s_mov_b32 s13, 0
	s_mov_b32 s37, exec_lo
                                        ; implicit-def: $sgpr36
	v_cmpx_lt_i16_e32 0x7f, v43
	s_xor_b32 s37, exec_lo, s37
	s_cbranch_execnz .LBB6_2372
; %bb.614:                              ;   in Loop: Header=BB6_394 Depth=4
	s_or_saveexec_b32 s37, s37
	v_mov_b32_e32 v49, s36
	s_xor_b32 exec_lo, exec_lo, s37
	s_cbranch_execnz .LBB6_2375
.LBB6_615:                              ;   in Loop: Header=BB6_394 Depth=4
	s_or_b32 exec_lo, exec_lo, s37
	s_and_saveexec_b32 s36, s13
	s_cbranch_execz .LBB6_617
.LBB6_616:                              ;   in Loop: Header=BB6_394 Depth=4
	v_bfe_u32 v49, v37, 24, 3
	s_delay_alu instid0(VALU_DEP_1) | instskip(NEXT) | instid1(VALU_DEP_1)
	v_clz_i32_u32_e32 v44, v49
	v_min_u32_e32 v44, 32, v44
	s_delay_alu instid0(VALU_DEP_1) | instskip(SKIP_1) | instid1(VALU_DEP_2)
	v_subrev_nc_u32_e32 v46, 28, v44
	v_sub_nc_u32_e32 v44, 29, v44
	v_lshlrev_b32_e32 v43, v46, v43
	v_bfe_u32 v46, v37, 27, 4
	v_and_b32_e32 v37, 0x80000000, v37
	s_delay_alu instid0(VALU_DEP_2) | instskip(NEXT) | instid1(VALU_DEP_4)
	v_cmp_eq_u32_e32 vcc_lo, 0, v46
	v_dual_cndmask_b32 v44, v46, v44 :: v_dual_and_b32 v43, 7, v43
	s_delay_alu instid0(VALU_DEP_1) | instskip(NEXT) | instid1(VALU_DEP_2)
	v_cndmask_b32_e32 v49, v49, v43, vcc_lo
	v_lshl_add_u32 v43, v44, 23, 0x3b800000
	s_delay_alu instid0(VALU_DEP_2) | instskip(NEXT) | instid1(VALU_DEP_1)
	v_lshlrev_b32_e32 v49, 20, v49
	v_or3_b32 v49, v37, v43, v49
.LBB6_617:                              ;   in Loop: Header=BB6_394 Depth=4
	s_or_b32 exec_lo, exec_lo, s36
	s_delay_alu instid0(VALU_DEP_1) | instskip(SKIP_1) | instid1(VALU_DEP_1)
	v_max_f32_e32 v37, v49, v49
	v_max_f32_e32 v49, v45, v45
	v_min_f32_e32 v45, v49, v37
.LBB6_618:                              ;   in Loop: Header=BB6_394 Depth=4
	s_delay_alu instid0(VALU_DEP_1) | instskip(NEXT) | instid1(VALU_DEP_1)
	v_and_b32_e32 v37, 0x7f800000, v45
	v_cmp_ne_u32_e32 vcc_lo, 0x7f800000, v37
	v_mov_b32_e32 v37, 0x8000
	s_and_saveexec_b32 s36, vcc_lo
	s_cbranch_execz .LBB6_626
; %bb.619:                              ;   in Loop: Header=BB6_394 Depth=4
	v_mov_b32_e32 v37, 0
	s_mov_b32 s37, exec_lo
	v_cmpx_ne_u32_e32 0, v45
	s_cbranch_execz .LBB6_625
; %bb.620:                              ;   in Loop: Header=BB6_394 Depth=4
	v_bfe_u32 v37, v45, 23, 8
	v_and_b32_e32 v49, 0x7fffff, v45
	s_delay_alu instid0(VALU_DEP_2) | instskip(SKIP_1) | instid1(VALU_DEP_3)
	v_sub_nc_u32_e32 v43, 0x78, v37
	v_cmp_gt_u32_e32 vcc_lo, 0x79, v37
	v_or_b32_e32 v44, 0x800000, v49
	s_delay_alu instid0(VALU_DEP_3) | instskip(SKIP_2) | instid1(VALU_DEP_3)
	v_cndmask_b32_e32 v43, 0, v43, vcc_lo
	v_cmp_eq_u32_e32 vcc_lo, 0, v37
	v_add_nc_u32_e32 v37, 0xffffff89, v37
	v_cndmask_b32_e64 v43, v43, 0x77, vcc_lo
	v_cndmask_b32_e32 v49, v44, v49, vcc_lo
	s_delay_alu instid0(VALU_DEP_3) | instskip(NEXT) | instid1(VALU_DEP_3)
	v_cndmask_b32_e64 v37, v37, 0xffffff8a, vcc_lo
	v_lshl_add_u32 v44, 0x100000, v43, -1
	s_delay_alu instid0(VALU_DEP_3) | instskip(SKIP_1) | instid1(VALU_DEP_4)
	v_lshrrev_b32_e32 v46, v43, v49
	v_lshlrev_b32_e64 v56, v43, 0x80000
	v_add_nc_u32_e32 v43, v43, v37
	s_delay_alu instid0(VALU_DEP_4) | instskip(NEXT) | instid1(VALU_DEP_4)
	v_and_b32_e32 v49, v44, v49
	v_bfe_u32 v47, v46, 20, 1
	s_delay_alu instid0(VALU_DEP_2) | instskip(NEXT) | instid1(VALU_DEP_2)
	v_cmp_eq_u32_e64 s13, v49, v56
	v_add_nc_u32_e32 v44, -1, v47
	s_delay_alu instid0(VALU_DEP_1) | instskip(SKIP_2) | instid1(VALU_DEP_2)
	v_cndmask_b32_e64 v49, 0, v44, s13
	v_lshrrev_b32_e32 v44, 23, v46
	s_mov_b32 s13, exec_lo
	v_add_nc_u32_e32 v49, v49, v46
	s_delay_alu instid0(VALU_DEP_2) | instskip(NEXT) | instid1(VALU_DEP_2)
	v_xor_b32_e32 v44, 1, v44
	v_and_b32_e32 v37, 0xfffff, v49
	s_delay_alu instid0(VALU_DEP_1) | instskip(NEXT) | instid1(VALU_DEP_3)
	v_add_nc_u32_e32 v49, v37, v46
                                        ; implicit-def: $vgpr37
	v_cmpx_ne_u32_e64 v43, v44
	s_xor_b32 s13, exec_lo, s13
; %bb.621:                              ;   in Loop: Header=BB6_394 Depth=4
	s_delay_alu instid0(VALU_DEP_2) | instskip(SKIP_2) | instid1(VALU_DEP_2)
	v_cmp_lt_u32_e32 vcc_lo, 0xffffff, v49
	v_sub_nc_u32_e32 v37, v43, v44
	v_cndmask_b32_e64 v43, 0, 1, vcc_lo
	v_add_co_ci_u32_e32 v37, vcc_lo, 0, v37, vcc_lo
	s_delay_alu instid0(VALU_DEP_2)
	v_lshrrev_b32_e32 v49, v43, v49
; %bb.622:                              ;   in Loop: Header=BB6_394 Depth=4
	s_and_not1_saveexec_b32 s13, s13
; %bb.623:                              ;   in Loop: Header=BB6_394 Depth=4
	s_delay_alu instid0(VALU_DEP_1)
	v_bfe_u32 v37, v49, 23, 1
; %bb.624:                              ;   in Loop: Header=BB6_394 Depth=4
	s_or_b32 exec_lo, exec_lo, s13
	v_lshrrev_b32_e32 v49, 20, v49
	s_delay_alu instid0(VALU_DEP_2) | instskip(SKIP_2) | instid1(VALU_DEP_3)
	v_min_i32_e32 v43, 15, v37
	v_cmp_gt_i32_e32 vcc_lo, 16, v37
	v_lshrrev_b32_e32 v44, 24, v45
	v_lshlrev_b32_e32 v43, 3, v43
	s_delay_alu instid0(VALU_DEP_2) | instskip(NEXT) | instid1(VALU_DEP_2)
	v_dual_cndmask_b32 v49, 7, v49 :: v_dual_and_b32 v44, 0x80, v44
	v_and_b32_e32 v43, 0xf8, v43
	s_delay_alu instid0(VALU_DEP_2) | instskip(SKIP_1) | instid1(VALU_DEP_2)
	v_and_b32_e32 v45, 7, v49
	v_or_b32_e32 v37, v37, v49
	v_or3_b32 v43, v44, v43, v45
	s_delay_alu instid0(VALU_DEP_2) | instskip(NEXT) | instid1(VALU_DEP_2)
	v_cmp_ne_u32_e32 vcc_lo, 0, v37
	v_lshlrev_b32_e32 v49, 8, v43
	s_delay_alu instid0(VALU_DEP_1)
	v_cndmask_b32_e32 v37, 0, v49, vcc_lo
.LBB6_625:                              ;   in Loop: Header=BB6_394 Depth=4
	s_or_b32 exec_lo, exec_lo, s37
.LBB6_626:                              ;   in Loop: Header=BB6_394 Depth=4
	s_delay_alu instid0(SALU_CYCLE_1) | instskip(SKIP_2) | instid1(VALU_DEP_1)
	s_or_b32 exec_lo, exec_lo, s36
	v_and_b32_e32 v49, 0xff, v50
	s_and_b32 vcc_lo, exec_lo, s35
	v_cmp_lt_i16_e64 s13, 0x7f, v49
	s_cbranch_vccz .LBB6_636
; %bb.627:                              ;   in Loop: Header=BB6_394 Depth=4
	s_mov_b32 s36, 0
                                        ; implicit-def: $sgpr37
	s_delay_alu instid0(VALU_DEP_1) | instskip(NEXT) | instid1(SALU_CYCLE_1)
	s_and_saveexec_b32 vcc_lo, s13
	s_xor_b32 s13, exec_lo, vcc_lo
	s_cbranch_execnz .LBB6_2376
; %bb.628:                              ;   in Loop: Header=BB6_394 Depth=4
	s_or_saveexec_b32 s13, s13
	v_mov_b32_e32 v43, s37
	s_xor_b32 exec_lo, exec_lo, s13
	s_cbranch_execnz .LBB6_2379
.LBB6_629:                              ;   in Loop: Header=BB6_394 Depth=4
	s_or_b32 exec_lo, exec_lo, s13
	s_and_saveexec_b32 s13, s36
	s_cbranch_execz .LBB6_631
.LBB6_630:                              ;   in Loop: Header=BB6_394 Depth=4
	v_bfe_u32 v46, v50, 3, 4
	v_lshlrev_b32_e32 v47, 24, v50
	s_delay_alu instid0(VALU_DEP_2) | instskip(SKIP_1) | instid1(VALU_DEP_1)
	v_cmp_eq_u32_e32 vcc_lo, 0, v46
	v_and_b32_e32 v43, 7, v50
	v_clz_i32_u32_e32 v44, v43
	s_delay_alu instid0(VALU_DEP_1) | instskip(NEXT) | instid1(VALU_DEP_1)
	v_min_u32_e32 v44, 32, v44
	v_subrev_nc_u32_e32 v45, 28, v44
	v_sub_nc_u32_e32 v44, 29, v44
	s_delay_alu instid0(VALU_DEP_1) | instskip(NEXT) | instid1(VALU_DEP_1)
	v_dual_cndmask_b32 v44, v46, v44 :: v_dual_lshlrev_b32 v45, v45, v50
	v_and_b32_e32 v45, 7, v45
	s_delay_alu instid0(VALU_DEP_2) | instskip(NEXT) | instid1(VALU_DEP_2)
	v_lshl_add_u32 v44, v44, 23, 0x3b800000
	v_cndmask_b32_e32 v43, v43, v45, vcc_lo
	v_and_b32_e32 v45, 0x80000000, v47
	s_delay_alu instid0(VALU_DEP_2) | instskip(NEXT) | instid1(VALU_DEP_1)
	v_lshlrev_b32_e32 v43, 20, v43
	v_or3_b32 v43, v45, v44, v43
.LBB6_631:                              ;   in Loop: Header=BB6_394 Depth=4
	s_or_b32 exec_lo, exec_lo, s13
	v_and_b32_e32 v45, 0xff, v38
	s_mov_b32 s13, 0
	s_mov_b32 s37, exec_lo
                                        ; implicit-def: $sgpr36
	s_delay_alu instid0(VALU_DEP_1)
	v_cmpx_lt_i16_e32 0x7f, v45
	s_xor_b32 s37, exec_lo, s37
	s_cbranch_execnz .LBB6_2380
; %bb.632:                              ;   in Loop: Header=BB6_394 Depth=4
	s_or_saveexec_b32 s37, s37
	v_mov_b32_e32 v44, s36
	s_xor_b32 exec_lo, exec_lo, s37
	s_cbranch_execnz .LBB6_2383
.LBB6_633:                              ;   in Loop: Header=BB6_394 Depth=4
	s_or_b32 exec_lo, exec_lo, s37
	s_and_saveexec_b32 s36, s13
	s_cbranch_execz .LBB6_635
.LBB6_634:                              ;   in Loop: Header=BB6_394 Depth=4
	v_bfe_u32 v47, v38, 3, 4
	v_lshlrev_b32_e32 v56, 24, v38
	s_delay_alu instid0(VALU_DEP_2) | instskip(SKIP_1) | instid1(VALU_DEP_1)
	v_cmp_eq_u32_e32 vcc_lo, 0, v47
	v_and_b32_e32 v44, 7, v38
	v_clz_i32_u32_e32 v45, v44
	s_delay_alu instid0(VALU_DEP_1) | instskip(NEXT) | instid1(VALU_DEP_1)
	v_min_u32_e32 v45, 32, v45
	v_subrev_nc_u32_e32 v46, 28, v45
	v_sub_nc_u32_e32 v45, 29, v45
	s_delay_alu instid0(VALU_DEP_1) | instskip(NEXT) | instid1(VALU_DEP_1)
	v_dual_cndmask_b32 v45, v47, v45 :: v_dual_lshlrev_b32 v46, v46, v38
	v_and_b32_e32 v46, 7, v46
	s_delay_alu instid0(VALU_DEP_2) | instskip(NEXT) | instid1(VALU_DEP_2)
	v_lshl_add_u32 v45, v45, 23, 0x3b800000
	v_cndmask_b32_e32 v44, v44, v46, vcc_lo
	v_and_b32_e32 v46, 0x80000000, v56
	s_delay_alu instid0(VALU_DEP_2) | instskip(NEXT) | instid1(VALU_DEP_1)
	v_lshlrev_b32_e32 v44, 20, v44
	v_or3_b32 v44, v46, v45, v44
.LBB6_635:                              ;   in Loop: Header=BB6_394 Depth=4
	s_or_b32 exec_lo, exec_lo, s36
	s_delay_alu instid0(VALU_DEP_1) | instskip(SKIP_1) | instid1(VALU_DEP_1)
	v_dual_max_f32 v44, v44, v44 :: v_dual_max_f32 v43, v43, v43
	s_mov_b32 s13, 0
	v_max_f32_e32 v43, v43, v44
	s_branch .LBB6_637
.LBB6_636:                              ;   in Loop: Header=BB6_394 Depth=4
	s_mov_b32 s13, -1
                                        ; implicit-def: $vgpr43
.LBB6_637:                              ;   in Loop: Header=BB6_394 Depth=4
	s_delay_alu instid0(SALU_CYCLE_1)
	s_and_b32 vcc_lo, exec_lo, s13
	s_cbranch_vccz .LBB6_647
; %bb.638:                              ;   in Loop: Header=BB6_394 Depth=4
	s_mov_b32 s13, 0
	s_mov_b32 s37, exec_lo
                                        ; implicit-def: $sgpr36
	v_cmpx_lt_i16_e32 0x7f, v49
	s_xor_b32 s37, exec_lo, s37
	s_cbranch_execnz .LBB6_2384
; %bb.639:                              ;   in Loop: Header=BB6_394 Depth=4
	s_or_saveexec_b32 s37, s37
	v_mov_b32_e32 v43, s36
	s_xor_b32 exec_lo, exec_lo, s37
	s_cbranch_execnz .LBB6_2387
.LBB6_640:                              ;   in Loop: Header=BB6_394 Depth=4
	s_or_b32 exec_lo, exec_lo, s37
	s_and_saveexec_b32 s36, s13
	s_cbranch_execz .LBB6_642
.LBB6_641:                              ;   in Loop: Header=BB6_394 Depth=4
	v_and_b32_e32 v49, 7, v50
	v_bfe_u32 v45, v50, 3, 4
	s_delay_alu instid0(VALU_DEP_2) | instskip(NEXT) | instid1(VALU_DEP_2)
	v_clz_i32_u32_e32 v43, v49
	v_cmp_eq_u32_e32 vcc_lo, 0, v45
	s_delay_alu instid0(VALU_DEP_2) | instskip(NEXT) | instid1(VALU_DEP_1)
	v_min_u32_e32 v43, 32, v43
	v_subrev_nc_u32_e32 v44, 28, v43
	v_sub_nc_u32_e32 v43, 29, v43
	s_delay_alu instid0(VALU_DEP_1) | instskip(NEXT) | instid1(VALU_DEP_1)
	v_dual_cndmask_b32 v43, v45, v43 :: v_dual_lshlrev_b32 v44, v44, v50
	v_and_b32_e32 v44, 7, v44
	v_lshlrev_b32_e32 v46, 24, v50
	s_delay_alu instid0(VALU_DEP_3) | instskip(NEXT) | instid1(VALU_DEP_2)
	v_lshl_add_u32 v43, v43, 23, 0x3b800000
	v_dual_cndmask_b32 v49, v49, v44 :: v_dual_and_b32 v44, 0x80000000, v46
	s_delay_alu instid0(VALU_DEP_1) | instskip(NEXT) | instid1(VALU_DEP_1)
	v_lshlrev_b32_e32 v49, 20, v49
	v_or3_b32 v43, v44, v43, v49
.LBB6_642:                              ;   in Loop: Header=BB6_394 Depth=4
	s_or_b32 exec_lo, exec_lo, s36
	v_and_b32_e32 v44, 0xff, v38
	s_mov_b32 s13, 0
	s_mov_b32 s37, exec_lo
                                        ; implicit-def: $sgpr36
	s_delay_alu instid0(VALU_DEP_1)
	v_cmpx_lt_i16_e32 0x7f, v44
	s_xor_b32 s37, exec_lo, s37
	s_cbranch_execnz .LBB6_2388
; %bb.643:                              ;   in Loop: Header=BB6_394 Depth=4
	s_or_saveexec_b32 s37, s37
	v_mov_b32_e32 v49, s36
	s_xor_b32 exec_lo, exec_lo, s37
	s_cbranch_execnz .LBB6_2391
.LBB6_644:                              ;   in Loop: Header=BB6_394 Depth=4
	s_or_b32 exec_lo, exec_lo, s37
	s_and_saveexec_b32 s36, s13
	s_cbranch_execz .LBB6_646
.LBB6_645:                              ;   in Loop: Header=BB6_394 Depth=4
	v_bfe_u32 v46, v38, 3, 4
	v_lshlrev_b32_e32 v47, 24, v38
	s_delay_alu instid0(VALU_DEP_2) | instskip(SKIP_1) | instid1(VALU_DEP_1)
	v_cmp_eq_u32_e32 vcc_lo, 0, v46
	v_and_b32_e32 v49, 7, v38
	v_clz_i32_u32_e32 v44, v49
	s_delay_alu instid0(VALU_DEP_1) | instskip(NEXT) | instid1(VALU_DEP_1)
	v_min_u32_e32 v44, 32, v44
	v_subrev_nc_u32_e32 v45, 28, v44
	v_sub_nc_u32_e32 v44, 29, v44
	s_delay_alu instid0(VALU_DEP_1) | instskip(NEXT) | instid1(VALU_DEP_1)
	v_dual_cndmask_b32 v44, v46, v44 :: v_dual_lshlrev_b32 v45, v45, v38
	v_and_b32_e32 v45, 7, v45
	s_delay_alu instid0(VALU_DEP_2) | instskip(NEXT) | instid1(VALU_DEP_2)
	v_lshl_add_u32 v44, v44, 23, 0x3b800000
	v_cndmask_b32_e32 v49, v49, v45, vcc_lo
	v_and_b32_e32 v45, 0x80000000, v47
	s_delay_alu instid0(VALU_DEP_2) | instskip(NEXT) | instid1(VALU_DEP_1)
	v_lshlrev_b32_e32 v49, 20, v49
	v_or3_b32 v49, v45, v44, v49
.LBB6_646:                              ;   in Loop: Header=BB6_394 Depth=4
	s_or_b32 exec_lo, exec_lo, s36
	s_delay_alu instid0(VALU_DEP_1) | instskip(SKIP_1) | instid1(VALU_DEP_1)
	v_max_f32_e32 v49, v49, v49
	v_max_f32_e32 v43, v43, v43
	v_min_f32_e32 v43, v43, v49
.LBB6_647:                              ;   in Loop: Header=BB6_394 Depth=4
	s_delay_alu instid0(VALU_DEP_1) | instskip(NEXT) | instid1(VALU_DEP_1)
	v_and_b32_e32 v49, 0x7f800000, v43
	v_cmp_ne_u32_e32 vcc_lo, 0x7f800000, v49
	v_mov_b32_e32 v49, 0x80
	s_and_saveexec_b32 s36, vcc_lo
	s_cbranch_execz .LBB6_655
; %bb.648:                              ;   in Loop: Header=BB6_394 Depth=4
	v_mov_b32_e32 v49, 0
	s_mov_b32 s37, exec_lo
	v_cmpx_ne_u32_e32 0, v43
	s_cbranch_execz .LBB6_654
; %bb.649:                              ;   in Loop: Header=BB6_394 Depth=4
	v_bfe_u32 v49, v43, 23, 8
	s_delay_alu instid0(VALU_DEP_1) | instskip(SKIP_1) | instid1(VALU_DEP_2)
	v_sub_nc_u32_e32 v45, 0x78, v49
	v_cmp_gt_u32_e32 vcc_lo, 0x79, v49
	v_dual_cndmask_b32 v45, 0, v45 :: v_dual_and_b32 v44, 0x7fffff, v43
	s_delay_alu instid0(VALU_DEP_1) | instskip(SKIP_2) | instid1(VALU_DEP_4)
	v_or_b32_e32 v46, 0x800000, v44
	v_cmp_eq_u32_e32 vcc_lo, 0, v49
	v_add_nc_u32_e32 v49, 0xffffff89, v49
	v_cndmask_b32_e64 v45, v45, 0x77, vcc_lo
	s_delay_alu instid0(VALU_DEP_4) | instskip(NEXT) | instid1(VALU_DEP_3)
	v_cndmask_b32_e32 v44, v46, v44, vcc_lo
	v_cndmask_b32_e64 v49, v49, 0xffffff8a, vcc_lo
	s_delay_alu instid0(VALU_DEP_3) | instskip(NEXT) | instid1(VALU_DEP_3)
	v_lshl_add_u32 v46, 0x100000, v45, -1
	v_lshrrev_b32_e32 v47, v45, v44
	v_lshlrev_b32_e64 v57, v45, 0x80000
	s_delay_alu instid0(VALU_DEP_4) | instskip(NEXT) | instid1(VALU_DEP_4)
	v_add_nc_u32_e32 v45, v45, v49
	v_and_b32_e32 v44, v46, v44
	s_delay_alu instid0(VALU_DEP_4) | instskip(NEXT) | instid1(VALU_DEP_2)
	v_bfe_u32 v56, v47, 20, 1
	v_cmp_eq_u32_e64 s13, v44, v57
	s_delay_alu instid0(VALU_DEP_2) | instskip(NEXT) | instid1(VALU_DEP_1)
	v_add_nc_u32_e32 v46, -1, v56
	v_cndmask_b32_e64 v44, 0, v46, s13
	v_lshrrev_b32_e32 v46, 23, v47
	s_mov_b32 s13, exec_lo
	s_delay_alu instid0(VALU_DEP_2) | instskip(NEXT) | instid1(VALU_DEP_2)
	v_add_nc_u32_e32 v44, v44, v47
	v_xor_b32_e32 v46, 1, v46
	s_delay_alu instid0(VALU_DEP_2) | instskip(NEXT) | instid1(VALU_DEP_1)
	v_and_b32_e32 v49, 0xfffff, v44
	v_add_nc_u32_e32 v44, v49, v47
                                        ; implicit-def: $vgpr49
	s_delay_alu instid0(VALU_DEP_3)
	v_cmpx_ne_u32_e64 v45, v46
	s_xor_b32 s13, exec_lo, s13
; %bb.650:                              ;   in Loop: Header=BB6_394 Depth=4
	s_delay_alu instid0(VALU_DEP_2) | instskip(SKIP_2) | instid1(VALU_DEP_2)
	v_cmp_lt_u32_e32 vcc_lo, 0xffffff, v44
	v_sub_nc_u32_e32 v49, v45, v46
	v_cndmask_b32_e64 v45, 0, 1, vcc_lo
	v_add_co_ci_u32_e32 v49, vcc_lo, 0, v49, vcc_lo
	s_delay_alu instid0(VALU_DEP_2)
	v_lshrrev_b32_e32 v44, v45, v44
; %bb.651:                              ;   in Loop: Header=BB6_394 Depth=4
	s_and_not1_saveexec_b32 s13, s13
; %bb.652:                              ;   in Loop: Header=BB6_394 Depth=4
	s_delay_alu instid0(VALU_DEP_1)
	v_bfe_u32 v49, v44, 23, 1
; %bb.653:                              ;   in Loop: Header=BB6_394 Depth=4
	s_or_b32 exec_lo, exec_lo, s13
	v_lshrrev_b32_e32 v44, 20, v44
	s_delay_alu instid0(VALU_DEP_2) | instskip(SKIP_2) | instid1(VALU_DEP_2)
	v_cmp_gt_i32_e32 vcc_lo, 16, v49
	v_lshrrev_b32_e32 v43, 24, v43
	v_min_i32_e32 v45, 15, v49
	v_dual_cndmask_b32 v44, 7, v44 :: v_dual_and_b32 v43, 0x80, v43
	s_delay_alu instid0(VALU_DEP_2) | instskip(NEXT) | instid1(VALU_DEP_2)
	v_lshlrev_b32_e32 v45, 3, v45
	v_or_b32_e32 v49, v49, v44
	s_delay_alu instid0(VALU_DEP_1) | instskip(SKIP_1) | instid1(VALU_DEP_1)
	v_cmp_ne_u32_e32 vcc_lo, 0, v49
	v_and_b32_e32 v46, 7, v44
	v_or3_b32 v43, v45, v43, v46
	s_delay_alu instid0(VALU_DEP_1)
	v_cndmask_b32_e32 v49, 0, v43, vcc_lo
.LBB6_654:                              ;   in Loop: Header=BB6_394 Depth=4
	s_or_b32 exec_lo, exec_lo, s37
.LBB6_655:                              ;   in Loop: Header=BB6_394 Depth=4
	s_delay_alu instid0(SALU_CYCLE_1) | instskip(SKIP_3) | instid1(VALU_DEP_2)
	s_or_b32 exec_lo, exec_lo, s36
	v_lshrrev_b16 v44, 8, v50
	v_lshrrev_b16 v43, 8, v38
	s_and_b32 vcc_lo, exec_lo, s35
	v_cmp_lt_i16_e64 s13, 0x7f, v44
	s_cbranch_vccz .LBB6_665
; %bb.656:                              ;   in Loop: Header=BB6_394 Depth=4
	s_mov_b32 s36, 0
                                        ; implicit-def: $sgpr37
	s_delay_alu instid0(VALU_DEP_1) | instskip(NEXT) | instid1(SALU_CYCLE_1)
	s_and_saveexec_b32 vcc_lo, s13
	s_xor_b32 s13, exec_lo, vcc_lo
	s_cbranch_execnz .LBB6_2392
; %bb.657:                              ;   in Loop: Header=BB6_394 Depth=4
	s_or_saveexec_b32 s13, s13
	v_mov_b32_e32 v45, s37
	s_xor_b32 exec_lo, exec_lo, s13
	s_cbranch_execnz .LBB6_2395
.LBB6_658:                              ;   in Loop: Header=BB6_394 Depth=4
	s_or_b32 exec_lo, exec_lo, s13
	s_and_saveexec_b32 s13, s36
	s_cbranch_execz .LBB6_660
.LBB6_659:                              ;   in Loop: Header=BB6_394 Depth=4
	v_and_b32_e32 v45, 0xffff, v44
	s_delay_alu instid0(VALU_DEP_1) | instskip(NEXT) | instid1(VALU_DEP_1)
	v_and_b32_e32 v46, 7, v45
	v_clz_i32_u32_e32 v47, v46
	s_delay_alu instid0(VALU_DEP_1) | instskip(NEXT) | instid1(VALU_DEP_1)
	v_min_u32_e32 v47, 32, v47
	v_subrev_nc_u32_e32 v56, 28, v47
	v_sub_nc_u32_e32 v47, 29, v47
	s_delay_alu instid0(VALU_DEP_2) | instskip(SKIP_1) | instid1(VALU_DEP_2)
	v_lshlrev_b32_e32 v56, v56, v45
	v_bfe_u32 v45, v45, 3, 4
	v_and_b32_e32 v56, 7, v56
	s_delay_alu instid0(VALU_DEP_2) | instskip(SKIP_1) | instid1(VALU_DEP_3)
	v_cmp_eq_u32_e32 vcc_lo, 0, v45
	v_cndmask_b32_e32 v45, v45, v47, vcc_lo
	v_dual_cndmask_b32 v46, v46, v56 :: v_dual_lshlrev_b32 v57, 16, v50
	s_delay_alu instid0(VALU_DEP_2) | instskip(NEXT) | instid1(VALU_DEP_2)
	v_lshl_add_u32 v45, v45, 23, 0x3b800000
	v_and_b32_e32 v47, 0x80000000, v57
	s_delay_alu instid0(VALU_DEP_3) | instskip(NEXT) | instid1(VALU_DEP_1)
	v_lshlrev_b32_e32 v46, 20, v46
	v_or3_b32 v45, v47, v45, v46
.LBB6_660:                              ;   in Loop: Header=BB6_394 Depth=4
	s_or_b32 exec_lo, exec_lo, s13
	s_mov_b32 s13, 0
	s_mov_b32 s37, exec_lo
                                        ; implicit-def: $sgpr36
	v_cmpx_lt_i16_e32 0x7f, v43
	s_xor_b32 s37, exec_lo, s37
	s_cbranch_execnz .LBB6_2396
; %bb.661:                              ;   in Loop: Header=BB6_394 Depth=4
	s_or_saveexec_b32 s37, s37
	v_mov_b32_e32 v46, s36
	s_xor_b32 exec_lo, exec_lo, s37
	s_cbranch_execnz .LBB6_2399
.LBB6_662:                              ;   in Loop: Header=BB6_394 Depth=4
	s_or_b32 exec_lo, exec_lo, s37
	s_and_saveexec_b32 s36, s13
	s_cbranch_execz .LBB6_664
.LBB6_663:                              ;   in Loop: Header=BB6_394 Depth=4
	v_and_b32_e32 v46, 0xffff, v43
	v_lshlrev_b32_e32 v58, 16, v38
	s_delay_alu instid0(VALU_DEP_2) | instskip(NEXT) | instid1(VALU_DEP_1)
	v_and_b32_e32 v47, 7, v46
	v_clz_i32_u32_e32 v56, v47
	s_delay_alu instid0(VALU_DEP_1) | instskip(NEXT) | instid1(VALU_DEP_1)
	v_min_u32_e32 v56, 32, v56
	v_subrev_nc_u32_e32 v57, 28, v56
	v_sub_nc_u32_e32 v56, 29, v56
	s_delay_alu instid0(VALU_DEP_2) | instskip(SKIP_1) | instid1(VALU_DEP_2)
	v_lshlrev_b32_e32 v57, v57, v46
	v_bfe_u32 v46, v46, 3, 4
	v_and_b32_e32 v57, 7, v57
	s_delay_alu instid0(VALU_DEP_2) | instskip(NEXT) | instid1(VALU_DEP_2)
	v_cmp_eq_u32_e32 vcc_lo, 0, v46
	v_dual_cndmask_b32 v46, v46, v56 :: v_dual_cndmask_b32 v47, v47, v57
	v_and_b32_e32 v56, 0x80000000, v58
	s_delay_alu instid0(VALU_DEP_2) | instskip(NEXT) | instid1(VALU_DEP_3)
	v_lshl_add_u32 v46, v46, 23, 0x3b800000
	v_lshlrev_b32_e32 v47, 20, v47
	s_delay_alu instid0(VALU_DEP_1)
	v_or3_b32 v46, v56, v46, v47
.LBB6_664:                              ;   in Loop: Header=BB6_394 Depth=4
	s_or_b32 exec_lo, exec_lo, s36
	s_delay_alu instid0(VALU_DEP_1) | instskip(SKIP_1) | instid1(VALU_DEP_1)
	v_dual_max_f32 v46, v46, v46 :: v_dual_max_f32 v45, v45, v45
	s_mov_b32 s13, 0
	v_max_f32_e32 v45, v45, v46
	s_branch .LBB6_666
.LBB6_665:                              ;   in Loop: Header=BB6_394 Depth=4
	s_mov_b32 s13, -1
                                        ; implicit-def: $vgpr45
.LBB6_666:                              ;   in Loop: Header=BB6_394 Depth=4
	s_delay_alu instid0(SALU_CYCLE_1)
	s_and_b32 vcc_lo, exec_lo, s13
	s_cbranch_vccz .LBB6_676
; %bb.667:                              ;   in Loop: Header=BB6_394 Depth=4
	s_mov_b32 s13, 0
	s_mov_b32 s37, exec_lo
                                        ; implicit-def: $sgpr36
	v_cmpx_lt_i16_e32 0x7f, v44
	s_xor_b32 s37, exec_lo, s37
	s_cbranch_execnz .LBB6_2400
; %bb.668:                              ;   in Loop: Header=BB6_394 Depth=4
	s_or_saveexec_b32 s37, s37
	v_mov_b32_e32 v45, s36
	s_xor_b32 exec_lo, exec_lo, s37
	s_cbranch_execnz .LBB6_2403
.LBB6_669:                              ;   in Loop: Header=BB6_394 Depth=4
	s_or_b32 exec_lo, exec_lo, s37
	s_and_saveexec_b32 s36, s13
	s_cbranch_execz .LBB6_671
.LBB6_670:                              ;   in Loop: Header=BB6_394 Depth=4
	v_and_b32_e32 v44, 0xffff, v44
	v_lshlrev_b32_e32 v56, 16, v50
	s_delay_alu instid0(VALU_DEP_2) | instskip(NEXT) | instid1(VALU_DEP_1)
	v_and_b32_e32 v45, 7, v44
	v_clz_i32_u32_e32 v46, v45
	s_delay_alu instid0(VALU_DEP_1) | instskip(NEXT) | instid1(VALU_DEP_1)
	v_min_u32_e32 v46, 32, v46
	v_subrev_nc_u32_e32 v47, 28, v46
	v_sub_nc_u32_e32 v46, 29, v46
	s_delay_alu instid0(VALU_DEP_2) | instskip(SKIP_1) | instid1(VALU_DEP_2)
	v_lshlrev_b32_e32 v47, v47, v44
	v_bfe_u32 v44, v44, 3, 4
	v_and_b32_e32 v47, 7, v47
	s_delay_alu instid0(VALU_DEP_2) | instskip(NEXT) | instid1(VALU_DEP_2)
	v_cmp_eq_u32_e32 vcc_lo, 0, v44
	v_dual_cndmask_b32 v44, v44, v46 :: v_dual_cndmask_b32 v45, v45, v47
	v_and_b32_e32 v46, 0x80000000, v56
	s_delay_alu instid0(VALU_DEP_2) | instskip(NEXT) | instid1(VALU_DEP_3)
	v_lshl_add_u32 v44, v44, 23, 0x3b800000
	v_lshlrev_b32_e32 v45, 20, v45
	s_delay_alu instid0(VALU_DEP_1)
	v_or3_b32 v45, v46, v44, v45
.LBB6_671:                              ;   in Loop: Header=BB6_394 Depth=4
	s_or_b32 exec_lo, exec_lo, s36
	s_mov_b32 s13, 0
	s_mov_b32 s37, exec_lo
                                        ; implicit-def: $sgpr36
	v_cmpx_lt_i16_e32 0x7f, v43
	s_xor_b32 s37, exec_lo, s37
	s_cbranch_execnz .LBB6_2404
; %bb.672:                              ;   in Loop: Header=BB6_394 Depth=4
	s_or_saveexec_b32 s37, s37
	v_mov_b32_e32 v44, s36
	s_xor_b32 exec_lo, exec_lo, s37
	s_cbranch_execnz .LBB6_2407
.LBB6_673:                              ;   in Loop: Header=BB6_394 Depth=4
	s_or_b32 exec_lo, exec_lo, s37
	s_and_saveexec_b32 s36, s13
	s_cbranch_execz .LBB6_675
.LBB6_674:                              ;   in Loop: Header=BB6_394 Depth=4
	v_and_b32_e32 v43, 0xffff, v43
	v_lshlrev_b32_e32 v56, 16, v38
	s_delay_alu instid0(VALU_DEP_2) | instskip(NEXT) | instid1(VALU_DEP_1)
	v_and_b32_e32 v44, 7, v43
	v_clz_i32_u32_e32 v46, v44
	s_delay_alu instid0(VALU_DEP_1) | instskip(NEXT) | instid1(VALU_DEP_1)
	v_min_u32_e32 v46, 32, v46
	v_subrev_nc_u32_e32 v47, 28, v46
	v_sub_nc_u32_e32 v46, 29, v46
	s_delay_alu instid0(VALU_DEP_2) | instskip(SKIP_1) | instid1(VALU_DEP_2)
	v_lshlrev_b32_e32 v47, v47, v43
	v_bfe_u32 v43, v43, 3, 4
	v_and_b32_e32 v47, 7, v47
	s_delay_alu instid0(VALU_DEP_2) | instskip(NEXT) | instid1(VALU_DEP_2)
	v_cmp_eq_u32_e32 vcc_lo, 0, v43
	v_dual_cndmask_b32 v43, v43, v46 :: v_dual_cndmask_b32 v44, v44, v47
	v_and_b32_e32 v46, 0x80000000, v56
	s_delay_alu instid0(VALU_DEP_2) | instskip(NEXT) | instid1(VALU_DEP_3)
	v_lshl_add_u32 v43, v43, 23, 0x3b800000
	v_lshlrev_b32_e32 v44, 20, v44
	s_delay_alu instid0(VALU_DEP_1)
	v_or3_b32 v44, v46, v43, v44
.LBB6_675:                              ;   in Loop: Header=BB6_394 Depth=4
	s_or_b32 exec_lo, exec_lo, s36
	s_delay_alu instid0(VALU_DEP_1) | instskip(NEXT) | instid1(VALU_DEP_1)
	v_dual_max_f32 v43, v44, v44 :: v_dual_max_f32 v44, v45, v45
	v_min_f32_e32 v45, v44, v43
.LBB6_676:                              ;   in Loop: Header=BB6_394 Depth=4
	s_delay_alu instid0(VALU_DEP_1) | instskip(NEXT) | instid1(VALU_DEP_1)
	v_and_b32_e32 v43, 0x7f800000, v45
	v_cmp_ne_u32_e32 vcc_lo, 0x7f800000, v43
	v_mov_b32_e32 v43, 0x80
	s_and_saveexec_b32 s36, vcc_lo
	s_cbranch_execz .LBB6_684
; %bb.677:                              ;   in Loop: Header=BB6_394 Depth=4
	v_mov_b32_e32 v43, 0
	s_mov_b32 s37, exec_lo
	v_cmpx_ne_u32_e32 0, v45
	s_cbranch_execz .LBB6_683
; %bb.678:                              ;   in Loop: Header=BB6_394 Depth=4
	v_bfe_u32 v43, v45, 23, 8
	v_and_b32_e32 v44, 0x7fffff, v45
	s_delay_alu instid0(VALU_DEP_2) | instskip(SKIP_1) | instid1(VALU_DEP_3)
	v_sub_nc_u32_e32 v46, 0x78, v43
	v_cmp_gt_u32_e32 vcc_lo, 0x79, v43
	v_or_b32_e32 v47, 0x800000, v44
	s_delay_alu instid0(VALU_DEP_3) | instskip(SKIP_2) | instid1(VALU_DEP_3)
	v_cndmask_b32_e32 v46, 0, v46, vcc_lo
	v_cmp_eq_u32_e32 vcc_lo, 0, v43
	v_add_nc_u32_e32 v43, 0xffffff89, v43
	v_cndmask_b32_e64 v46, v46, 0x77, vcc_lo
	v_cndmask_b32_e32 v44, v47, v44, vcc_lo
	s_delay_alu instid0(VALU_DEP_3) | instskip(NEXT) | instid1(VALU_DEP_3)
	v_cndmask_b32_e64 v43, v43, 0xffffff8a, vcc_lo
	v_lshl_add_u32 v47, 0x100000, v46, -1
	s_delay_alu instid0(VALU_DEP_3) | instskip(SKIP_1) | instid1(VALU_DEP_4)
	v_lshrrev_b32_e32 v56, v46, v44
	v_lshlrev_b32_e64 v58, v46, 0x80000
	v_add_nc_u32_e32 v46, v46, v43
	s_delay_alu instid0(VALU_DEP_4) | instskip(NEXT) | instid1(VALU_DEP_4)
	v_and_b32_e32 v44, v47, v44
	v_bfe_u32 v57, v56, 20, 1
	s_delay_alu instid0(VALU_DEP_2) | instskip(NEXT) | instid1(VALU_DEP_2)
	v_cmp_eq_u32_e64 s13, v44, v58
	v_add_nc_u32_e32 v47, -1, v57
	s_delay_alu instid0(VALU_DEP_1) | instskip(SKIP_2) | instid1(VALU_DEP_2)
	v_cndmask_b32_e64 v44, 0, v47, s13
	v_lshrrev_b32_e32 v47, 23, v56
	s_mov_b32 s13, exec_lo
	v_add_nc_u32_e32 v44, v44, v56
	s_delay_alu instid0(VALU_DEP_2) | instskip(NEXT) | instid1(VALU_DEP_2)
	v_xor_b32_e32 v47, 1, v47
	v_and_b32_e32 v43, 0xfffff, v44
	s_delay_alu instid0(VALU_DEP_1) | instskip(NEXT) | instid1(VALU_DEP_3)
	v_add_nc_u32_e32 v44, v43, v56
                                        ; implicit-def: $vgpr43
	v_cmpx_ne_u32_e64 v46, v47
	s_xor_b32 s13, exec_lo, s13
; %bb.679:                              ;   in Loop: Header=BB6_394 Depth=4
	s_delay_alu instid0(VALU_DEP_2) | instskip(SKIP_2) | instid1(VALU_DEP_2)
	v_cmp_lt_u32_e32 vcc_lo, 0xffffff, v44
	v_sub_nc_u32_e32 v43, v46, v47
	v_cndmask_b32_e64 v46, 0, 1, vcc_lo
	v_add_co_ci_u32_e32 v43, vcc_lo, 0, v43, vcc_lo
	s_delay_alu instid0(VALU_DEP_2)
	v_lshrrev_b32_e32 v44, v46, v44
; %bb.680:                              ;   in Loop: Header=BB6_394 Depth=4
	s_and_not1_saveexec_b32 s13, s13
; %bb.681:                              ;   in Loop: Header=BB6_394 Depth=4
	s_delay_alu instid0(VALU_DEP_1)
	v_bfe_u32 v43, v44, 23, 1
; %bb.682:                              ;   in Loop: Header=BB6_394 Depth=4
	s_or_b32 exec_lo, exec_lo, s13
	v_lshrrev_b32_e32 v44, 20, v44
	s_delay_alu instid0(VALU_DEP_2) | instskip(SKIP_2) | instid1(VALU_DEP_2)
	v_cmp_gt_i32_e32 vcc_lo, 16, v43
	v_lshrrev_b32_e32 v45, 24, v45
	v_min_i32_e32 v46, 15, v43
	v_dual_cndmask_b32 v44, 7, v44 :: v_dual_and_b32 v45, 0x80, v45
	s_delay_alu instid0(VALU_DEP_1) | instskip(SKIP_1) | instid1(VALU_DEP_2)
	v_or_b32_e32 v43, v43, v44
	v_and_b32_e32 v47, 7, v44
	v_cmp_ne_u32_e32 vcc_lo, 0, v43
	v_lshlrev_b32_e32 v46, 3, v46
	s_delay_alu instid0(VALU_DEP_1) | instskip(NEXT) | instid1(VALU_DEP_1)
	v_or3_b32 v44, v46, v45, v47
	v_cndmask_b32_e32 v43, 0, v44, vcc_lo
.LBB6_683:                              ;   in Loop: Header=BB6_394 Depth=4
	s_or_b32 exec_lo, exec_lo, s37
.LBB6_684:                              ;   in Loop: Header=BB6_394 Depth=4
	s_delay_alu instid0(SALU_CYCLE_1) | instskip(SKIP_3) | instid1(VALU_DEP_2)
	s_or_b32 exec_lo, exec_lo, s36
	v_lshrrev_b32_e32 v45, 16, v50
	v_lshrrev_b32_e32 v44, 16, v38
	s_and_b32 vcc_lo, exec_lo, s35
	v_and_b32_e32 v46, 0xff, v45
	s_delay_alu instid0(VALU_DEP_1)
	v_cmp_lt_i16_e64 s13, 0x7f, v46
	s_cbranch_vccz .LBB6_694
; %bb.685:                              ;   in Loop: Header=BB6_394 Depth=4
	s_mov_b32 s36, 0
                                        ; implicit-def: $sgpr37
	s_delay_alu instid0(VALU_DEP_1) | instskip(NEXT) | instid1(SALU_CYCLE_1)
	s_and_saveexec_b32 vcc_lo, s13
	s_xor_b32 s13, exec_lo, vcc_lo
	s_cbranch_execnz .LBB6_2408
; %bb.686:                              ;   in Loop: Header=BB6_394 Depth=4
	s_or_saveexec_b32 s13, s13
	v_mov_b32_e32 v47, s37
	s_xor_b32 exec_lo, exec_lo, s13
	s_cbranch_execnz .LBB6_2411
.LBB6_687:                              ;   in Loop: Header=BB6_394 Depth=4
	s_or_b32 exec_lo, exec_lo, s13
	s_and_saveexec_b32 s13, s36
	s_cbranch_execz .LBB6_689
.LBB6_688:                              ;   in Loop: Header=BB6_394 Depth=4
	v_bfe_u32 v47, v50, 16, 3
	v_bfe_u32 v58, v50, 19, 4
	v_lshlrev_b32_e32 v59, 24, v45
	s_delay_alu instid0(VALU_DEP_3) | instskip(NEXT) | instid1(VALU_DEP_3)
	v_clz_i32_u32_e32 v56, v47
	v_cmp_eq_u32_e32 vcc_lo, 0, v58
	s_delay_alu instid0(VALU_DEP_2) | instskip(NEXT) | instid1(VALU_DEP_1)
	v_min_u32_e32 v56, 32, v56
	v_subrev_nc_u32_e32 v57, 28, v56
	v_sub_nc_u32_e32 v56, 29, v56
	s_delay_alu instid0(VALU_DEP_1) | instskip(NEXT) | instid1(VALU_DEP_1)
	v_dual_cndmask_b32 v56, v58, v56 :: v_dual_lshlrev_b32 v57, v57, v45
	v_and_b32_e32 v57, 7, v57
	s_delay_alu instid0(VALU_DEP_2) | instskip(NEXT) | instid1(VALU_DEP_2)
	v_lshl_add_u32 v56, v56, 23, 0x3b800000
	v_cndmask_b32_e32 v47, v47, v57, vcc_lo
	v_and_b32_e32 v57, 0x80000000, v59
	s_delay_alu instid0(VALU_DEP_2) | instskip(NEXT) | instid1(VALU_DEP_1)
	v_lshlrev_b32_e32 v47, 20, v47
	v_or3_b32 v47, v57, v56, v47
.LBB6_689:                              ;   in Loop: Header=BB6_394 Depth=4
	s_or_b32 exec_lo, exec_lo, s13
	v_and_b32_e32 v57, 0xff, v44
	s_mov_b32 s13, 0
	s_mov_b32 s37, exec_lo
                                        ; implicit-def: $sgpr36
	s_delay_alu instid0(VALU_DEP_1)
	v_cmpx_lt_i16_e32 0x7f, v57
	s_xor_b32 s37, exec_lo, s37
	s_cbranch_execnz .LBB6_2412
; %bb.690:                              ;   in Loop: Header=BB6_394 Depth=4
	s_or_saveexec_b32 s37, s37
	v_mov_b32_e32 v56, s36
	s_xor_b32 exec_lo, exec_lo, s37
	s_cbranch_execnz .LBB6_2415
.LBB6_691:                              ;   in Loop: Header=BB6_394 Depth=4
	s_or_b32 exec_lo, exec_lo, s37
	s_and_saveexec_b32 s36, s13
	s_cbranch_execz .LBB6_693
.LBB6_692:                              ;   in Loop: Header=BB6_394 Depth=4
	v_bfe_u32 v56, v38, 16, 3
	v_bfe_u32 v59, v38, 19, 4
	v_lshlrev_b32_e32 v60, 24, v44
	s_delay_alu instid0(VALU_DEP_3) | instskip(NEXT) | instid1(VALU_DEP_3)
	v_clz_i32_u32_e32 v57, v56
	v_cmp_eq_u32_e32 vcc_lo, 0, v59
	s_delay_alu instid0(VALU_DEP_2) | instskip(NEXT) | instid1(VALU_DEP_1)
	v_min_u32_e32 v57, 32, v57
	v_subrev_nc_u32_e32 v58, 28, v57
	v_sub_nc_u32_e32 v57, 29, v57
	s_delay_alu instid0(VALU_DEP_1) | instskip(NEXT) | instid1(VALU_DEP_1)
	v_dual_cndmask_b32 v57, v59, v57 :: v_dual_lshlrev_b32 v58, v58, v44
	v_and_b32_e32 v58, 7, v58
	s_delay_alu instid0(VALU_DEP_2) | instskip(NEXT) | instid1(VALU_DEP_2)
	v_lshl_add_u32 v57, v57, 23, 0x3b800000
	v_cndmask_b32_e32 v56, v56, v58, vcc_lo
	v_and_b32_e32 v58, 0x80000000, v60
	s_delay_alu instid0(VALU_DEP_2) | instskip(NEXT) | instid1(VALU_DEP_1)
	v_lshlrev_b32_e32 v56, 20, v56
	v_or3_b32 v56, v58, v57, v56
.LBB6_693:                              ;   in Loop: Header=BB6_394 Depth=4
	s_or_b32 exec_lo, exec_lo, s36
	s_delay_alu instid0(VALU_DEP_1) | instskip(SKIP_1) | instid1(VALU_DEP_1)
	v_dual_max_f32 v56, v56, v56 :: v_dual_max_f32 v47, v47, v47
	s_mov_b32 s13, 0
	v_max_f32_e32 v47, v47, v56
	s_branch .LBB6_695
.LBB6_694:                              ;   in Loop: Header=BB6_394 Depth=4
	s_mov_b32 s13, -1
                                        ; implicit-def: $vgpr47
.LBB6_695:                              ;   in Loop: Header=BB6_394 Depth=4
	s_delay_alu instid0(SALU_CYCLE_1)
	s_and_b32 vcc_lo, exec_lo, s13
	s_cbranch_vccz .LBB6_705
; %bb.696:                              ;   in Loop: Header=BB6_394 Depth=4
	s_mov_b32 s13, 0
	s_mov_b32 s37, exec_lo
                                        ; implicit-def: $sgpr36
	v_cmpx_lt_i16_e32 0x7f, v46
	s_xor_b32 s37, exec_lo, s37
	s_cbranch_execnz .LBB6_2416
; %bb.697:                              ;   in Loop: Header=BB6_394 Depth=4
	s_or_saveexec_b32 s37, s37
	v_mov_b32_e32 v47, s36
	s_xor_b32 exec_lo, exec_lo, s37
	s_cbranch_execnz .LBB6_2419
.LBB6_698:                              ;   in Loop: Header=BB6_394 Depth=4
	s_or_b32 exec_lo, exec_lo, s37
	s_and_saveexec_b32 s36, s13
	s_cbranch_execz .LBB6_700
.LBB6_699:                              ;   in Loop: Header=BB6_394 Depth=4
	v_bfe_u32 v46, v50, 16, 3
	v_bfe_u32 v57, v50, 19, 4
	s_delay_alu instid0(VALU_DEP_2) | instskip(NEXT) | instid1(VALU_DEP_2)
	v_clz_i32_u32_e32 v47, v46
	v_cmp_eq_u32_e32 vcc_lo, 0, v57
	s_delay_alu instid0(VALU_DEP_2) | instskip(NEXT) | instid1(VALU_DEP_1)
	v_min_u32_e32 v47, 32, v47
	v_subrev_nc_u32_e32 v56, 28, v47
	v_sub_nc_u32_e32 v47, 29, v47
	s_delay_alu instid0(VALU_DEP_1) | instskip(NEXT) | instid1(VALU_DEP_1)
	v_dual_cndmask_b32 v47, v57, v47 :: v_dual_lshlrev_b32 v56, v56, v45
	v_and_b32_e32 v56, 7, v56
	v_lshlrev_b32_e32 v45, 24, v45
	s_delay_alu instid0(VALU_DEP_3) | instskip(NEXT) | instid1(VALU_DEP_2)
	v_lshl_add_u32 v47, v47, 23, 0x3b800000
	v_dual_cndmask_b32 v46, v46, v56 :: v_dual_and_b32 v45, 0x80000000, v45
	s_delay_alu instid0(VALU_DEP_1) | instskip(NEXT) | instid1(VALU_DEP_1)
	v_lshlrev_b32_e32 v46, 20, v46
	v_or3_b32 v47, v45, v47, v46
.LBB6_700:                              ;   in Loop: Header=BB6_394 Depth=4
	s_or_b32 exec_lo, exec_lo, s36
	v_and_b32_e32 v46, 0xff, v44
	s_mov_b32 s13, 0
	s_mov_b32 s37, exec_lo
                                        ; implicit-def: $sgpr36
	s_delay_alu instid0(VALU_DEP_1)
	v_cmpx_lt_i16_e32 0x7f, v46
	s_xor_b32 s37, exec_lo, s37
	s_cbranch_execnz .LBB6_2420
; %bb.701:                              ;   in Loop: Header=BB6_394 Depth=4
	s_or_saveexec_b32 s37, s37
	v_mov_b32_e32 v45, s36
	s_xor_b32 exec_lo, exec_lo, s37
	s_cbranch_execnz .LBB6_2423
.LBB6_702:                              ;   in Loop: Header=BB6_394 Depth=4
	s_or_b32 exec_lo, exec_lo, s37
	s_and_saveexec_b32 s36, s13
	s_cbranch_execz .LBB6_704
.LBB6_703:                              ;   in Loop: Header=BB6_394 Depth=4
	v_bfe_u32 v45, v38, 16, 3
	v_bfe_u32 v57, v38, 19, 4
	s_delay_alu instid0(VALU_DEP_2) | instskip(NEXT) | instid1(VALU_DEP_2)
	v_clz_i32_u32_e32 v46, v45
	v_cmp_eq_u32_e32 vcc_lo, 0, v57
	s_delay_alu instid0(VALU_DEP_2) | instskip(NEXT) | instid1(VALU_DEP_1)
	v_min_u32_e32 v46, 32, v46
	v_subrev_nc_u32_e32 v56, 28, v46
	v_sub_nc_u32_e32 v46, 29, v46
	s_delay_alu instid0(VALU_DEP_2) | instskip(SKIP_1) | instid1(VALU_DEP_2)
	v_lshlrev_b32_e32 v56, v56, v44
	v_lshlrev_b32_e32 v44, 24, v44
	v_and_b32_e32 v56, 7, v56
	s_delay_alu instid0(VALU_DEP_2) | instskip(NEXT) | instid1(VALU_DEP_2)
	v_and_b32_e32 v44, 0x80000000, v44
	v_cndmask_b32_e32 v45, v45, v56, vcc_lo
	s_delay_alu instid0(VALU_DEP_1) | instskip(NEXT) | instid1(VALU_DEP_1)
	v_dual_cndmask_b32 v46, v57, v46 :: v_dual_lshlrev_b32 v45, 20, v45
	v_lshl_add_u32 v46, v46, 23, 0x3b800000
	s_delay_alu instid0(VALU_DEP_1)
	v_or3_b32 v45, v44, v46, v45
.LBB6_704:                              ;   in Loop: Header=BB6_394 Depth=4
	s_or_b32 exec_lo, exec_lo, s36
	s_delay_alu instid0(VALU_DEP_1) | instskip(NEXT) | instid1(VALU_DEP_1)
	v_dual_max_f32 v44, v45, v45 :: v_dual_max_f32 v45, v47, v47
	v_min_f32_e32 v47, v45, v44
.LBB6_705:                              ;   in Loop: Header=BB6_394 Depth=4
	s_delay_alu instid0(VALU_DEP_1) | instskip(NEXT) | instid1(VALU_DEP_1)
	v_and_b32_e32 v44, 0x7f800000, v47
	v_cmp_ne_u32_e32 vcc_lo, 0x7f800000, v44
	v_mov_b32_e32 v44, 0x80
	s_and_saveexec_b32 s36, vcc_lo
	s_cbranch_execz .LBB6_713
; %bb.706:                              ;   in Loop: Header=BB6_394 Depth=4
	v_mov_b32_e32 v44, 0
	s_mov_b32 s37, exec_lo
	v_cmpx_ne_u32_e32 0, v47
	s_cbranch_execz .LBB6_712
; %bb.707:                              ;   in Loop: Header=BB6_394 Depth=4
	v_bfe_u32 v44, v47, 23, 8
	s_delay_alu instid0(VALU_DEP_1) | instskip(SKIP_1) | instid1(VALU_DEP_2)
	v_sub_nc_u32_e32 v46, 0x78, v44
	v_cmp_gt_u32_e32 vcc_lo, 0x79, v44
	v_dual_cndmask_b32 v46, 0, v46 :: v_dual_and_b32 v45, 0x7fffff, v47
	s_delay_alu instid0(VALU_DEP_1) | instskip(SKIP_2) | instid1(VALU_DEP_4)
	v_or_b32_e32 v56, 0x800000, v45
	v_cmp_eq_u32_e32 vcc_lo, 0, v44
	v_add_nc_u32_e32 v44, 0xffffff89, v44
	v_cndmask_b32_e64 v46, v46, 0x77, vcc_lo
	s_delay_alu instid0(VALU_DEP_4) | instskip(NEXT) | instid1(VALU_DEP_3)
	v_cndmask_b32_e32 v45, v56, v45, vcc_lo
	v_cndmask_b32_e64 v44, v44, 0xffffff8a, vcc_lo
	s_delay_alu instid0(VALU_DEP_3) | instskip(NEXT) | instid1(VALU_DEP_3)
	v_lshl_add_u32 v56, 0x100000, v46, -1
	v_lshrrev_b32_e32 v57, v46, v45
	v_lshlrev_b32_e64 v59, v46, 0x80000
	s_delay_alu instid0(VALU_DEP_4) | instskip(NEXT) | instid1(VALU_DEP_4)
	v_add_nc_u32_e32 v46, v46, v44
	v_and_b32_e32 v45, v56, v45
	s_delay_alu instid0(VALU_DEP_4) | instskip(NEXT) | instid1(VALU_DEP_2)
	v_bfe_u32 v58, v57, 20, 1
	v_cmp_eq_u32_e64 s13, v45, v59
	s_delay_alu instid0(VALU_DEP_2) | instskip(NEXT) | instid1(VALU_DEP_1)
	v_add_nc_u32_e32 v56, -1, v58
	v_cndmask_b32_e64 v45, 0, v56, s13
	v_lshrrev_b32_e32 v56, 23, v57
	s_mov_b32 s13, exec_lo
	s_delay_alu instid0(VALU_DEP_2) | instskip(NEXT) | instid1(VALU_DEP_2)
	v_add_nc_u32_e32 v45, v45, v57
	v_xor_b32_e32 v56, 1, v56
	s_delay_alu instid0(VALU_DEP_2) | instskip(NEXT) | instid1(VALU_DEP_1)
	v_and_b32_e32 v44, 0xfffff, v45
	v_add_nc_u32_e32 v45, v44, v57
                                        ; implicit-def: $vgpr44
	s_delay_alu instid0(VALU_DEP_3)
	v_cmpx_ne_u32_e64 v46, v56
	s_xor_b32 s13, exec_lo, s13
; %bb.708:                              ;   in Loop: Header=BB6_394 Depth=4
	s_delay_alu instid0(VALU_DEP_2) | instskip(SKIP_2) | instid1(VALU_DEP_2)
	v_cmp_lt_u32_e32 vcc_lo, 0xffffff, v45
	v_sub_nc_u32_e32 v44, v46, v56
	v_cndmask_b32_e64 v46, 0, 1, vcc_lo
	v_add_co_ci_u32_e32 v44, vcc_lo, 0, v44, vcc_lo
	s_delay_alu instid0(VALU_DEP_2)
	v_lshrrev_b32_e32 v45, v46, v45
; %bb.709:                              ;   in Loop: Header=BB6_394 Depth=4
	s_and_not1_saveexec_b32 s13, s13
; %bb.710:                              ;   in Loop: Header=BB6_394 Depth=4
	s_delay_alu instid0(VALU_DEP_1)
	v_bfe_u32 v44, v45, 23, 1
; %bb.711:                              ;   in Loop: Header=BB6_394 Depth=4
	s_or_b32 exec_lo, exec_lo, s13
	v_lshrrev_b32_e32 v45, 20, v45
	s_delay_alu instid0(VALU_DEP_2) | instskip(SKIP_2) | instid1(VALU_DEP_2)
	v_cmp_gt_i32_e32 vcc_lo, 16, v44
	v_lshrrev_b32_e32 v46, 24, v47
	v_min_i32_e32 v47, 15, v44
	v_dual_cndmask_b32 v45, 7, v45 :: v_dual_and_b32 v46, 0x80, v46
	s_delay_alu instid0(VALU_DEP_1) | instskip(SKIP_1) | instid1(VALU_DEP_2)
	v_or_b32_e32 v44, v44, v45
	v_and_b32_e32 v56, 7, v45
	v_cmp_ne_u32_e32 vcc_lo, 0, v44
	v_lshlrev_b32_e32 v47, 3, v47
	s_delay_alu instid0(VALU_DEP_1) | instskip(NEXT) | instid1(VALU_DEP_1)
	v_or3_b32 v45, v47, v46, v56
	v_cndmask_b32_e32 v44, 0, v45, vcc_lo
.LBB6_712:                              ;   in Loop: Header=BB6_394 Depth=4
	s_or_b32 exec_lo, exec_lo, s37
.LBB6_713:                              ;   in Loop: Header=BB6_394 Depth=4
	s_delay_alu instid0(SALU_CYCLE_1) | instskip(SKIP_3) | instid1(VALU_DEP_2)
	s_or_b32 exec_lo, exec_lo, s36
	v_lshrrev_b32_e32 v46, 24, v50
	v_lshrrev_b32_e32 v45, 24, v38
	s_and_b32 vcc_lo, exec_lo, s35
	v_cmp_lt_i16_e64 s13, 0x7f, v46
	s_cbranch_vccz .LBB6_723
; %bb.714:                              ;   in Loop: Header=BB6_394 Depth=4
	s_mov_b32 s36, 0
                                        ; implicit-def: $sgpr37
	s_delay_alu instid0(VALU_DEP_1) | instskip(NEXT) | instid1(SALU_CYCLE_1)
	s_and_saveexec_b32 vcc_lo, s13
	s_xor_b32 s13, exec_lo, vcc_lo
	s_cbranch_execnz .LBB6_2424
; %bb.715:                              ;   in Loop: Header=BB6_394 Depth=4
	s_or_saveexec_b32 s13, s13
	v_mov_b32_e32 v47, s37
	s_xor_b32 exec_lo, exec_lo, s13
	s_cbranch_execnz .LBB6_2427
.LBB6_716:                              ;   in Loop: Header=BB6_394 Depth=4
	s_or_b32 exec_lo, exec_lo, s13
	s_and_saveexec_b32 s13, s36
	s_cbranch_execz .LBB6_718
.LBB6_717:                              ;   in Loop: Header=BB6_394 Depth=4
	v_bfe_u32 v47, v50, 24, 3
	v_bfe_u32 v58, v50, 27, 4
	s_delay_alu instid0(VALU_DEP_2) | instskip(NEXT) | instid1(VALU_DEP_2)
	v_clz_i32_u32_e32 v56, v47
	v_cmp_eq_u32_e32 vcc_lo, 0, v58
	s_delay_alu instid0(VALU_DEP_2) | instskip(NEXT) | instid1(VALU_DEP_1)
	v_min_u32_e32 v56, 32, v56
	v_subrev_nc_u32_e32 v57, 28, v56
	v_sub_nc_u32_e32 v56, 29, v56
	s_delay_alu instid0(VALU_DEP_1) | instskip(NEXT) | instid1(VALU_DEP_1)
	v_dual_cndmask_b32 v56, v58, v56 :: v_dual_lshlrev_b32 v57, v57, v46
	v_and_b32_e32 v57, 7, v57
	s_delay_alu instid0(VALU_DEP_2) | instskip(NEXT) | instid1(VALU_DEP_2)
	v_lshl_add_u32 v56, v56, 23, 0x3b800000
	v_cndmask_b32_e32 v47, v47, v57, vcc_lo
	v_and_b32_e32 v57, 0x80000000, v50
	s_delay_alu instid0(VALU_DEP_2) | instskip(NEXT) | instid1(VALU_DEP_1)
	v_lshlrev_b32_e32 v47, 20, v47
	v_or3_b32 v47, v57, v56, v47
.LBB6_718:                              ;   in Loop: Header=BB6_394 Depth=4
	s_or_b32 exec_lo, exec_lo, s13
	s_mov_b32 s13, 0
	s_mov_b32 s37, exec_lo
                                        ; implicit-def: $sgpr36
	v_cmpx_lt_i16_e32 0x7f, v45
	s_xor_b32 s37, exec_lo, s37
	s_cbranch_execnz .LBB6_2428
; %bb.719:                              ;   in Loop: Header=BB6_394 Depth=4
	s_or_saveexec_b32 s37, s37
	v_mov_b32_e32 v56, s36
	s_xor_b32 exec_lo, exec_lo, s37
	s_cbranch_execnz .LBB6_2431
.LBB6_720:                              ;   in Loop: Header=BB6_394 Depth=4
	s_or_b32 exec_lo, exec_lo, s37
	s_and_saveexec_b32 s36, s13
	s_cbranch_execz .LBB6_722
.LBB6_721:                              ;   in Loop: Header=BB6_394 Depth=4
	v_bfe_u32 v56, v38, 24, 3
	v_bfe_u32 v59, v38, 27, 4
	s_delay_alu instid0(VALU_DEP_2) | instskip(NEXT) | instid1(VALU_DEP_2)
	v_clz_i32_u32_e32 v57, v56
	v_cmp_eq_u32_e32 vcc_lo, 0, v59
	s_delay_alu instid0(VALU_DEP_2) | instskip(NEXT) | instid1(VALU_DEP_1)
	v_min_u32_e32 v57, 32, v57
	v_subrev_nc_u32_e32 v58, 28, v57
	v_sub_nc_u32_e32 v57, 29, v57
	s_delay_alu instid0(VALU_DEP_2) | instskip(NEXT) | instid1(VALU_DEP_1)
	v_lshlrev_b32_e32 v58, v58, v45
	v_dual_cndmask_b32 v57, v59, v57 :: v_dual_and_b32 v58, 7, v58
	s_delay_alu instid0(VALU_DEP_1) | instskip(NEXT) | instid1(VALU_DEP_2)
	v_lshl_add_u32 v57, v57, 23, 0x3b800000
	v_cndmask_b32_e32 v56, v56, v58, vcc_lo
	v_and_b32_e32 v58, 0x80000000, v38
	s_delay_alu instid0(VALU_DEP_2) | instskip(NEXT) | instid1(VALU_DEP_1)
	v_lshlrev_b32_e32 v56, 20, v56
	v_or3_b32 v56, v58, v57, v56
.LBB6_722:                              ;   in Loop: Header=BB6_394 Depth=4
	s_or_b32 exec_lo, exec_lo, s36
	s_delay_alu instid0(VALU_DEP_1) | instskip(SKIP_1) | instid1(VALU_DEP_1)
	v_dual_max_f32 v56, v56, v56 :: v_dual_max_f32 v47, v47, v47
	s_mov_b32 s13, 0
	v_max_f32_e32 v47, v47, v56
	s_branch .LBB6_724
.LBB6_723:                              ;   in Loop: Header=BB6_394 Depth=4
	s_mov_b32 s13, -1
                                        ; implicit-def: $vgpr47
.LBB6_724:                              ;   in Loop: Header=BB6_394 Depth=4
	s_delay_alu instid0(SALU_CYCLE_1)
	s_and_b32 vcc_lo, exec_lo, s13
	s_cbranch_vccz .LBB6_734
; %bb.725:                              ;   in Loop: Header=BB6_394 Depth=4
	s_mov_b32 s13, 0
	s_mov_b32 s37, exec_lo
                                        ; implicit-def: $sgpr36
	v_cmpx_lt_i16_e32 0x7f, v46
	s_xor_b32 s37, exec_lo, s37
	s_cbranch_execnz .LBB6_2432
; %bb.726:                              ;   in Loop: Header=BB6_394 Depth=4
	s_or_saveexec_b32 s37, s37
	v_mov_b32_e32 v47, s36
	s_xor_b32 exec_lo, exec_lo, s37
	s_cbranch_execnz .LBB6_2435
.LBB6_727:                              ;   in Loop: Header=BB6_394 Depth=4
	s_or_b32 exec_lo, exec_lo, s37
	s_and_saveexec_b32 s36, s13
	s_cbranch_execz .LBB6_729
.LBB6_728:                              ;   in Loop: Header=BB6_394 Depth=4
	v_bfe_u32 v47, v50, 24, 3
	s_delay_alu instid0(VALU_DEP_1) | instskip(NEXT) | instid1(VALU_DEP_1)
	v_clz_i32_u32_e32 v56, v47
	v_min_u32_e32 v56, 32, v56
	s_delay_alu instid0(VALU_DEP_1) | instskip(SKIP_1) | instid1(VALU_DEP_2)
	v_subrev_nc_u32_e32 v57, 28, v56
	v_sub_nc_u32_e32 v56, 29, v56
	v_lshlrev_b32_e32 v46, v57, v46
	v_bfe_u32 v57, v50, 27, 4
	v_and_b32_e32 v50, 0x80000000, v50
	s_delay_alu instid0(VALU_DEP_3) | instskip(NEXT) | instid1(VALU_DEP_3)
	v_and_b32_e32 v46, 7, v46
	v_cmp_eq_u32_e32 vcc_lo, 0, v57
	v_cndmask_b32_e32 v56, v57, v56, vcc_lo
	s_delay_alu instid0(VALU_DEP_3) | instskip(NEXT) | instid1(VALU_DEP_2)
	v_cndmask_b32_e32 v46, v47, v46, vcc_lo
	v_lshl_add_u32 v47, v56, 23, 0x3b800000
	s_delay_alu instid0(VALU_DEP_2) | instskip(NEXT) | instid1(VALU_DEP_1)
	v_lshlrev_b32_e32 v46, 20, v46
	v_or3_b32 v47, v50, v47, v46
.LBB6_729:                              ;   in Loop: Header=BB6_394 Depth=4
	s_or_b32 exec_lo, exec_lo, s36
	s_mov_b32 s13, 0
	s_mov_b32 s37, exec_lo
                                        ; implicit-def: $sgpr36
	v_cmpx_lt_i16_e32 0x7f, v45
	s_xor_b32 s37, exec_lo, s37
	s_cbranch_execnz .LBB6_2436
; %bb.730:                              ;   in Loop: Header=BB6_394 Depth=4
	s_or_saveexec_b32 s37, s37
	v_mov_b32_e32 v50, s36
	s_xor_b32 exec_lo, exec_lo, s37
	s_cbranch_execnz .LBB6_2439
.LBB6_731:                              ;   in Loop: Header=BB6_394 Depth=4
	s_or_b32 exec_lo, exec_lo, s37
	s_and_saveexec_b32 s36, s13
	s_cbranch_execz .LBB6_733
.LBB6_732:                              ;   in Loop: Header=BB6_394 Depth=4
	v_bfe_u32 v50, v38, 24, 3
	s_delay_alu instid0(VALU_DEP_1) | instskip(NEXT) | instid1(VALU_DEP_1)
	v_clz_i32_u32_e32 v46, v50
	v_min_u32_e32 v46, 32, v46
	s_delay_alu instid0(VALU_DEP_1) | instskip(SKIP_1) | instid1(VALU_DEP_2)
	v_subrev_nc_u32_e32 v56, 28, v46
	v_sub_nc_u32_e32 v46, 29, v46
	v_lshlrev_b32_e32 v45, v56, v45
	v_bfe_u32 v56, v38, 27, 4
	v_and_b32_e32 v38, 0x80000000, v38
	s_delay_alu instid0(VALU_DEP_2) | instskip(NEXT) | instid1(VALU_DEP_4)
	v_cmp_eq_u32_e32 vcc_lo, 0, v56
	v_dual_cndmask_b32 v46, v56, v46 :: v_dual_and_b32 v45, 7, v45
	s_delay_alu instid0(VALU_DEP_1) | instskip(NEXT) | instid1(VALU_DEP_2)
	v_cndmask_b32_e32 v50, v50, v45, vcc_lo
	v_lshl_add_u32 v45, v46, 23, 0x3b800000
	s_delay_alu instid0(VALU_DEP_2) | instskip(NEXT) | instid1(VALU_DEP_1)
	v_lshlrev_b32_e32 v50, 20, v50
	v_or3_b32 v50, v38, v45, v50
.LBB6_733:                              ;   in Loop: Header=BB6_394 Depth=4
	s_or_b32 exec_lo, exec_lo, s36
	s_delay_alu instid0(VALU_DEP_1) | instskip(SKIP_1) | instid1(VALU_DEP_1)
	v_max_f32_e32 v38, v50, v50
	v_max_f32_e32 v50, v47, v47
	v_min_f32_e32 v47, v50, v38
.LBB6_734:                              ;   in Loop: Header=BB6_394 Depth=4
	s_delay_alu instid0(VALU_DEP_1) | instskip(NEXT) | instid1(VALU_DEP_1)
	v_and_b32_e32 v38, 0x7f800000, v47
	v_cmp_ne_u32_e32 vcc_lo, 0x7f800000, v38
	v_mov_b32_e32 v38, 0x80
	s_and_saveexec_b32 s36, vcc_lo
	s_cbranch_execz .LBB6_742
; %bb.735:                              ;   in Loop: Header=BB6_394 Depth=4
	v_mov_b32_e32 v38, 0
	s_mov_b32 s37, exec_lo
	v_cmpx_ne_u32_e32 0, v47
	s_cbranch_execz .LBB6_741
; %bb.736:                              ;   in Loop: Header=BB6_394 Depth=4
	v_bfe_u32 v38, v47, 23, 8
	s_delay_alu instid0(VALU_DEP_1) | instskip(SKIP_1) | instid1(VALU_DEP_2)
	v_sub_nc_u32_e32 v45, 0x78, v38
	v_cmp_gt_u32_e32 vcc_lo, 0x79, v38
	v_dual_cndmask_b32 v45, 0, v45 :: v_dual_and_b32 v50, 0x7fffff, v47
	s_delay_alu instid0(VALU_DEP_1) | instskip(SKIP_2) | instid1(VALU_DEP_4)
	v_or_b32_e32 v46, 0x800000, v50
	v_cmp_eq_u32_e32 vcc_lo, 0, v38
	v_add_nc_u32_e32 v38, 0xffffff89, v38
	v_cndmask_b32_e64 v45, v45, 0x77, vcc_lo
	s_delay_alu instid0(VALU_DEP_4) | instskip(NEXT) | instid1(VALU_DEP_3)
	v_cndmask_b32_e32 v50, v46, v50, vcc_lo
	v_cndmask_b32_e64 v38, v38, 0xffffff8a, vcc_lo
	s_delay_alu instid0(VALU_DEP_3) | instskip(NEXT) | instid1(VALU_DEP_3)
	v_lshl_add_u32 v46, 0x100000, v45, -1
	v_lshrrev_b32_e32 v56, v45, v50
	v_lshlrev_b32_e64 v58, v45, 0x80000
	s_delay_alu instid0(VALU_DEP_4) | instskip(NEXT) | instid1(VALU_DEP_4)
	v_add_nc_u32_e32 v45, v45, v38
	v_and_b32_e32 v50, v46, v50
	s_delay_alu instid0(VALU_DEP_4) | instskip(NEXT) | instid1(VALU_DEP_2)
	v_bfe_u32 v57, v56, 20, 1
	v_cmp_eq_u32_e64 s13, v50, v58
	s_delay_alu instid0(VALU_DEP_2) | instskip(NEXT) | instid1(VALU_DEP_1)
	v_add_nc_u32_e32 v46, -1, v57
	v_cndmask_b32_e64 v50, 0, v46, s13
	v_lshrrev_b32_e32 v46, 23, v56
	s_mov_b32 s13, exec_lo
	s_delay_alu instid0(VALU_DEP_2) | instskip(NEXT) | instid1(VALU_DEP_2)
	v_add_nc_u32_e32 v50, v50, v56
	v_xor_b32_e32 v46, 1, v46
	s_delay_alu instid0(VALU_DEP_2) | instskip(NEXT) | instid1(VALU_DEP_1)
	v_and_b32_e32 v38, 0xfffff, v50
	v_add_nc_u32_e32 v50, v38, v56
                                        ; implicit-def: $vgpr38
	s_delay_alu instid0(VALU_DEP_3)
	v_cmpx_ne_u32_e64 v45, v46
	s_xor_b32 s13, exec_lo, s13
; %bb.737:                              ;   in Loop: Header=BB6_394 Depth=4
	s_delay_alu instid0(VALU_DEP_2) | instskip(SKIP_2) | instid1(VALU_DEP_2)
	v_cmp_lt_u32_e32 vcc_lo, 0xffffff, v50
	v_sub_nc_u32_e32 v38, v45, v46
	v_cndmask_b32_e64 v45, 0, 1, vcc_lo
	v_add_co_ci_u32_e32 v38, vcc_lo, 0, v38, vcc_lo
	s_delay_alu instid0(VALU_DEP_2)
	v_lshrrev_b32_e32 v50, v45, v50
; %bb.738:                              ;   in Loop: Header=BB6_394 Depth=4
	s_and_not1_saveexec_b32 s13, s13
; %bb.739:                              ;   in Loop: Header=BB6_394 Depth=4
	s_delay_alu instid0(VALU_DEP_1)
	v_bfe_u32 v38, v50, 23, 1
; %bb.740:                              ;   in Loop: Header=BB6_394 Depth=4
	s_or_b32 exec_lo, exec_lo, s13
	v_lshrrev_b32_e32 v50, 20, v50
	s_delay_alu instid0(VALU_DEP_2) | instskip(SKIP_2) | instid1(VALU_DEP_2)
	v_cmp_gt_i32_e32 vcc_lo, 16, v38
	v_lshrrev_b32_e32 v45, 24, v47
	v_min_i32_e32 v46, 15, v38
	v_dual_cndmask_b32 v50, 7, v50 :: v_dual_and_b32 v45, 0x80, v45
	s_delay_alu instid0(VALU_DEP_2) | instskip(NEXT) | instid1(VALU_DEP_2)
	v_lshlrev_b32_e32 v46, 3, v46
	v_and_b32_e32 v47, 7, v50
	v_or_b32_e32 v38, v38, v50
	s_delay_alu instid0(VALU_DEP_2) | instskip(NEXT) | instid1(VALU_DEP_2)
	v_or3_b32 v50, v46, v45, v47
	v_cmp_ne_u32_e32 vcc_lo, 0, v38
	s_delay_alu instid0(VALU_DEP_2)
	v_cndmask_b32_e32 v38, 0, v50, vcc_lo
.LBB6_741:                              ;   in Loop: Header=BB6_394 Depth=4
	s_or_b32 exec_lo, exec_lo, s37
.LBB6_742:                              ;   in Loop: Header=BB6_394 Depth=4
	s_delay_alu instid0(SALU_CYCLE_1) | instskip(SKIP_2) | instid1(VALU_DEP_1)
	s_or_b32 exec_lo, exec_lo, s36
	v_and_b32_e32 v50, 0xff, v51
	s_and_b32 vcc_lo, exec_lo, s35
	v_cmp_lt_i16_e64 s13, 0x7f, v50
	s_cbranch_vccz .LBB6_752
; %bb.743:                              ;   in Loop: Header=BB6_394 Depth=4
	s_mov_b32 s36, 0
                                        ; implicit-def: $sgpr37
	s_delay_alu instid0(VALU_DEP_1) | instskip(NEXT) | instid1(SALU_CYCLE_1)
	s_and_saveexec_b32 vcc_lo, s13
	s_xor_b32 s13, exec_lo, vcc_lo
	s_cbranch_execnz .LBB6_2440
; %bb.744:                              ;   in Loop: Header=BB6_394 Depth=4
	s_or_saveexec_b32 s13, s13
	v_mov_b32_e32 v45, s37
	s_xor_b32 exec_lo, exec_lo, s13
	s_cbranch_execnz .LBB6_2443
.LBB6_745:                              ;   in Loop: Header=BB6_394 Depth=4
	s_or_b32 exec_lo, exec_lo, s13
	s_and_saveexec_b32 s13, s36
	s_cbranch_execz .LBB6_747
.LBB6_746:                              ;   in Loop: Header=BB6_394 Depth=4
	v_bfe_u32 v56, v51, 3, 4
	v_lshlrev_b32_e32 v57, 24, v51
	s_delay_alu instid0(VALU_DEP_2) | instskip(SKIP_1) | instid1(VALU_DEP_1)
	v_cmp_eq_u32_e32 vcc_lo, 0, v56
	v_and_b32_e32 v45, 7, v51
	v_clz_i32_u32_e32 v46, v45
	s_delay_alu instid0(VALU_DEP_1) | instskip(NEXT) | instid1(VALU_DEP_1)
	v_min_u32_e32 v46, 32, v46
	v_subrev_nc_u32_e32 v47, 28, v46
	v_sub_nc_u32_e32 v46, 29, v46
	s_delay_alu instid0(VALU_DEP_1) | instskip(NEXT) | instid1(VALU_DEP_1)
	v_dual_cndmask_b32 v46, v56, v46 :: v_dual_lshlrev_b32 v47, v47, v51
	v_and_b32_e32 v47, 7, v47
	s_delay_alu instid0(VALU_DEP_2) | instskip(NEXT) | instid1(VALU_DEP_2)
	v_lshl_add_u32 v46, v46, 23, 0x3b800000
	v_cndmask_b32_e32 v45, v45, v47, vcc_lo
	v_and_b32_e32 v47, 0x80000000, v57
	s_delay_alu instid0(VALU_DEP_2) | instskip(NEXT) | instid1(VALU_DEP_1)
	v_lshlrev_b32_e32 v45, 20, v45
	v_or3_b32 v45, v47, v46, v45
.LBB6_747:                              ;   in Loop: Header=BB6_394 Depth=4
	s_or_b32 exec_lo, exec_lo, s13
	v_and_b32_e32 v47, 0xff, v39
	s_mov_b32 s13, 0
	s_mov_b32 s37, exec_lo
                                        ; implicit-def: $sgpr36
	s_delay_alu instid0(VALU_DEP_1)
	v_cmpx_lt_i16_e32 0x7f, v47
	s_xor_b32 s37, exec_lo, s37
	s_cbranch_execnz .LBB6_2444
; %bb.748:                              ;   in Loop: Header=BB6_394 Depth=4
	s_or_saveexec_b32 s37, s37
	v_mov_b32_e32 v46, s36
	s_xor_b32 exec_lo, exec_lo, s37
	s_cbranch_execnz .LBB6_2447
.LBB6_749:                              ;   in Loop: Header=BB6_394 Depth=4
	s_or_b32 exec_lo, exec_lo, s37
	s_and_saveexec_b32 s36, s13
	s_cbranch_execz .LBB6_751
.LBB6_750:                              ;   in Loop: Header=BB6_394 Depth=4
	v_and_b32_e32 v46, 7, v39
	v_bfe_u32 v57, v39, 3, 4
	v_lshlrev_b32_e32 v58, 24, v39
	s_delay_alu instid0(VALU_DEP_3) | instskip(NEXT) | instid1(VALU_DEP_3)
	v_clz_i32_u32_e32 v47, v46
	v_cmp_eq_u32_e32 vcc_lo, 0, v57
	s_delay_alu instid0(VALU_DEP_2) | instskip(NEXT) | instid1(VALU_DEP_1)
	v_min_u32_e32 v47, 32, v47
	v_subrev_nc_u32_e32 v56, 28, v47
	v_sub_nc_u32_e32 v47, 29, v47
	s_delay_alu instid0(VALU_DEP_2) | instskip(NEXT) | instid1(VALU_DEP_1)
	v_lshlrev_b32_e32 v56, v56, v39
	v_dual_cndmask_b32 v47, v57, v47 :: v_dual_and_b32 v56, 7, v56
	s_delay_alu instid0(VALU_DEP_1) | instskip(NEXT) | instid1(VALU_DEP_2)
	v_lshl_add_u32 v47, v47, 23, 0x3b800000
	v_cndmask_b32_e32 v46, v46, v56, vcc_lo
	v_and_b32_e32 v56, 0x80000000, v58
	s_delay_alu instid0(VALU_DEP_2) | instskip(NEXT) | instid1(VALU_DEP_1)
	v_lshlrev_b32_e32 v46, 20, v46
	v_or3_b32 v46, v56, v47, v46
.LBB6_751:                              ;   in Loop: Header=BB6_394 Depth=4
	s_or_b32 exec_lo, exec_lo, s36
	s_delay_alu instid0(VALU_DEP_1) | instskip(SKIP_1) | instid1(VALU_DEP_1)
	v_dual_max_f32 v46, v46, v46 :: v_dual_max_f32 v45, v45, v45
	s_mov_b32 s13, 0
	v_max_f32_e32 v45, v45, v46
	s_branch .LBB6_753
.LBB6_752:                              ;   in Loop: Header=BB6_394 Depth=4
	s_mov_b32 s13, -1
                                        ; implicit-def: $vgpr45
.LBB6_753:                              ;   in Loop: Header=BB6_394 Depth=4
	s_delay_alu instid0(SALU_CYCLE_1)
	s_and_b32 vcc_lo, exec_lo, s13
	s_cbranch_vccz .LBB6_763
; %bb.754:                              ;   in Loop: Header=BB6_394 Depth=4
	s_mov_b32 s13, 0
	s_mov_b32 s37, exec_lo
                                        ; implicit-def: $sgpr36
	v_cmpx_lt_i16_e32 0x7f, v50
	s_xor_b32 s37, exec_lo, s37
	s_cbranch_execnz .LBB6_2448
; %bb.755:                              ;   in Loop: Header=BB6_394 Depth=4
	s_or_saveexec_b32 s37, s37
	v_mov_b32_e32 v45, s36
	s_xor_b32 exec_lo, exec_lo, s37
	s_cbranch_execnz .LBB6_2451
.LBB6_756:                              ;   in Loop: Header=BB6_394 Depth=4
	s_or_b32 exec_lo, exec_lo, s37
	s_and_saveexec_b32 s36, s13
	s_cbranch_execz .LBB6_758
.LBB6_757:                              ;   in Loop: Header=BB6_394 Depth=4
	v_bfe_u32 v47, v51, 3, 4
	v_lshlrev_b32_e32 v56, 24, v51
	s_delay_alu instid0(VALU_DEP_2) | instskip(SKIP_1) | instid1(VALU_DEP_1)
	v_cmp_eq_u32_e32 vcc_lo, 0, v47
	v_and_b32_e32 v50, 7, v51
	v_clz_i32_u32_e32 v45, v50
	s_delay_alu instid0(VALU_DEP_1) | instskip(NEXT) | instid1(VALU_DEP_1)
	v_min_u32_e32 v45, 32, v45
	v_subrev_nc_u32_e32 v46, 28, v45
	v_sub_nc_u32_e32 v45, 29, v45
	s_delay_alu instid0(VALU_DEP_1) | instskip(NEXT) | instid1(VALU_DEP_1)
	v_dual_cndmask_b32 v45, v47, v45 :: v_dual_lshlrev_b32 v46, v46, v51
	v_and_b32_e32 v46, 7, v46
	s_delay_alu instid0(VALU_DEP_2) | instskip(NEXT) | instid1(VALU_DEP_2)
	v_lshl_add_u32 v45, v45, 23, 0x3b800000
	v_cndmask_b32_e32 v50, v50, v46, vcc_lo
	v_and_b32_e32 v46, 0x80000000, v56
	s_delay_alu instid0(VALU_DEP_2) | instskip(NEXT) | instid1(VALU_DEP_1)
	v_lshlrev_b32_e32 v50, 20, v50
	v_or3_b32 v45, v46, v45, v50
.LBB6_758:                              ;   in Loop: Header=BB6_394 Depth=4
	s_or_b32 exec_lo, exec_lo, s36
	v_and_b32_e32 v46, 0xff, v39
	s_mov_b32 s13, 0
	s_mov_b32 s37, exec_lo
                                        ; implicit-def: $sgpr36
	s_delay_alu instid0(VALU_DEP_1)
	v_cmpx_lt_i16_e32 0x7f, v46
	s_xor_b32 s37, exec_lo, s37
	s_cbranch_execnz .LBB6_2452
; %bb.759:                              ;   in Loop: Header=BB6_394 Depth=4
	s_or_saveexec_b32 s37, s37
	v_mov_b32_e32 v50, s36
	s_xor_b32 exec_lo, exec_lo, s37
	s_cbranch_execnz .LBB6_2455
.LBB6_760:                              ;   in Loop: Header=BB6_394 Depth=4
	s_or_b32 exec_lo, exec_lo, s37
	s_and_saveexec_b32 s36, s13
	s_cbranch_execz .LBB6_762
.LBB6_761:                              ;   in Loop: Header=BB6_394 Depth=4
	v_and_b32_e32 v50, 7, v39
	v_bfe_u32 v56, v39, 3, 4
	v_lshlrev_b32_e32 v57, 24, v39
	s_delay_alu instid0(VALU_DEP_3) | instskip(NEXT) | instid1(VALU_DEP_3)
	v_clz_i32_u32_e32 v46, v50
	v_cmp_eq_u32_e32 vcc_lo, 0, v56
	s_delay_alu instid0(VALU_DEP_2) | instskip(NEXT) | instid1(VALU_DEP_1)
	v_min_u32_e32 v46, 32, v46
	v_subrev_nc_u32_e32 v47, 28, v46
	v_sub_nc_u32_e32 v46, 29, v46
	s_delay_alu instid0(VALU_DEP_1) | instskip(NEXT) | instid1(VALU_DEP_1)
	v_dual_cndmask_b32 v46, v56, v46 :: v_dual_lshlrev_b32 v47, v47, v39
	v_and_b32_e32 v47, 7, v47
	s_delay_alu instid0(VALU_DEP_2) | instskip(NEXT) | instid1(VALU_DEP_2)
	v_lshl_add_u32 v46, v46, 23, 0x3b800000
	v_dual_cndmask_b32 v50, v50, v47 :: v_dual_and_b32 v47, 0x80000000, v57
	s_delay_alu instid0(VALU_DEP_1) | instskip(NEXT) | instid1(VALU_DEP_1)
	v_lshlrev_b32_e32 v50, 20, v50
	v_or3_b32 v50, v47, v46, v50
.LBB6_762:                              ;   in Loop: Header=BB6_394 Depth=4
	s_or_b32 exec_lo, exec_lo, s36
	s_delay_alu instid0(VALU_DEP_1) | instskip(NEXT) | instid1(VALU_DEP_1)
	v_dual_max_f32 v50, v50, v50 :: v_dual_max_f32 v45, v45, v45
	v_min_f32_e32 v45, v45, v50
.LBB6_763:                              ;   in Loop: Header=BB6_394 Depth=4
	s_delay_alu instid0(VALU_DEP_1) | instskip(NEXT) | instid1(VALU_DEP_1)
	v_and_b32_e32 v50, 0x7f800000, v45
	v_cmp_ne_u32_e32 vcc_lo, 0x7f800000, v50
	v_mov_b32_e32 v50, 0x80
	s_and_saveexec_b32 s36, vcc_lo
	s_cbranch_execz .LBB6_771
; %bb.764:                              ;   in Loop: Header=BB6_394 Depth=4
	v_mov_b32_e32 v50, 0
	s_mov_b32 s37, exec_lo
	v_cmpx_ne_u32_e32 0, v45
	s_cbranch_execz .LBB6_770
; %bb.765:                              ;   in Loop: Header=BB6_394 Depth=4
	v_bfe_u32 v50, v45, 23, 8
	s_delay_alu instid0(VALU_DEP_1) | instskip(SKIP_1) | instid1(VALU_DEP_2)
	v_sub_nc_u32_e32 v47, 0x78, v50
	v_cmp_gt_u32_e32 vcc_lo, 0x79, v50
	v_dual_cndmask_b32 v47, 0, v47 :: v_dual_and_b32 v46, 0x7fffff, v45
	s_delay_alu instid0(VALU_DEP_1) | instskip(SKIP_2) | instid1(VALU_DEP_4)
	v_or_b32_e32 v56, 0x800000, v46
	v_cmp_eq_u32_e32 vcc_lo, 0, v50
	v_add_nc_u32_e32 v50, 0xffffff89, v50
	v_cndmask_b32_e64 v47, v47, 0x77, vcc_lo
	s_delay_alu instid0(VALU_DEP_4) | instskip(NEXT) | instid1(VALU_DEP_3)
	v_cndmask_b32_e32 v46, v56, v46, vcc_lo
	v_cndmask_b32_e64 v50, v50, 0xffffff8a, vcc_lo
	s_delay_alu instid0(VALU_DEP_3) | instskip(NEXT) | instid1(VALU_DEP_3)
	v_lshl_add_u32 v56, 0x100000, v47, -1
	v_lshrrev_b32_e32 v57, v47, v46
	v_lshlrev_b32_e64 v59, v47, 0x80000
	s_delay_alu instid0(VALU_DEP_4) | instskip(NEXT) | instid1(VALU_DEP_4)
	v_add_nc_u32_e32 v47, v47, v50
	v_and_b32_e32 v46, v56, v46
	s_delay_alu instid0(VALU_DEP_4) | instskip(NEXT) | instid1(VALU_DEP_2)
	v_bfe_u32 v58, v57, 20, 1
	v_cmp_eq_u32_e64 s13, v46, v59
	s_delay_alu instid0(VALU_DEP_2) | instskip(NEXT) | instid1(VALU_DEP_1)
	v_add_nc_u32_e32 v56, -1, v58
	v_cndmask_b32_e64 v46, 0, v56, s13
	v_lshrrev_b32_e32 v56, 23, v57
	s_mov_b32 s13, exec_lo
	s_delay_alu instid0(VALU_DEP_2) | instskip(NEXT) | instid1(VALU_DEP_2)
	v_add_nc_u32_e32 v46, v46, v57
	v_xor_b32_e32 v56, 1, v56
	s_delay_alu instid0(VALU_DEP_2) | instskip(NEXT) | instid1(VALU_DEP_1)
	v_and_b32_e32 v50, 0xfffff, v46
	v_add_nc_u32_e32 v46, v50, v57
                                        ; implicit-def: $vgpr50
	s_delay_alu instid0(VALU_DEP_3)
	v_cmpx_ne_u32_e64 v47, v56
	s_xor_b32 s13, exec_lo, s13
; %bb.766:                              ;   in Loop: Header=BB6_394 Depth=4
	s_delay_alu instid0(VALU_DEP_2) | instskip(SKIP_2) | instid1(VALU_DEP_2)
	v_cmp_lt_u32_e32 vcc_lo, 0xffffff, v46
	v_sub_nc_u32_e32 v50, v47, v56
	v_cndmask_b32_e64 v47, 0, 1, vcc_lo
	v_add_co_ci_u32_e32 v50, vcc_lo, 0, v50, vcc_lo
	s_delay_alu instid0(VALU_DEP_2)
	v_lshrrev_b32_e32 v46, v47, v46
; %bb.767:                              ;   in Loop: Header=BB6_394 Depth=4
	s_and_not1_saveexec_b32 s13, s13
; %bb.768:                              ;   in Loop: Header=BB6_394 Depth=4
	s_delay_alu instid0(VALU_DEP_1)
	v_bfe_u32 v50, v46, 23, 1
; %bb.769:                              ;   in Loop: Header=BB6_394 Depth=4
	s_or_b32 exec_lo, exec_lo, s13
	v_lshrrev_b32_e32 v46, 20, v46
	s_delay_alu instid0(VALU_DEP_2) | instskip(SKIP_2) | instid1(VALU_DEP_2)
	v_cmp_gt_i32_e32 vcc_lo, 16, v50
	v_lshrrev_b32_e32 v45, 24, v45
	v_min_i32_e32 v47, 15, v50
	v_dual_cndmask_b32 v46, 7, v46 :: v_dual_and_b32 v45, 0x80, v45
	s_delay_alu instid0(VALU_DEP_1) | instskip(SKIP_1) | instid1(VALU_DEP_2)
	v_or_b32_e32 v50, v50, v46
	v_and_b32_e32 v56, 7, v46
	v_cmp_ne_u32_e32 vcc_lo, 0, v50
	v_lshlrev_b32_e32 v47, 3, v47
	s_delay_alu instid0(VALU_DEP_1) | instskip(NEXT) | instid1(VALU_DEP_1)
	v_or3_b32 v45, v47, v45, v56
	v_cndmask_b32_e32 v50, 0, v45, vcc_lo
.LBB6_770:                              ;   in Loop: Header=BB6_394 Depth=4
	s_or_b32 exec_lo, exec_lo, s37
.LBB6_771:                              ;   in Loop: Header=BB6_394 Depth=4
	s_delay_alu instid0(SALU_CYCLE_1) | instskip(SKIP_3) | instid1(VALU_DEP_2)
	s_or_b32 exec_lo, exec_lo, s36
	v_lshrrev_b16 v46, 8, v51
	v_lshrrev_b16 v45, 8, v39
	s_and_b32 vcc_lo, exec_lo, s35
	v_cmp_lt_i16_e64 s13, 0x7f, v46
	s_cbranch_vccz .LBB6_781
; %bb.772:                              ;   in Loop: Header=BB6_394 Depth=4
	s_mov_b32 s36, 0
                                        ; implicit-def: $sgpr37
	s_delay_alu instid0(VALU_DEP_1) | instskip(NEXT) | instid1(SALU_CYCLE_1)
	s_and_saveexec_b32 vcc_lo, s13
	s_xor_b32 s13, exec_lo, vcc_lo
	s_cbranch_execnz .LBB6_2456
; %bb.773:                              ;   in Loop: Header=BB6_394 Depth=4
	s_or_saveexec_b32 s13, s13
	v_mov_b32_e32 v47, s37
	s_xor_b32 exec_lo, exec_lo, s13
	s_cbranch_execnz .LBB6_2459
.LBB6_774:                              ;   in Loop: Header=BB6_394 Depth=4
	s_or_b32 exec_lo, exec_lo, s13
	s_and_saveexec_b32 s13, s36
	s_cbranch_execz .LBB6_776
.LBB6_775:                              ;   in Loop: Header=BB6_394 Depth=4
	v_and_b32_e32 v47, 0xffff, v46
	s_delay_alu instid0(VALU_DEP_1) | instskip(NEXT) | instid1(VALU_DEP_1)
	v_and_b32_e32 v56, 7, v47
	v_clz_i32_u32_e32 v57, v56
	s_delay_alu instid0(VALU_DEP_1) | instskip(NEXT) | instid1(VALU_DEP_1)
	v_min_u32_e32 v57, 32, v57
	v_subrev_nc_u32_e32 v58, 28, v57
	v_sub_nc_u32_e32 v57, 29, v57
	s_delay_alu instid0(VALU_DEP_2) | instskip(SKIP_1) | instid1(VALU_DEP_2)
	v_lshlrev_b32_e32 v58, v58, v47
	v_bfe_u32 v47, v47, 3, 4
	v_and_b32_e32 v58, 7, v58
	s_delay_alu instid0(VALU_DEP_2) | instskip(SKIP_1) | instid1(VALU_DEP_3)
	v_cmp_eq_u32_e32 vcc_lo, 0, v47
	v_cndmask_b32_e32 v47, v47, v57, vcc_lo
	v_dual_cndmask_b32 v56, v56, v58 :: v_dual_lshlrev_b32 v59, 16, v51
	s_delay_alu instid0(VALU_DEP_2) | instskip(NEXT) | instid1(VALU_DEP_2)
	v_lshl_add_u32 v47, v47, 23, 0x3b800000
	v_and_b32_e32 v57, 0x80000000, v59
	s_delay_alu instid0(VALU_DEP_3) | instskip(NEXT) | instid1(VALU_DEP_1)
	v_lshlrev_b32_e32 v56, 20, v56
	v_or3_b32 v47, v57, v47, v56
.LBB6_776:                              ;   in Loop: Header=BB6_394 Depth=4
	s_or_b32 exec_lo, exec_lo, s13
	s_mov_b32 s13, 0
	s_mov_b32 s37, exec_lo
                                        ; implicit-def: $sgpr36
	v_cmpx_lt_i16_e32 0x7f, v45
	s_xor_b32 s37, exec_lo, s37
	s_cbranch_execnz .LBB6_2460
; %bb.777:                              ;   in Loop: Header=BB6_394 Depth=4
	s_or_saveexec_b32 s37, s37
	v_mov_b32_e32 v56, s36
	s_xor_b32 exec_lo, exec_lo, s37
	s_cbranch_execnz .LBB6_2463
.LBB6_778:                              ;   in Loop: Header=BB6_394 Depth=4
	s_or_b32 exec_lo, exec_lo, s37
	s_and_saveexec_b32 s36, s13
	s_cbranch_execz .LBB6_780
.LBB6_779:                              ;   in Loop: Header=BB6_394 Depth=4
	v_and_b32_e32 v56, 0xffff, v45
	v_lshlrev_b32_e32 v60, 16, v39
	s_delay_alu instid0(VALU_DEP_2) | instskip(NEXT) | instid1(VALU_DEP_1)
	v_and_b32_e32 v57, 7, v56
	v_clz_i32_u32_e32 v58, v57
	s_delay_alu instid0(VALU_DEP_1) | instskip(NEXT) | instid1(VALU_DEP_1)
	v_min_u32_e32 v58, 32, v58
	v_subrev_nc_u32_e32 v59, 28, v58
	v_sub_nc_u32_e32 v58, 29, v58
	s_delay_alu instid0(VALU_DEP_2) | instskip(SKIP_1) | instid1(VALU_DEP_2)
	v_lshlrev_b32_e32 v59, v59, v56
	v_bfe_u32 v56, v56, 3, 4
	v_and_b32_e32 v59, 7, v59
	s_delay_alu instid0(VALU_DEP_2) | instskip(NEXT) | instid1(VALU_DEP_2)
	v_cmp_eq_u32_e32 vcc_lo, 0, v56
	v_dual_cndmask_b32 v56, v56, v58 :: v_dual_cndmask_b32 v57, v57, v59
	v_and_b32_e32 v58, 0x80000000, v60
	s_delay_alu instid0(VALU_DEP_2) | instskip(NEXT) | instid1(VALU_DEP_3)
	v_lshl_add_u32 v56, v56, 23, 0x3b800000
	v_lshlrev_b32_e32 v57, 20, v57
	s_delay_alu instid0(VALU_DEP_1)
	v_or3_b32 v56, v58, v56, v57
.LBB6_780:                              ;   in Loop: Header=BB6_394 Depth=4
	s_or_b32 exec_lo, exec_lo, s36
	s_delay_alu instid0(VALU_DEP_1) | instskip(SKIP_1) | instid1(VALU_DEP_1)
	v_dual_max_f32 v56, v56, v56 :: v_dual_max_f32 v47, v47, v47
	s_mov_b32 s13, 0
	v_max_f32_e32 v47, v47, v56
	s_branch .LBB6_782
.LBB6_781:                              ;   in Loop: Header=BB6_394 Depth=4
	s_mov_b32 s13, -1
                                        ; implicit-def: $vgpr47
.LBB6_782:                              ;   in Loop: Header=BB6_394 Depth=4
	s_delay_alu instid0(SALU_CYCLE_1)
	s_and_b32 vcc_lo, exec_lo, s13
	s_cbranch_vccz .LBB6_792
; %bb.783:                              ;   in Loop: Header=BB6_394 Depth=4
	s_mov_b32 s13, 0
	s_mov_b32 s37, exec_lo
                                        ; implicit-def: $sgpr36
	v_cmpx_lt_i16_e32 0x7f, v46
	s_xor_b32 s37, exec_lo, s37
	s_cbranch_execnz .LBB6_2464
; %bb.784:                              ;   in Loop: Header=BB6_394 Depth=4
	s_or_saveexec_b32 s37, s37
	v_mov_b32_e32 v47, s36
	s_xor_b32 exec_lo, exec_lo, s37
	s_cbranch_execnz .LBB6_2467
.LBB6_785:                              ;   in Loop: Header=BB6_394 Depth=4
	s_or_b32 exec_lo, exec_lo, s37
	s_and_saveexec_b32 s36, s13
	s_cbranch_execz .LBB6_787
.LBB6_786:                              ;   in Loop: Header=BB6_394 Depth=4
	v_and_b32_e32 v46, 0xffff, v46
	v_lshlrev_b32_e32 v58, 16, v51
	s_delay_alu instid0(VALU_DEP_2) | instskip(NEXT) | instid1(VALU_DEP_1)
	v_and_b32_e32 v47, 7, v46
	v_clz_i32_u32_e32 v56, v47
	s_delay_alu instid0(VALU_DEP_1) | instskip(NEXT) | instid1(VALU_DEP_1)
	v_min_u32_e32 v56, 32, v56
	v_subrev_nc_u32_e32 v57, 28, v56
	v_sub_nc_u32_e32 v56, 29, v56
	s_delay_alu instid0(VALU_DEP_2) | instskip(SKIP_1) | instid1(VALU_DEP_2)
	v_lshlrev_b32_e32 v57, v57, v46
	v_bfe_u32 v46, v46, 3, 4
	v_and_b32_e32 v57, 7, v57
	s_delay_alu instid0(VALU_DEP_2) | instskip(NEXT) | instid1(VALU_DEP_2)
	v_cmp_eq_u32_e32 vcc_lo, 0, v46
	v_dual_cndmask_b32 v46, v46, v56 :: v_dual_cndmask_b32 v47, v47, v57
	v_and_b32_e32 v56, 0x80000000, v58
	s_delay_alu instid0(VALU_DEP_2) | instskip(NEXT) | instid1(VALU_DEP_3)
	v_lshl_add_u32 v46, v46, 23, 0x3b800000
	v_lshlrev_b32_e32 v47, 20, v47
	s_delay_alu instid0(VALU_DEP_1)
	v_or3_b32 v47, v56, v46, v47
.LBB6_787:                              ;   in Loop: Header=BB6_394 Depth=4
	s_or_b32 exec_lo, exec_lo, s36
	s_mov_b32 s13, 0
	s_mov_b32 s37, exec_lo
                                        ; implicit-def: $sgpr36
	v_cmpx_lt_i16_e32 0x7f, v45
	s_xor_b32 s37, exec_lo, s37
	s_cbranch_execnz .LBB6_2468
; %bb.788:                              ;   in Loop: Header=BB6_394 Depth=4
	s_or_saveexec_b32 s37, s37
	v_mov_b32_e32 v46, s36
	s_xor_b32 exec_lo, exec_lo, s37
	s_cbranch_execnz .LBB6_2471
.LBB6_789:                              ;   in Loop: Header=BB6_394 Depth=4
	s_or_b32 exec_lo, exec_lo, s37
	s_and_saveexec_b32 s36, s13
	s_cbranch_execz .LBB6_791
.LBB6_790:                              ;   in Loop: Header=BB6_394 Depth=4
	v_and_b32_e32 v45, 0xffff, v45
	v_lshlrev_b32_e32 v58, 16, v39
	s_delay_alu instid0(VALU_DEP_2) | instskip(NEXT) | instid1(VALU_DEP_1)
	v_and_b32_e32 v46, 7, v45
	v_clz_i32_u32_e32 v56, v46
	s_delay_alu instid0(VALU_DEP_1) | instskip(NEXT) | instid1(VALU_DEP_1)
	v_min_u32_e32 v56, 32, v56
	v_subrev_nc_u32_e32 v57, 28, v56
	v_sub_nc_u32_e32 v56, 29, v56
	s_delay_alu instid0(VALU_DEP_2) | instskip(SKIP_1) | instid1(VALU_DEP_2)
	v_lshlrev_b32_e32 v57, v57, v45
	v_bfe_u32 v45, v45, 3, 4
	v_and_b32_e32 v57, 7, v57
	s_delay_alu instid0(VALU_DEP_2) | instskip(NEXT) | instid1(VALU_DEP_2)
	v_cmp_eq_u32_e32 vcc_lo, 0, v45
	v_dual_cndmask_b32 v45, v45, v56 :: v_dual_cndmask_b32 v46, v46, v57
	v_and_b32_e32 v56, 0x80000000, v58
	s_delay_alu instid0(VALU_DEP_2) | instskip(NEXT) | instid1(VALU_DEP_3)
	v_lshl_add_u32 v45, v45, 23, 0x3b800000
	v_lshlrev_b32_e32 v46, 20, v46
	s_delay_alu instid0(VALU_DEP_1)
	v_or3_b32 v46, v56, v45, v46
.LBB6_791:                              ;   in Loop: Header=BB6_394 Depth=4
	s_or_b32 exec_lo, exec_lo, s36
	s_delay_alu instid0(VALU_DEP_1) | instskip(NEXT) | instid1(VALU_DEP_1)
	v_dual_max_f32 v45, v46, v46 :: v_dual_max_f32 v46, v47, v47
	v_min_f32_e32 v47, v46, v45
.LBB6_792:                              ;   in Loop: Header=BB6_394 Depth=4
	s_delay_alu instid0(VALU_DEP_1) | instskip(NEXT) | instid1(VALU_DEP_1)
	v_and_b32_e32 v45, 0x7f800000, v47
	v_cmp_ne_u32_e32 vcc_lo, 0x7f800000, v45
	v_mov_b32_e32 v45, 0x80
	s_and_saveexec_b32 s36, vcc_lo
	s_cbranch_execz .LBB6_800
; %bb.793:                              ;   in Loop: Header=BB6_394 Depth=4
	v_mov_b32_e32 v45, 0
	s_mov_b32 s37, exec_lo
	v_cmpx_ne_u32_e32 0, v47
	s_cbranch_execz .LBB6_799
; %bb.794:                              ;   in Loop: Header=BB6_394 Depth=4
	v_bfe_u32 v45, v47, 23, 8
	v_and_b32_e32 v46, 0x7fffff, v47
	s_delay_alu instid0(VALU_DEP_2) | instskip(SKIP_1) | instid1(VALU_DEP_3)
	v_sub_nc_u32_e32 v56, 0x78, v45
	v_cmp_gt_u32_e32 vcc_lo, 0x79, v45
	v_or_b32_e32 v57, 0x800000, v46
	s_delay_alu instid0(VALU_DEP_3) | instskip(SKIP_2) | instid1(VALU_DEP_3)
	v_cndmask_b32_e32 v56, 0, v56, vcc_lo
	v_cmp_eq_u32_e32 vcc_lo, 0, v45
	v_add_nc_u32_e32 v45, 0xffffff89, v45
	v_cndmask_b32_e64 v56, v56, 0x77, vcc_lo
	v_cndmask_b32_e32 v46, v57, v46, vcc_lo
	s_delay_alu instid0(VALU_DEP_3) | instskip(NEXT) | instid1(VALU_DEP_3)
	v_cndmask_b32_e64 v45, v45, 0xffffff8a, vcc_lo
	v_lshl_add_u32 v57, 0x100000, v56, -1
	s_delay_alu instid0(VALU_DEP_3) | instskip(SKIP_1) | instid1(VALU_DEP_4)
	v_lshrrev_b32_e32 v58, v56, v46
	v_lshlrev_b32_e64 v60, v56, 0x80000
	v_add_nc_u32_e32 v56, v56, v45
	s_delay_alu instid0(VALU_DEP_4) | instskip(NEXT) | instid1(VALU_DEP_4)
	v_and_b32_e32 v46, v57, v46
	v_bfe_u32 v59, v58, 20, 1
	s_delay_alu instid0(VALU_DEP_2) | instskip(NEXT) | instid1(VALU_DEP_2)
	v_cmp_eq_u32_e64 s13, v46, v60
	v_add_nc_u32_e32 v57, -1, v59
	s_delay_alu instid0(VALU_DEP_1) | instskip(SKIP_2) | instid1(VALU_DEP_2)
	v_cndmask_b32_e64 v46, 0, v57, s13
	v_lshrrev_b32_e32 v57, 23, v58
	s_mov_b32 s13, exec_lo
	v_add_nc_u32_e32 v46, v46, v58
	s_delay_alu instid0(VALU_DEP_2) | instskip(NEXT) | instid1(VALU_DEP_2)
	v_xor_b32_e32 v57, 1, v57
	v_and_b32_e32 v45, 0xfffff, v46
	s_delay_alu instid0(VALU_DEP_1) | instskip(NEXT) | instid1(VALU_DEP_3)
	v_add_nc_u32_e32 v46, v45, v58
                                        ; implicit-def: $vgpr45
	v_cmpx_ne_u32_e64 v56, v57
	s_xor_b32 s13, exec_lo, s13
; %bb.795:                              ;   in Loop: Header=BB6_394 Depth=4
	s_delay_alu instid0(VALU_DEP_2) | instskip(SKIP_2) | instid1(VALU_DEP_2)
	v_cmp_lt_u32_e32 vcc_lo, 0xffffff, v46
	v_sub_nc_u32_e32 v45, v56, v57
	v_cndmask_b32_e64 v56, 0, 1, vcc_lo
	v_add_co_ci_u32_e32 v45, vcc_lo, 0, v45, vcc_lo
	s_delay_alu instid0(VALU_DEP_2)
	v_lshrrev_b32_e32 v46, v56, v46
; %bb.796:                              ;   in Loop: Header=BB6_394 Depth=4
	s_and_not1_saveexec_b32 s13, s13
; %bb.797:                              ;   in Loop: Header=BB6_394 Depth=4
	s_delay_alu instid0(VALU_DEP_1)
	v_bfe_u32 v45, v46, 23, 1
; %bb.798:                              ;   in Loop: Header=BB6_394 Depth=4
	s_or_b32 exec_lo, exec_lo, s13
	v_lshrrev_b32_e32 v46, 20, v46
	s_delay_alu instid0(VALU_DEP_2) | instskip(SKIP_2) | instid1(VALU_DEP_2)
	v_cmp_gt_i32_e32 vcc_lo, 16, v45
	v_lshrrev_b32_e32 v47, 24, v47
	v_min_i32_e32 v56, 15, v45
	v_dual_cndmask_b32 v46, 7, v46 :: v_dual_and_b32 v47, 0x80, v47
	s_delay_alu instid0(VALU_DEP_1) | instskip(SKIP_1) | instid1(VALU_DEP_2)
	v_or_b32_e32 v45, v45, v46
	v_and_b32_e32 v57, 7, v46
	v_cmp_ne_u32_e32 vcc_lo, 0, v45
	v_lshlrev_b32_e32 v56, 3, v56
	s_delay_alu instid0(VALU_DEP_1) | instskip(NEXT) | instid1(VALU_DEP_1)
	v_or3_b32 v46, v56, v47, v57
	v_cndmask_b32_e32 v45, 0, v46, vcc_lo
.LBB6_799:                              ;   in Loop: Header=BB6_394 Depth=4
	s_or_b32 exec_lo, exec_lo, s37
.LBB6_800:                              ;   in Loop: Header=BB6_394 Depth=4
	s_delay_alu instid0(SALU_CYCLE_1) | instskip(SKIP_3) | instid1(VALU_DEP_2)
	s_or_b32 exec_lo, exec_lo, s36
	v_lshrrev_b32_e32 v47, 16, v51
	v_lshrrev_b32_e32 v46, 16, v39
	s_and_b32 vcc_lo, exec_lo, s35
	v_and_b32_e32 v56, 0xff, v47
	s_delay_alu instid0(VALU_DEP_1)
	v_cmp_lt_i16_e64 s13, 0x7f, v56
	s_cbranch_vccz .LBB6_810
; %bb.801:                              ;   in Loop: Header=BB6_394 Depth=4
	s_mov_b32 s36, 0
                                        ; implicit-def: $sgpr37
	s_delay_alu instid0(VALU_DEP_1) | instskip(NEXT) | instid1(SALU_CYCLE_1)
	s_and_saveexec_b32 vcc_lo, s13
	s_xor_b32 s13, exec_lo, vcc_lo
	s_cbranch_execnz .LBB6_2472
; %bb.802:                              ;   in Loop: Header=BB6_394 Depth=4
	s_or_saveexec_b32 s13, s13
	v_mov_b32_e32 v57, s37
	s_xor_b32 exec_lo, exec_lo, s13
	s_cbranch_execnz .LBB6_2475
.LBB6_803:                              ;   in Loop: Header=BB6_394 Depth=4
	s_or_b32 exec_lo, exec_lo, s13
	s_and_saveexec_b32 s13, s36
	s_cbranch_execz .LBB6_805
.LBB6_804:                              ;   in Loop: Header=BB6_394 Depth=4
	v_bfe_u32 v57, v51, 16, 3
	v_bfe_u32 v60, v51, 19, 4
	v_lshlrev_b32_e32 v61, 24, v47
	s_delay_alu instid0(VALU_DEP_3) | instskip(NEXT) | instid1(VALU_DEP_3)
	v_clz_i32_u32_e32 v58, v57
	v_cmp_eq_u32_e32 vcc_lo, 0, v60
	s_delay_alu instid0(VALU_DEP_2) | instskip(NEXT) | instid1(VALU_DEP_1)
	v_min_u32_e32 v58, 32, v58
	v_subrev_nc_u32_e32 v59, 28, v58
	v_sub_nc_u32_e32 v58, 29, v58
	s_delay_alu instid0(VALU_DEP_1) | instskip(NEXT) | instid1(VALU_DEP_1)
	v_dual_cndmask_b32 v58, v60, v58 :: v_dual_lshlrev_b32 v59, v59, v47
	v_and_b32_e32 v59, 7, v59
	s_delay_alu instid0(VALU_DEP_2) | instskip(NEXT) | instid1(VALU_DEP_2)
	v_lshl_add_u32 v58, v58, 23, 0x3b800000
	v_cndmask_b32_e32 v57, v57, v59, vcc_lo
	v_and_b32_e32 v59, 0x80000000, v61
	s_delay_alu instid0(VALU_DEP_2) | instskip(NEXT) | instid1(VALU_DEP_1)
	v_lshlrev_b32_e32 v57, 20, v57
	v_or3_b32 v57, v59, v58, v57
.LBB6_805:                              ;   in Loop: Header=BB6_394 Depth=4
	s_or_b32 exec_lo, exec_lo, s13
	v_and_b32_e32 v59, 0xff, v46
	s_mov_b32 s13, 0
	s_mov_b32 s37, exec_lo
                                        ; implicit-def: $sgpr36
	s_delay_alu instid0(VALU_DEP_1)
	v_cmpx_lt_i16_e32 0x7f, v59
	s_xor_b32 s37, exec_lo, s37
	s_cbranch_execnz .LBB6_2476
; %bb.806:                              ;   in Loop: Header=BB6_394 Depth=4
	s_or_saveexec_b32 s37, s37
	v_mov_b32_e32 v58, s36
	s_xor_b32 exec_lo, exec_lo, s37
	s_cbranch_execnz .LBB6_2479
.LBB6_807:                              ;   in Loop: Header=BB6_394 Depth=4
	s_or_b32 exec_lo, exec_lo, s37
	s_and_saveexec_b32 s36, s13
	s_cbranch_execz .LBB6_809
.LBB6_808:                              ;   in Loop: Header=BB6_394 Depth=4
	v_bfe_u32 v58, v39, 16, 3
	v_bfe_u32 v61, v39, 19, 4
	v_lshlrev_b32_e32 v62, 24, v46
	s_delay_alu instid0(VALU_DEP_3) | instskip(NEXT) | instid1(VALU_DEP_3)
	v_clz_i32_u32_e32 v59, v58
	v_cmp_eq_u32_e32 vcc_lo, 0, v61
	s_delay_alu instid0(VALU_DEP_2) | instskip(NEXT) | instid1(VALU_DEP_1)
	v_min_u32_e32 v59, 32, v59
	v_subrev_nc_u32_e32 v60, 28, v59
	v_sub_nc_u32_e32 v59, 29, v59
	s_delay_alu instid0(VALU_DEP_1) | instskip(NEXT) | instid1(VALU_DEP_1)
	v_dual_cndmask_b32 v59, v61, v59 :: v_dual_lshlrev_b32 v60, v60, v46
	v_and_b32_e32 v60, 7, v60
	s_delay_alu instid0(VALU_DEP_2) | instskip(NEXT) | instid1(VALU_DEP_2)
	v_lshl_add_u32 v59, v59, 23, 0x3b800000
	v_cndmask_b32_e32 v58, v58, v60, vcc_lo
	v_and_b32_e32 v60, 0x80000000, v62
	s_delay_alu instid0(VALU_DEP_2) | instskip(NEXT) | instid1(VALU_DEP_1)
	v_lshlrev_b32_e32 v58, 20, v58
	v_or3_b32 v58, v60, v59, v58
.LBB6_809:                              ;   in Loop: Header=BB6_394 Depth=4
	s_or_b32 exec_lo, exec_lo, s36
	s_delay_alu instid0(VALU_DEP_1) | instskip(SKIP_1) | instid1(VALU_DEP_1)
	v_dual_max_f32 v58, v58, v58 :: v_dual_max_f32 v57, v57, v57
	s_mov_b32 s13, 0
	v_max_f32_e32 v57, v57, v58
	s_branch .LBB6_811
.LBB6_810:                              ;   in Loop: Header=BB6_394 Depth=4
	s_mov_b32 s13, -1
                                        ; implicit-def: $vgpr57
.LBB6_811:                              ;   in Loop: Header=BB6_394 Depth=4
	s_delay_alu instid0(SALU_CYCLE_1)
	s_and_b32 vcc_lo, exec_lo, s13
	s_cbranch_vccz .LBB6_821
; %bb.812:                              ;   in Loop: Header=BB6_394 Depth=4
	s_mov_b32 s13, 0
	s_mov_b32 s37, exec_lo
                                        ; implicit-def: $sgpr36
	v_cmpx_lt_i16_e32 0x7f, v56
	s_xor_b32 s37, exec_lo, s37
	s_cbranch_execnz .LBB6_2480
; %bb.813:                              ;   in Loop: Header=BB6_394 Depth=4
	s_or_saveexec_b32 s37, s37
	v_mov_b32_e32 v57, s36
	s_xor_b32 exec_lo, exec_lo, s37
	s_cbranch_execnz .LBB6_2483
.LBB6_814:                              ;   in Loop: Header=BB6_394 Depth=4
	s_or_b32 exec_lo, exec_lo, s37
	s_and_saveexec_b32 s36, s13
	s_cbranch_execz .LBB6_816
.LBB6_815:                              ;   in Loop: Header=BB6_394 Depth=4
	v_bfe_u32 v56, v51, 16, 3
	v_bfe_u32 v59, v51, 19, 4
	s_delay_alu instid0(VALU_DEP_2) | instskip(NEXT) | instid1(VALU_DEP_2)
	v_clz_i32_u32_e32 v57, v56
	v_cmp_eq_u32_e32 vcc_lo, 0, v59
	s_delay_alu instid0(VALU_DEP_2) | instskip(NEXT) | instid1(VALU_DEP_1)
	v_min_u32_e32 v57, 32, v57
	v_subrev_nc_u32_e32 v58, 28, v57
	v_sub_nc_u32_e32 v57, 29, v57
	s_delay_alu instid0(VALU_DEP_1) | instskip(NEXT) | instid1(VALU_DEP_1)
	v_dual_cndmask_b32 v57, v59, v57 :: v_dual_lshlrev_b32 v58, v58, v47
	v_and_b32_e32 v58, 7, v58
	v_lshlrev_b32_e32 v47, 24, v47
	s_delay_alu instid0(VALU_DEP_3) | instskip(NEXT) | instid1(VALU_DEP_2)
	v_lshl_add_u32 v57, v57, 23, 0x3b800000
	v_dual_cndmask_b32 v56, v56, v58 :: v_dual_and_b32 v47, 0x80000000, v47
	s_delay_alu instid0(VALU_DEP_1) | instskip(NEXT) | instid1(VALU_DEP_1)
	v_lshlrev_b32_e32 v56, 20, v56
	v_or3_b32 v57, v47, v57, v56
.LBB6_816:                              ;   in Loop: Header=BB6_394 Depth=4
	s_or_b32 exec_lo, exec_lo, s36
	v_and_b32_e32 v56, 0xff, v46
	s_mov_b32 s13, 0
	s_mov_b32 s37, exec_lo
                                        ; implicit-def: $sgpr36
	s_delay_alu instid0(VALU_DEP_1)
	v_cmpx_lt_i16_e32 0x7f, v56
	s_xor_b32 s37, exec_lo, s37
	s_cbranch_execnz .LBB6_2484
; %bb.817:                              ;   in Loop: Header=BB6_394 Depth=4
	s_or_saveexec_b32 s37, s37
	v_mov_b32_e32 v47, s36
	s_xor_b32 exec_lo, exec_lo, s37
	s_cbranch_execnz .LBB6_2487
.LBB6_818:                              ;   in Loop: Header=BB6_394 Depth=4
	s_or_b32 exec_lo, exec_lo, s37
	s_and_saveexec_b32 s36, s13
	s_cbranch_execz .LBB6_820
.LBB6_819:                              ;   in Loop: Header=BB6_394 Depth=4
	v_bfe_u32 v47, v39, 16, 3
	v_bfe_u32 v59, v39, 19, 4
	s_delay_alu instid0(VALU_DEP_2) | instskip(NEXT) | instid1(VALU_DEP_2)
	v_clz_i32_u32_e32 v56, v47
	v_cmp_eq_u32_e32 vcc_lo, 0, v59
	s_delay_alu instid0(VALU_DEP_2) | instskip(NEXT) | instid1(VALU_DEP_1)
	v_min_u32_e32 v56, 32, v56
	v_subrev_nc_u32_e32 v58, 28, v56
	v_sub_nc_u32_e32 v56, 29, v56
	s_delay_alu instid0(VALU_DEP_2) | instskip(SKIP_1) | instid1(VALU_DEP_2)
	v_lshlrev_b32_e32 v58, v58, v46
	v_lshlrev_b32_e32 v46, 24, v46
	v_and_b32_e32 v58, 7, v58
	s_delay_alu instid0(VALU_DEP_2) | instskip(NEXT) | instid1(VALU_DEP_2)
	v_and_b32_e32 v46, 0x80000000, v46
	v_cndmask_b32_e32 v47, v47, v58, vcc_lo
	s_delay_alu instid0(VALU_DEP_1) | instskip(NEXT) | instid1(VALU_DEP_1)
	v_dual_cndmask_b32 v56, v59, v56 :: v_dual_lshlrev_b32 v47, 20, v47
	v_lshl_add_u32 v56, v56, 23, 0x3b800000
	s_delay_alu instid0(VALU_DEP_1)
	v_or3_b32 v47, v46, v56, v47
.LBB6_820:                              ;   in Loop: Header=BB6_394 Depth=4
	s_or_b32 exec_lo, exec_lo, s36
	s_delay_alu instid0(VALU_DEP_1) | instskip(NEXT) | instid1(VALU_DEP_1)
	v_dual_max_f32 v46, v47, v47 :: v_dual_max_f32 v47, v57, v57
	v_min_f32_e32 v57, v47, v46
.LBB6_821:                              ;   in Loop: Header=BB6_394 Depth=4
	s_delay_alu instid0(VALU_DEP_1) | instskip(NEXT) | instid1(VALU_DEP_1)
	v_and_b32_e32 v46, 0x7f800000, v57
	v_cmp_ne_u32_e32 vcc_lo, 0x7f800000, v46
	v_mov_b32_e32 v46, 0x80
	s_and_saveexec_b32 s36, vcc_lo
	s_cbranch_execz .LBB6_829
; %bb.822:                              ;   in Loop: Header=BB6_394 Depth=4
	v_mov_b32_e32 v46, 0
	s_mov_b32 s37, exec_lo
	v_cmpx_ne_u32_e32 0, v57
	s_cbranch_execz .LBB6_828
; %bb.823:                              ;   in Loop: Header=BB6_394 Depth=4
	v_bfe_u32 v46, v57, 23, 8
	s_delay_alu instid0(VALU_DEP_1) | instskip(SKIP_1) | instid1(VALU_DEP_2)
	v_sub_nc_u32_e32 v56, 0x78, v46
	v_cmp_gt_u32_e32 vcc_lo, 0x79, v46
	v_dual_cndmask_b32 v56, 0, v56 :: v_dual_and_b32 v47, 0x7fffff, v57
	s_delay_alu instid0(VALU_DEP_1) | instskip(SKIP_2) | instid1(VALU_DEP_4)
	v_or_b32_e32 v58, 0x800000, v47
	v_cmp_eq_u32_e32 vcc_lo, 0, v46
	v_add_nc_u32_e32 v46, 0xffffff89, v46
	v_cndmask_b32_e64 v56, v56, 0x77, vcc_lo
	s_delay_alu instid0(VALU_DEP_4) | instskip(NEXT) | instid1(VALU_DEP_3)
	v_cndmask_b32_e32 v47, v58, v47, vcc_lo
	v_cndmask_b32_e64 v46, v46, 0xffffff8a, vcc_lo
	s_delay_alu instid0(VALU_DEP_3) | instskip(NEXT) | instid1(VALU_DEP_3)
	v_lshl_add_u32 v58, 0x100000, v56, -1
	v_lshrrev_b32_e32 v59, v56, v47
	v_lshlrev_b32_e64 v61, v56, 0x80000
	s_delay_alu instid0(VALU_DEP_4) | instskip(NEXT) | instid1(VALU_DEP_4)
	v_add_nc_u32_e32 v56, v56, v46
	v_and_b32_e32 v47, v58, v47
	s_delay_alu instid0(VALU_DEP_4) | instskip(NEXT) | instid1(VALU_DEP_2)
	v_bfe_u32 v60, v59, 20, 1
	v_cmp_eq_u32_e64 s13, v47, v61
	s_delay_alu instid0(VALU_DEP_2) | instskip(NEXT) | instid1(VALU_DEP_1)
	v_add_nc_u32_e32 v58, -1, v60
	v_cndmask_b32_e64 v47, 0, v58, s13
	v_lshrrev_b32_e32 v58, 23, v59
	s_mov_b32 s13, exec_lo
	s_delay_alu instid0(VALU_DEP_2) | instskip(NEXT) | instid1(VALU_DEP_2)
	v_add_nc_u32_e32 v47, v47, v59
	v_xor_b32_e32 v58, 1, v58
	s_delay_alu instid0(VALU_DEP_2) | instskip(NEXT) | instid1(VALU_DEP_1)
	v_and_b32_e32 v46, 0xfffff, v47
	v_add_nc_u32_e32 v47, v46, v59
                                        ; implicit-def: $vgpr46
	s_delay_alu instid0(VALU_DEP_3)
	v_cmpx_ne_u32_e64 v56, v58
	s_xor_b32 s13, exec_lo, s13
; %bb.824:                              ;   in Loop: Header=BB6_394 Depth=4
	s_delay_alu instid0(VALU_DEP_2) | instskip(SKIP_2) | instid1(VALU_DEP_2)
	v_cmp_lt_u32_e32 vcc_lo, 0xffffff, v47
	v_sub_nc_u32_e32 v46, v56, v58
	v_cndmask_b32_e64 v56, 0, 1, vcc_lo
	v_add_co_ci_u32_e32 v46, vcc_lo, 0, v46, vcc_lo
	s_delay_alu instid0(VALU_DEP_2)
	v_lshrrev_b32_e32 v47, v56, v47
; %bb.825:                              ;   in Loop: Header=BB6_394 Depth=4
	s_and_not1_saveexec_b32 s13, s13
; %bb.826:                              ;   in Loop: Header=BB6_394 Depth=4
	s_delay_alu instid0(VALU_DEP_1)
	v_bfe_u32 v46, v47, 23, 1
; %bb.827:                              ;   in Loop: Header=BB6_394 Depth=4
	s_or_b32 exec_lo, exec_lo, s13
	v_lshrrev_b32_e32 v47, 20, v47
	s_delay_alu instid0(VALU_DEP_2) | instskip(SKIP_2) | instid1(VALU_DEP_2)
	v_cmp_gt_i32_e32 vcc_lo, 16, v46
	v_min_i32_e32 v56, 15, v46
	v_lshrrev_b32_e32 v57, 24, v57
	v_dual_cndmask_b32 v47, 7, v47 :: v_dual_lshlrev_b32 v56, 3, v56
	s_delay_alu instid0(VALU_DEP_1) | instskip(SKIP_1) | instid1(VALU_DEP_3)
	v_or_b32_e32 v46, v46, v47
	v_and_b32_e32 v58, 7, v47
	v_and_b32_e32 v56, 0xf8, v56
	s_delay_alu instid0(VALU_DEP_3) | instskip(SKIP_1) | instid1(VALU_DEP_1)
	v_cmp_ne_u32_e32 vcc_lo, 0, v46
	v_and_b32_e32 v57, 0x80, v57
	v_or3_b32 v47, v56, v57, v58
	s_delay_alu instid0(VALU_DEP_1)
	v_cndmask_b32_e32 v46, 0, v47, vcc_lo
.LBB6_828:                              ;   in Loop: Header=BB6_394 Depth=4
	s_or_b32 exec_lo, exec_lo, s37
.LBB6_829:                              ;   in Loop: Header=BB6_394 Depth=4
	s_delay_alu instid0(SALU_CYCLE_1) | instskip(SKIP_3) | instid1(VALU_DEP_2)
	s_or_b32 exec_lo, exec_lo, s36
	v_lshrrev_b32_e32 v56, 24, v51
	v_lshrrev_b32_e32 v47, 24, v39
	s_and_b32 vcc_lo, exec_lo, s35
	v_cmp_lt_i16_e64 s13, 0x7f, v56
	s_cbranch_vccz .LBB6_839
; %bb.830:                              ;   in Loop: Header=BB6_394 Depth=4
	s_mov_b32 s36, 0
                                        ; implicit-def: $sgpr37
	s_delay_alu instid0(VALU_DEP_1) | instskip(NEXT) | instid1(SALU_CYCLE_1)
	s_and_saveexec_b32 vcc_lo, s13
	s_xor_b32 s13, exec_lo, vcc_lo
	s_cbranch_execnz .LBB6_2488
; %bb.831:                              ;   in Loop: Header=BB6_394 Depth=4
	s_or_saveexec_b32 s13, s13
	v_mov_b32_e32 v57, s37
	s_xor_b32 exec_lo, exec_lo, s13
	s_cbranch_execnz .LBB6_2491
.LBB6_832:                              ;   in Loop: Header=BB6_394 Depth=4
	s_or_b32 exec_lo, exec_lo, s13
	s_and_saveexec_b32 s13, s36
	s_cbranch_execz .LBB6_834
.LBB6_833:                              ;   in Loop: Header=BB6_394 Depth=4
	v_bfe_u32 v57, v51, 24, 3
	v_bfe_u32 v60, v51, 27, 4
	s_delay_alu instid0(VALU_DEP_2) | instskip(NEXT) | instid1(VALU_DEP_2)
	v_clz_i32_u32_e32 v58, v57
	v_cmp_eq_u32_e32 vcc_lo, 0, v60
	s_delay_alu instid0(VALU_DEP_2) | instskip(NEXT) | instid1(VALU_DEP_1)
	v_min_u32_e32 v58, 32, v58
	v_subrev_nc_u32_e32 v59, 28, v58
	v_sub_nc_u32_e32 v58, 29, v58
	s_delay_alu instid0(VALU_DEP_1) | instskip(NEXT) | instid1(VALU_DEP_1)
	v_dual_cndmask_b32 v58, v60, v58 :: v_dual_lshlrev_b32 v59, v59, v56
	v_and_b32_e32 v59, 7, v59
	s_delay_alu instid0(VALU_DEP_2) | instskip(NEXT) | instid1(VALU_DEP_2)
	v_lshl_add_u32 v58, v58, 23, 0x3b800000
	v_cndmask_b32_e32 v57, v57, v59, vcc_lo
	v_and_b32_e32 v59, 0x80000000, v51
	s_delay_alu instid0(VALU_DEP_2) | instskip(NEXT) | instid1(VALU_DEP_1)
	v_lshlrev_b32_e32 v57, 20, v57
	v_or3_b32 v57, v59, v58, v57
.LBB6_834:                              ;   in Loop: Header=BB6_394 Depth=4
	s_or_b32 exec_lo, exec_lo, s13
	s_mov_b32 s13, 0
	s_mov_b32 s37, exec_lo
                                        ; implicit-def: $sgpr36
	v_cmpx_lt_i16_e32 0x7f, v47
	s_xor_b32 s37, exec_lo, s37
	s_cbranch_execnz .LBB6_2492
; %bb.835:                              ;   in Loop: Header=BB6_394 Depth=4
	s_or_saveexec_b32 s37, s37
	v_mov_b32_e32 v58, s36
	s_xor_b32 exec_lo, exec_lo, s37
	s_cbranch_execnz .LBB6_2495
.LBB6_836:                              ;   in Loop: Header=BB6_394 Depth=4
	s_or_b32 exec_lo, exec_lo, s37
	s_and_saveexec_b32 s36, s13
	s_cbranch_execz .LBB6_838
.LBB6_837:                              ;   in Loop: Header=BB6_394 Depth=4
	v_bfe_u32 v58, v39, 24, 3
	v_bfe_u32 v61, v39, 27, 4
	s_delay_alu instid0(VALU_DEP_2) | instskip(NEXT) | instid1(VALU_DEP_2)
	v_clz_i32_u32_e32 v59, v58
	v_cmp_eq_u32_e32 vcc_lo, 0, v61
	s_delay_alu instid0(VALU_DEP_2) | instskip(NEXT) | instid1(VALU_DEP_1)
	v_min_u32_e32 v59, 32, v59
	v_subrev_nc_u32_e32 v60, 28, v59
	v_sub_nc_u32_e32 v59, 29, v59
	s_delay_alu instid0(VALU_DEP_2) | instskip(NEXT) | instid1(VALU_DEP_1)
	v_lshlrev_b32_e32 v60, v60, v47
	v_dual_cndmask_b32 v59, v61, v59 :: v_dual_and_b32 v60, 7, v60
	s_delay_alu instid0(VALU_DEP_1) | instskip(NEXT) | instid1(VALU_DEP_2)
	v_lshl_add_u32 v59, v59, 23, 0x3b800000
	v_cndmask_b32_e32 v58, v58, v60, vcc_lo
	v_and_b32_e32 v60, 0x80000000, v39
	s_delay_alu instid0(VALU_DEP_2) | instskip(NEXT) | instid1(VALU_DEP_1)
	v_lshlrev_b32_e32 v58, 20, v58
	v_or3_b32 v58, v60, v59, v58
.LBB6_838:                              ;   in Loop: Header=BB6_394 Depth=4
	s_or_b32 exec_lo, exec_lo, s36
	s_delay_alu instid0(VALU_DEP_1) | instskip(SKIP_1) | instid1(VALU_DEP_1)
	v_dual_max_f32 v58, v58, v58 :: v_dual_max_f32 v57, v57, v57
	s_mov_b32 s13, 0
	v_max_f32_e32 v57, v57, v58
	s_branch .LBB6_840
.LBB6_839:                              ;   in Loop: Header=BB6_394 Depth=4
	s_mov_b32 s13, -1
                                        ; implicit-def: $vgpr57
.LBB6_840:                              ;   in Loop: Header=BB6_394 Depth=4
	s_delay_alu instid0(SALU_CYCLE_1)
	s_and_b32 vcc_lo, exec_lo, s13
	s_cbranch_vccz .LBB6_850
; %bb.841:                              ;   in Loop: Header=BB6_394 Depth=4
	s_mov_b32 s13, 0
	s_mov_b32 s37, exec_lo
                                        ; implicit-def: $sgpr36
	v_cmpx_lt_i16_e32 0x7f, v56
	s_xor_b32 s37, exec_lo, s37
	s_cbranch_execnz .LBB6_2496
; %bb.842:                              ;   in Loop: Header=BB6_394 Depth=4
	s_or_saveexec_b32 s37, s37
	v_mov_b32_e32 v57, s36
	s_xor_b32 exec_lo, exec_lo, s37
	s_cbranch_execnz .LBB6_2499
.LBB6_843:                              ;   in Loop: Header=BB6_394 Depth=4
	s_or_b32 exec_lo, exec_lo, s37
	s_and_saveexec_b32 s36, s13
	s_cbranch_execz .LBB6_845
.LBB6_844:                              ;   in Loop: Header=BB6_394 Depth=4
	v_bfe_u32 v57, v51, 24, 3
	s_delay_alu instid0(VALU_DEP_1) | instskip(NEXT) | instid1(VALU_DEP_1)
	v_clz_i32_u32_e32 v58, v57
	v_min_u32_e32 v58, 32, v58
	s_delay_alu instid0(VALU_DEP_1) | instskip(SKIP_1) | instid1(VALU_DEP_2)
	v_subrev_nc_u32_e32 v59, 28, v58
	v_sub_nc_u32_e32 v58, 29, v58
	v_lshlrev_b32_e32 v56, v59, v56
	v_bfe_u32 v59, v51, 27, 4
	v_and_b32_e32 v51, 0x80000000, v51
	s_delay_alu instid0(VALU_DEP_3) | instskip(NEXT) | instid1(VALU_DEP_3)
	v_and_b32_e32 v56, 7, v56
	v_cmp_eq_u32_e32 vcc_lo, 0, v59
	v_cndmask_b32_e32 v58, v59, v58, vcc_lo
	s_delay_alu instid0(VALU_DEP_3) | instskip(NEXT) | instid1(VALU_DEP_2)
	v_cndmask_b32_e32 v56, v57, v56, vcc_lo
	v_lshl_add_u32 v57, v58, 23, 0x3b800000
	s_delay_alu instid0(VALU_DEP_2) | instskip(NEXT) | instid1(VALU_DEP_1)
	v_lshlrev_b32_e32 v56, 20, v56
	v_or3_b32 v57, v51, v57, v56
.LBB6_845:                              ;   in Loop: Header=BB6_394 Depth=4
	s_or_b32 exec_lo, exec_lo, s36
	s_mov_b32 s13, 0
	s_mov_b32 s37, exec_lo
                                        ; implicit-def: $sgpr36
	v_cmpx_lt_i16_e32 0x7f, v47
	s_xor_b32 s37, exec_lo, s37
	s_cbranch_execnz .LBB6_2500
; %bb.846:                              ;   in Loop: Header=BB6_394 Depth=4
	s_or_saveexec_b32 s37, s37
	v_mov_b32_e32 v51, s36
	s_xor_b32 exec_lo, exec_lo, s37
	s_cbranch_execnz .LBB6_2503
.LBB6_847:                              ;   in Loop: Header=BB6_394 Depth=4
	s_or_b32 exec_lo, exec_lo, s37
	s_and_saveexec_b32 s36, s13
	s_cbranch_execz .LBB6_849
.LBB6_848:                              ;   in Loop: Header=BB6_394 Depth=4
	v_bfe_u32 v51, v39, 24, 3
	s_delay_alu instid0(VALU_DEP_1) | instskip(NEXT) | instid1(VALU_DEP_1)
	v_clz_i32_u32_e32 v56, v51
	v_min_u32_e32 v56, 32, v56
	s_delay_alu instid0(VALU_DEP_1) | instskip(SKIP_1) | instid1(VALU_DEP_2)
	v_subrev_nc_u32_e32 v58, 28, v56
	v_sub_nc_u32_e32 v56, 29, v56
	v_lshlrev_b32_e32 v47, v58, v47
	v_bfe_u32 v58, v39, 27, 4
	v_and_b32_e32 v39, 0x80000000, v39
	s_delay_alu instid0(VALU_DEP_2) | instskip(NEXT) | instid1(VALU_DEP_4)
	v_cmp_eq_u32_e32 vcc_lo, 0, v58
	v_dual_cndmask_b32 v56, v58, v56 :: v_dual_and_b32 v47, 7, v47
	s_delay_alu instid0(VALU_DEP_1) | instskip(NEXT) | instid1(VALU_DEP_2)
	v_cndmask_b32_e32 v51, v51, v47, vcc_lo
	v_lshl_add_u32 v47, v56, 23, 0x3b800000
	s_delay_alu instid0(VALU_DEP_2) | instskip(NEXT) | instid1(VALU_DEP_1)
	v_lshlrev_b32_e32 v51, 20, v51
	v_or3_b32 v51, v39, v47, v51
.LBB6_849:                              ;   in Loop: Header=BB6_394 Depth=4
	s_or_b32 exec_lo, exec_lo, s36
	s_delay_alu instid0(VALU_DEP_1) | instskip(SKIP_1) | instid1(VALU_DEP_1)
	v_max_f32_e32 v39, v51, v51
	v_max_f32_e32 v51, v57, v57
	v_min_f32_e32 v57, v51, v39
.LBB6_850:                              ;   in Loop: Header=BB6_394 Depth=4
	s_delay_alu instid0(VALU_DEP_1) | instskip(NEXT) | instid1(VALU_DEP_1)
	v_and_b32_e32 v39, 0x7f800000, v57
	v_cmp_ne_u32_e32 vcc_lo, 0x7f800000, v39
	v_mov_b32_e32 v39, 0x8000
	s_and_saveexec_b32 s36, vcc_lo
	s_cbranch_execz .LBB6_858
; %bb.851:                              ;   in Loop: Header=BB6_394 Depth=4
	v_mov_b32_e32 v39, 0
	s_mov_b32 s37, exec_lo
	v_cmpx_ne_u32_e32 0, v57
	s_cbranch_execz .LBB6_857
; %bb.852:                              ;   in Loop: Header=BB6_394 Depth=4
	v_bfe_u32 v39, v57, 23, 8
	v_and_b32_e32 v51, 0x7fffff, v57
	s_delay_alu instid0(VALU_DEP_2) | instskip(SKIP_1) | instid1(VALU_DEP_3)
	v_sub_nc_u32_e32 v47, 0x78, v39
	v_cmp_gt_u32_e32 vcc_lo, 0x79, v39
	v_or_b32_e32 v56, 0x800000, v51
	s_delay_alu instid0(VALU_DEP_3) | instskip(SKIP_2) | instid1(VALU_DEP_3)
	v_cndmask_b32_e32 v47, 0, v47, vcc_lo
	v_cmp_eq_u32_e32 vcc_lo, 0, v39
	v_add_nc_u32_e32 v39, 0xffffff89, v39
	v_cndmask_b32_e64 v47, v47, 0x77, vcc_lo
	v_cndmask_b32_e32 v51, v56, v51, vcc_lo
	s_delay_alu instid0(VALU_DEP_3) | instskip(NEXT) | instid1(VALU_DEP_3)
	v_cndmask_b32_e64 v39, v39, 0xffffff8a, vcc_lo
	v_lshl_add_u32 v56, 0x100000, v47, -1
	s_delay_alu instid0(VALU_DEP_3) | instskip(SKIP_1) | instid1(VALU_DEP_4)
	v_lshrrev_b32_e32 v58, v47, v51
	v_lshlrev_b32_e64 v60, v47, 0x80000
	v_add_nc_u32_e32 v47, v47, v39
	s_delay_alu instid0(VALU_DEP_4) | instskip(NEXT) | instid1(VALU_DEP_4)
	v_and_b32_e32 v51, v56, v51
	v_bfe_u32 v59, v58, 20, 1
	s_delay_alu instid0(VALU_DEP_2) | instskip(NEXT) | instid1(VALU_DEP_2)
	v_cmp_eq_u32_e64 s13, v51, v60
	v_add_nc_u32_e32 v56, -1, v59
	s_delay_alu instid0(VALU_DEP_1) | instskip(SKIP_2) | instid1(VALU_DEP_2)
	v_cndmask_b32_e64 v51, 0, v56, s13
	v_lshrrev_b32_e32 v56, 23, v58
	s_mov_b32 s13, exec_lo
	v_add_nc_u32_e32 v51, v51, v58
	s_delay_alu instid0(VALU_DEP_2) | instskip(NEXT) | instid1(VALU_DEP_2)
	v_xor_b32_e32 v56, 1, v56
	v_and_b32_e32 v39, 0xfffff, v51
	s_delay_alu instid0(VALU_DEP_1) | instskip(NEXT) | instid1(VALU_DEP_3)
	v_add_nc_u32_e32 v51, v39, v58
                                        ; implicit-def: $vgpr39
	v_cmpx_ne_u32_e64 v47, v56
	s_xor_b32 s13, exec_lo, s13
; %bb.853:                              ;   in Loop: Header=BB6_394 Depth=4
	s_delay_alu instid0(VALU_DEP_2) | instskip(SKIP_2) | instid1(VALU_DEP_2)
	v_cmp_lt_u32_e32 vcc_lo, 0xffffff, v51
	v_sub_nc_u32_e32 v39, v47, v56
	v_cndmask_b32_e64 v47, 0, 1, vcc_lo
	v_add_co_ci_u32_e32 v39, vcc_lo, 0, v39, vcc_lo
	s_delay_alu instid0(VALU_DEP_2)
	v_lshrrev_b32_e32 v51, v47, v51
; %bb.854:                              ;   in Loop: Header=BB6_394 Depth=4
	s_and_not1_saveexec_b32 s13, s13
; %bb.855:                              ;   in Loop: Header=BB6_394 Depth=4
	s_delay_alu instid0(VALU_DEP_1)
	v_bfe_u32 v39, v51, 23, 1
; %bb.856:                              ;   in Loop: Header=BB6_394 Depth=4
	s_or_b32 exec_lo, exec_lo, s13
	v_lshrrev_b32_e32 v51, 20, v51
	s_delay_alu instid0(VALU_DEP_2) | instskip(SKIP_2) | instid1(VALU_DEP_3)
	v_min_i32_e32 v47, 15, v39
	v_cmp_gt_i32_e32 vcc_lo, 16, v39
	v_lshrrev_b32_e32 v56, 24, v57
	v_lshlrev_b32_e32 v47, 3, v47
	s_delay_alu instid0(VALU_DEP_2) | instskip(NEXT) | instid1(VALU_DEP_2)
	v_dual_cndmask_b32 v51, 7, v51 :: v_dual_and_b32 v56, 0x80, v56
	v_and_b32_e32 v47, 0xf8, v47
	s_delay_alu instid0(VALU_DEP_2) | instskip(SKIP_1) | instid1(VALU_DEP_2)
	v_and_b32_e32 v57, 7, v51
	v_or_b32_e32 v39, v39, v51
	v_or3_b32 v47, v56, v47, v57
	s_delay_alu instid0(VALU_DEP_2) | instskip(NEXT) | instid1(VALU_DEP_2)
	v_cmp_ne_u32_e32 vcc_lo, 0, v39
	v_lshlrev_b32_e32 v51, 8, v47
	s_delay_alu instid0(VALU_DEP_1)
	v_cndmask_b32_e32 v39, 0, v51, vcc_lo
.LBB6_857:                              ;   in Loop: Header=BB6_394 Depth=4
	s_or_b32 exec_lo, exec_lo, s37
.LBB6_858:                              ;   in Loop: Header=BB6_394 Depth=4
	s_delay_alu instid0(SALU_CYCLE_1) | instskip(SKIP_2) | instid1(VALU_DEP_1)
	s_or_b32 exec_lo, exec_lo, s36
	v_and_b32_e32 v51, 0xff, v32
	s_and_not1_b32 vcc_lo, exec_lo, s35
	v_cmp_lt_i16_e64 s13, 0x7f, v51
	s_cbranch_vccnz .LBB6_868
; %bb.859:                              ;   in Loop: Header=BB6_394 Depth=4
	s_mov_b32 s36, 0
                                        ; implicit-def: $sgpr37
	s_delay_alu instid0(VALU_DEP_1) | instskip(NEXT) | instid1(SALU_CYCLE_1)
	s_and_saveexec_b32 vcc_lo, s13
	s_xor_b32 s13, exec_lo, vcc_lo
	s_cbranch_execnz .LBB6_2504
; %bb.860:                              ;   in Loop: Header=BB6_394 Depth=4
	s_or_saveexec_b32 s13, s13
	v_mov_b32_e32 v47, s37
	s_xor_b32 exec_lo, exec_lo, s13
	s_cbranch_execnz .LBB6_2507
.LBB6_861:                              ;   in Loop: Header=BB6_394 Depth=4
	s_or_b32 exec_lo, exec_lo, s13
	s_and_saveexec_b32 s13, s36
	s_cbranch_execz .LBB6_863
.LBB6_862:                              ;   in Loop: Header=BB6_394 Depth=4
	v_and_b32_e32 v47, 7, v32
	v_bfe_u32 v58, v32, 3, 4
	v_lshlrev_b32_e32 v59, 24, v32
	s_delay_alu instid0(VALU_DEP_3) | instskip(NEXT) | instid1(VALU_DEP_3)
	v_clz_i32_u32_e32 v56, v47
	v_cmp_eq_u32_e32 vcc_lo, 0, v58
	s_delay_alu instid0(VALU_DEP_2) | instskip(NEXT) | instid1(VALU_DEP_1)
	v_min_u32_e32 v56, 32, v56
	v_subrev_nc_u32_e32 v57, 28, v56
	v_sub_nc_u32_e32 v56, 29, v56
	s_delay_alu instid0(VALU_DEP_2) | instskip(NEXT) | instid1(VALU_DEP_1)
	v_lshlrev_b32_e32 v57, v57, v32
	v_dual_cndmask_b32 v56, v58, v56 :: v_dual_and_b32 v57, 7, v57
	s_delay_alu instid0(VALU_DEP_1) | instskip(NEXT) | instid1(VALU_DEP_2)
	v_lshl_add_u32 v56, v56, 23, 0x3b800000
	v_cndmask_b32_e32 v47, v47, v57, vcc_lo
	v_and_b32_e32 v57, 0x80000000, v59
	s_delay_alu instid0(VALU_DEP_2) | instskip(NEXT) | instid1(VALU_DEP_1)
	v_lshlrev_b32_e32 v47, 20, v47
	v_or3_b32 v47, v57, v56, v47
.LBB6_863:                              ;   in Loop: Header=BB6_394 Depth=4
	s_or_b32 exec_lo, exec_lo, s13
	s_waitcnt vmcnt(2)
	v_and_b32_e32 v57, 0xff, v24
	s_mov_b32 s13, 0
	s_mov_b32 s37, exec_lo
                                        ; implicit-def: $sgpr36
	s_delay_alu instid0(VALU_DEP_1)
	v_cmpx_lt_i16_e32 0x7f, v57
	s_xor_b32 s37, exec_lo, s37
	s_cbranch_execnz .LBB6_2508
; %bb.864:                              ;   in Loop: Header=BB6_394 Depth=4
	s_or_saveexec_b32 s37, s37
	v_mov_b32_e32 v56, s36
	s_xor_b32 exec_lo, exec_lo, s37
	s_cbranch_execnz .LBB6_2511
.LBB6_865:                              ;   in Loop: Header=BB6_394 Depth=4
	s_or_b32 exec_lo, exec_lo, s37
	s_and_saveexec_b32 s36, s13
	s_cbranch_execz .LBB6_867
.LBB6_866:                              ;   in Loop: Header=BB6_394 Depth=4
	v_bfe_u32 v59, v24, 3, 4
	v_lshlrev_b32_e32 v60, 24, v24
	s_delay_alu instid0(VALU_DEP_2) | instskip(SKIP_1) | instid1(VALU_DEP_1)
	v_cmp_eq_u32_e32 vcc_lo, 0, v59
	v_and_b32_e32 v56, 7, v24
	v_clz_i32_u32_e32 v57, v56
	s_delay_alu instid0(VALU_DEP_1) | instskip(NEXT) | instid1(VALU_DEP_1)
	v_min_u32_e32 v57, 32, v57
	v_subrev_nc_u32_e32 v58, 28, v57
	v_sub_nc_u32_e32 v57, 29, v57
	s_delay_alu instid0(VALU_DEP_1) | instskip(NEXT) | instid1(VALU_DEP_1)
	v_dual_cndmask_b32 v57, v59, v57 :: v_dual_lshlrev_b32 v58, v58, v24
	v_and_b32_e32 v58, 7, v58
	s_delay_alu instid0(VALU_DEP_2) | instskip(NEXT) | instid1(VALU_DEP_2)
	v_lshl_add_u32 v57, v57, 23, 0x3b800000
	v_cndmask_b32_e32 v56, v56, v58, vcc_lo
	v_and_b32_e32 v58, 0x80000000, v60
	s_delay_alu instid0(VALU_DEP_2) | instskip(NEXT) | instid1(VALU_DEP_1)
	v_lshlrev_b32_e32 v56, 20, v56
	v_or3_b32 v56, v58, v57, v56
.LBB6_867:                              ;   in Loop: Header=BB6_394 Depth=4
	s_or_b32 exec_lo, exec_lo, s36
	s_delay_alu instid0(VALU_DEP_1) | instskip(SKIP_1) | instid1(VALU_DEP_1)
	v_dual_max_f32 v56, v56, v56 :: v_dual_max_f32 v47, v47, v47
	s_mov_b32 s13, 0
	v_max_f32_e32 v47, v47, v56
	s_branch .LBB6_869
.LBB6_868:                              ;   in Loop: Header=BB6_394 Depth=4
	s_mov_b32 s13, -1
                                        ; implicit-def: $vgpr47
.LBB6_869:                              ;   in Loop: Header=BB6_394 Depth=4
	s_delay_alu instid0(SALU_CYCLE_1)
	s_and_b32 vcc_lo, exec_lo, s13
	s_cbranch_vccz .LBB6_879
; %bb.870:                              ;   in Loop: Header=BB6_394 Depth=4
	s_mov_b32 s13, 0
	s_mov_b32 s37, exec_lo
                                        ; implicit-def: $sgpr36
	v_cmpx_lt_i16_e32 0x7f, v51
	s_xor_b32 s37, exec_lo, s37
	s_cbranch_execnz .LBB6_2512
; %bb.871:                              ;   in Loop: Header=BB6_394 Depth=4
	s_or_saveexec_b32 s37, s37
	v_mov_b32_e32 v47, s36
	s_xor_b32 exec_lo, exec_lo, s37
	s_cbranch_execnz .LBB6_2515
.LBB6_872:                              ;   in Loop: Header=BB6_394 Depth=4
	s_or_b32 exec_lo, exec_lo, s37
	s_and_saveexec_b32 s36, s13
	s_cbranch_execz .LBB6_874
.LBB6_873:                              ;   in Loop: Header=BB6_394 Depth=4
	v_and_b32_e32 v51, 7, v32
	v_bfe_u32 v57, v32, 3, 4
	v_lshlrev_b32_e32 v58, 24, v32
	s_delay_alu instid0(VALU_DEP_3) | instskip(NEXT) | instid1(VALU_DEP_3)
	v_clz_i32_u32_e32 v47, v51
	v_cmp_eq_u32_e32 vcc_lo, 0, v57
	s_delay_alu instid0(VALU_DEP_2) | instskip(NEXT) | instid1(VALU_DEP_1)
	v_min_u32_e32 v47, 32, v47
	v_subrev_nc_u32_e32 v56, 28, v47
	v_sub_nc_u32_e32 v47, 29, v47
	s_delay_alu instid0(VALU_DEP_1) | instskip(NEXT) | instid1(VALU_DEP_1)
	v_dual_cndmask_b32 v47, v57, v47 :: v_dual_lshlrev_b32 v56, v56, v32
	v_and_b32_e32 v56, 7, v56
	s_delay_alu instid0(VALU_DEP_2) | instskip(NEXT) | instid1(VALU_DEP_2)
	v_lshl_add_u32 v47, v47, 23, 0x3b800000
	v_dual_cndmask_b32 v51, v51, v56 :: v_dual_and_b32 v56, 0x80000000, v58
	s_delay_alu instid0(VALU_DEP_1) | instskip(NEXT) | instid1(VALU_DEP_1)
	v_lshlrev_b32_e32 v51, 20, v51
	v_or3_b32 v47, v56, v47, v51
.LBB6_874:                              ;   in Loop: Header=BB6_394 Depth=4
	s_or_b32 exec_lo, exec_lo, s36
	s_waitcnt vmcnt(2)
	v_and_b32_e32 v56, 0xff, v24
	s_mov_b32 s13, 0
	s_mov_b32 s37, exec_lo
                                        ; implicit-def: $sgpr36
	s_delay_alu instid0(VALU_DEP_1)
	v_cmpx_lt_i16_e32 0x7f, v56
	s_xor_b32 s37, exec_lo, s37
	s_cbranch_execnz .LBB6_2516
; %bb.875:                              ;   in Loop: Header=BB6_394 Depth=4
	s_or_saveexec_b32 s37, s37
	v_mov_b32_e32 v51, s36
	s_xor_b32 exec_lo, exec_lo, s37
	s_cbranch_execnz .LBB6_2519
.LBB6_876:                              ;   in Loop: Header=BB6_394 Depth=4
	s_or_b32 exec_lo, exec_lo, s37
	s_and_saveexec_b32 s36, s13
	s_cbranch_execz .LBB6_878
.LBB6_877:                              ;   in Loop: Header=BB6_394 Depth=4
	v_and_b32_e32 v51, 7, v24
	v_bfe_u32 v58, v24, 3, 4
	v_lshlrev_b32_e32 v59, 24, v24
	s_delay_alu instid0(VALU_DEP_3) | instskip(NEXT) | instid1(VALU_DEP_3)
	v_clz_i32_u32_e32 v56, v51
	v_cmp_eq_u32_e32 vcc_lo, 0, v58
	s_delay_alu instid0(VALU_DEP_2) | instskip(NEXT) | instid1(VALU_DEP_1)
	v_min_u32_e32 v56, 32, v56
	v_subrev_nc_u32_e32 v57, 28, v56
	v_sub_nc_u32_e32 v56, 29, v56
	s_delay_alu instid0(VALU_DEP_2) | instskip(NEXT) | instid1(VALU_DEP_1)
	v_lshlrev_b32_e32 v57, v57, v24
	v_dual_cndmask_b32 v56, v58, v56 :: v_dual_and_b32 v57, 7, v57
	s_delay_alu instid0(VALU_DEP_1) | instskip(NEXT) | instid1(VALU_DEP_2)
	v_lshl_add_u32 v56, v56, 23, 0x3b800000
	v_cndmask_b32_e32 v51, v51, v57, vcc_lo
	v_and_b32_e32 v57, 0x80000000, v59
	s_delay_alu instid0(VALU_DEP_2) | instskip(NEXT) | instid1(VALU_DEP_1)
	v_lshlrev_b32_e32 v51, 20, v51
	v_or3_b32 v51, v57, v56, v51
.LBB6_878:                              ;   in Loop: Header=BB6_394 Depth=4
	s_or_b32 exec_lo, exec_lo, s36
	s_delay_alu instid0(VALU_DEP_1) | instskip(SKIP_1) | instid1(VALU_DEP_1)
	v_max_f32_e32 v51, v51, v51
	v_max_f32_e32 v47, v47, v47
	v_min_f32_e32 v47, v47, v51
.LBB6_879:                              ;   in Loop: Header=BB6_394 Depth=4
	s_delay_alu instid0(VALU_DEP_1) | instskip(NEXT) | instid1(VALU_DEP_1)
	v_and_b32_e32 v51, 0x7f800000, v47
	v_cmp_ne_u32_e32 vcc_lo, 0x7f800000, v51
	v_mov_b32_e32 v51, 0x80
	s_and_saveexec_b32 s36, vcc_lo
	s_cbranch_execz .LBB6_887
; %bb.880:                              ;   in Loop: Header=BB6_394 Depth=4
	v_mov_b32_e32 v51, 0
	s_mov_b32 s37, exec_lo
	v_cmpx_ne_u32_e32 0, v47
	s_cbranch_execz .LBB6_886
; %bb.881:                              ;   in Loop: Header=BB6_394 Depth=4
	v_bfe_u32 v51, v47, 23, 8
	s_delay_alu instid0(VALU_DEP_1) | instskip(SKIP_1) | instid1(VALU_DEP_2)
	v_sub_nc_u32_e32 v57, 0x78, v51
	v_cmp_gt_u32_e32 vcc_lo, 0x79, v51
	v_dual_cndmask_b32 v57, 0, v57 :: v_dual_and_b32 v56, 0x7fffff, v47
	s_delay_alu instid0(VALU_DEP_1) | instskip(SKIP_2) | instid1(VALU_DEP_4)
	v_or_b32_e32 v58, 0x800000, v56
	v_cmp_eq_u32_e32 vcc_lo, 0, v51
	v_add_nc_u32_e32 v51, 0xffffff89, v51
	v_cndmask_b32_e64 v57, v57, 0x77, vcc_lo
	s_delay_alu instid0(VALU_DEP_4) | instskip(NEXT) | instid1(VALU_DEP_3)
	v_cndmask_b32_e32 v56, v58, v56, vcc_lo
	v_cndmask_b32_e64 v51, v51, 0xffffff8a, vcc_lo
	s_delay_alu instid0(VALU_DEP_3) | instskip(NEXT) | instid1(VALU_DEP_3)
	v_lshl_add_u32 v58, 0x100000, v57, -1
	v_lshrrev_b32_e32 v59, v57, v56
	v_lshlrev_b32_e64 v61, v57, 0x80000
	s_delay_alu instid0(VALU_DEP_4) | instskip(NEXT) | instid1(VALU_DEP_4)
	v_add_nc_u32_e32 v57, v57, v51
	v_and_b32_e32 v56, v58, v56
	s_delay_alu instid0(VALU_DEP_4) | instskip(NEXT) | instid1(VALU_DEP_2)
	v_bfe_u32 v60, v59, 20, 1
	v_cmp_eq_u32_e64 s13, v56, v61
	s_delay_alu instid0(VALU_DEP_2) | instskip(NEXT) | instid1(VALU_DEP_1)
	v_add_nc_u32_e32 v58, -1, v60
	v_cndmask_b32_e64 v56, 0, v58, s13
	v_lshrrev_b32_e32 v58, 23, v59
	s_mov_b32 s13, exec_lo
	s_delay_alu instid0(VALU_DEP_2) | instskip(NEXT) | instid1(VALU_DEP_2)
	v_add_nc_u32_e32 v56, v56, v59
	v_xor_b32_e32 v58, 1, v58
	s_delay_alu instid0(VALU_DEP_2) | instskip(NEXT) | instid1(VALU_DEP_1)
	v_and_b32_e32 v51, 0xfffff, v56
	v_add_nc_u32_e32 v56, v51, v59
                                        ; implicit-def: $vgpr51
	s_delay_alu instid0(VALU_DEP_3)
	v_cmpx_ne_u32_e64 v57, v58
	s_xor_b32 s13, exec_lo, s13
; %bb.882:                              ;   in Loop: Header=BB6_394 Depth=4
	s_delay_alu instid0(VALU_DEP_2) | instskip(SKIP_2) | instid1(VALU_DEP_2)
	v_cmp_lt_u32_e32 vcc_lo, 0xffffff, v56
	v_sub_nc_u32_e32 v51, v57, v58
	v_cndmask_b32_e64 v57, 0, 1, vcc_lo
	v_add_co_ci_u32_e32 v51, vcc_lo, 0, v51, vcc_lo
	s_delay_alu instid0(VALU_DEP_2)
	v_lshrrev_b32_e32 v56, v57, v56
; %bb.883:                              ;   in Loop: Header=BB6_394 Depth=4
	s_and_not1_saveexec_b32 s13, s13
; %bb.884:                              ;   in Loop: Header=BB6_394 Depth=4
	s_delay_alu instid0(VALU_DEP_1)
	v_bfe_u32 v51, v56, 23, 1
; %bb.885:                              ;   in Loop: Header=BB6_394 Depth=4
	s_or_b32 exec_lo, exec_lo, s13
	v_lshrrev_b32_e32 v56, 20, v56
	s_delay_alu instid0(VALU_DEP_2) | instskip(SKIP_2) | instid1(VALU_DEP_2)
	v_cmp_gt_i32_e32 vcc_lo, 16, v51
	v_lshrrev_b32_e32 v47, 24, v47
	v_min_i32_e32 v57, 15, v51
	v_dual_cndmask_b32 v56, 7, v56 :: v_dual_and_b32 v47, 0x80, v47
	s_delay_alu instid0(VALU_DEP_2) | instskip(NEXT) | instid1(VALU_DEP_2)
	v_lshlrev_b32_e32 v57, 3, v57
	v_or_b32_e32 v51, v51, v56
	s_delay_alu instid0(VALU_DEP_1) | instskip(SKIP_1) | instid1(VALU_DEP_1)
	v_cmp_ne_u32_e32 vcc_lo, 0, v51
	v_and_b32_e32 v58, 7, v56
	v_or3_b32 v47, v57, v47, v58
	s_delay_alu instid0(VALU_DEP_1)
	v_cndmask_b32_e32 v51, 0, v47, vcc_lo
.LBB6_886:                              ;   in Loop: Header=BB6_394 Depth=4
	s_or_b32 exec_lo, exec_lo, s37
.LBB6_887:                              ;   in Loop: Header=BB6_394 Depth=4
	s_delay_alu instid0(SALU_CYCLE_1) | instskip(SKIP_4) | instid1(VALU_DEP_2)
	s_or_b32 exec_lo, exec_lo, s36
	v_lshrrev_b16 v56, 8, v32
	s_waitcnt vmcnt(2)
	v_lshrrev_b16 v47, 8, v24
	s_and_not1_b32 vcc_lo, exec_lo, s35
	v_cmp_lt_i16_e64 s13, 0x7f, v56
	s_cbranch_vccnz .LBB6_897
; %bb.888:                              ;   in Loop: Header=BB6_394 Depth=4
	s_mov_b32 s36, 0
                                        ; implicit-def: $sgpr37
	s_delay_alu instid0(VALU_DEP_1) | instskip(NEXT) | instid1(SALU_CYCLE_1)
	s_and_saveexec_b32 vcc_lo, s13
	s_xor_b32 s13, exec_lo, vcc_lo
	s_cbranch_execnz .LBB6_2520
; %bb.889:                              ;   in Loop: Header=BB6_394 Depth=4
	s_or_saveexec_b32 s13, s13
	v_mov_b32_e32 v57, s37
	s_xor_b32 exec_lo, exec_lo, s13
	s_cbranch_execnz .LBB6_2523
.LBB6_890:                              ;   in Loop: Header=BB6_394 Depth=4
	s_or_b32 exec_lo, exec_lo, s13
	s_and_saveexec_b32 s13, s36
	s_cbranch_execz .LBB6_892
.LBB6_891:                              ;   in Loop: Header=BB6_394 Depth=4
	v_and_b32_e32 v57, 0xffff, v56
	v_lshlrev_b32_e32 v61, 16, v32
	s_delay_alu instid0(VALU_DEP_2) | instskip(NEXT) | instid1(VALU_DEP_1)
	v_and_b32_e32 v58, 7, v57
	v_clz_i32_u32_e32 v59, v58
	s_delay_alu instid0(VALU_DEP_1) | instskip(NEXT) | instid1(VALU_DEP_1)
	v_min_u32_e32 v59, 32, v59
	v_subrev_nc_u32_e32 v60, 28, v59
	v_sub_nc_u32_e32 v59, 29, v59
	s_delay_alu instid0(VALU_DEP_2) | instskip(SKIP_1) | instid1(VALU_DEP_2)
	v_lshlrev_b32_e32 v60, v60, v57
	v_bfe_u32 v57, v57, 3, 4
	v_and_b32_e32 v60, 7, v60
	s_delay_alu instid0(VALU_DEP_2) | instskip(NEXT) | instid1(VALU_DEP_2)
	v_cmp_eq_u32_e32 vcc_lo, 0, v57
	v_dual_cndmask_b32 v57, v57, v59 :: v_dual_cndmask_b32 v58, v58, v60
	v_and_b32_e32 v59, 0x80000000, v61
	s_delay_alu instid0(VALU_DEP_2) | instskip(NEXT) | instid1(VALU_DEP_3)
	v_lshl_add_u32 v57, v57, 23, 0x3b800000
	v_lshlrev_b32_e32 v58, 20, v58
	s_delay_alu instid0(VALU_DEP_1)
	v_or3_b32 v57, v59, v57, v58
.LBB6_892:                              ;   in Loop: Header=BB6_394 Depth=4
	s_or_b32 exec_lo, exec_lo, s13
	s_mov_b32 s13, 0
	s_mov_b32 s37, exec_lo
                                        ; implicit-def: $sgpr36
	v_cmpx_lt_i16_e32 0x7f, v47
	s_xor_b32 s37, exec_lo, s37
	s_cbranch_execnz .LBB6_2524
; %bb.893:                              ;   in Loop: Header=BB6_394 Depth=4
	s_or_saveexec_b32 s37, s37
	v_mov_b32_e32 v58, s36
	s_xor_b32 exec_lo, exec_lo, s37
	s_cbranch_execnz .LBB6_2527
.LBB6_894:                              ;   in Loop: Header=BB6_394 Depth=4
	s_or_b32 exec_lo, exec_lo, s37
	s_and_saveexec_b32 s36, s13
	s_cbranch_execz .LBB6_896
.LBB6_895:                              ;   in Loop: Header=BB6_394 Depth=4
	v_and_b32_e32 v58, 0xffff, v47
	v_lshlrev_b32_e32 v62, 16, v24
	s_delay_alu instid0(VALU_DEP_2) | instskip(NEXT) | instid1(VALU_DEP_1)
	v_and_b32_e32 v59, 7, v58
	v_clz_i32_u32_e32 v60, v59
	s_delay_alu instid0(VALU_DEP_1) | instskip(NEXT) | instid1(VALU_DEP_1)
	v_min_u32_e32 v60, 32, v60
	v_subrev_nc_u32_e32 v61, 28, v60
	v_sub_nc_u32_e32 v60, 29, v60
	s_delay_alu instid0(VALU_DEP_2) | instskip(SKIP_1) | instid1(VALU_DEP_2)
	v_lshlrev_b32_e32 v61, v61, v58
	v_bfe_u32 v58, v58, 3, 4
	v_and_b32_e32 v61, 7, v61
	s_delay_alu instid0(VALU_DEP_2) | instskip(NEXT) | instid1(VALU_DEP_2)
	v_cmp_eq_u32_e32 vcc_lo, 0, v58
	v_dual_cndmask_b32 v58, v58, v60 :: v_dual_cndmask_b32 v59, v59, v61
	v_and_b32_e32 v60, 0x80000000, v62
	s_delay_alu instid0(VALU_DEP_2) | instskip(NEXT) | instid1(VALU_DEP_3)
	v_lshl_add_u32 v58, v58, 23, 0x3b800000
	v_lshlrev_b32_e32 v59, 20, v59
	s_delay_alu instid0(VALU_DEP_1)
	v_or3_b32 v58, v60, v58, v59
.LBB6_896:                              ;   in Loop: Header=BB6_394 Depth=4
	s_or_b32 exec_lo, exec_lo, s36
	s_delay_alu instid0(VALU_DEP_1) | instskip(SKIP_1) | instid1(VALU_DEP_1)
	v_dual_max_f32 v58, v58, v58 :: v_dual_max_f32 v57, v57, v57
	s_mov_b32 s13, 0
	v_max_f32_e32 v57, v57, v58
	s_branch .LBB6_898
.LBB6_897:                              ;   in Loop: Header=BB6_394 Depth=4
	s_mov_b32 s13, -1
                                        ; implicit-def: $vgpr57
.LBB6_898:                              ;   in Loop: Header=BB6_394 Depth=4
	s_delay_alu instid0(SALU_CYCLE_1)
	s_and_b32 vcc_lo, exec_lo, s13
	s_cbranch_vccz .LBB6_908
; %bb.899:                              ;   in Loop: Header=BB6_394 Depth=4
	s_mov_b32 s13, 0
	s_mov_b32 s37, exec_lo
                                        ; implicit-def: $sgpr36
	v_cmpx_lt_i16_e32 0x7f, v56
	s_xor_b32 s37, exec_lo, s37
	s_cbranch_execnz .LBB6_2528
; %bb.900:                              ;   in Loop: Header=BB6_394 Depth=4
	s_or_saveexec_b32 s37, s37
	v_mov_b32_e32 v57, s36
	s_xor_b32 exec_lo, exec_lo, s37
	s_cbranch_execnz .LBB6_2531
.LBB6_901:                              ;   in Loop: Header=BB6_394 Depth=4
	s_or_b32 exec_lo, exec_lo, s37
	s_and_saveexec_b32 s36, s13
	s_cbranch_execz .LBB6_903
.LBB6_902:                              ;   in Loop: Header=BB6_394 Depth=4
	v_and_b32_e32 v56, 0xffff, v56
	v_lshlrev_b32_e32 v60, 16, v32
	s_delay_alu instid0(VALU_DEP_2) | instskip(NEXT) | instid1(VALU_DEP_1)
	v_and_b32_e32 v57, 7, v56
	v_clz_i32_u32_e32 v58, v57
	s_delay_alu instid0(VALU_DEP_1) | instskip(NEXT) | instid1(VALU_DEP_1)
	v_min_u32_e32 v58, 32, v58
	v_subrev_nc_u32_e32 v59, 28, v58
	v_sub_nc_u32_e32 v58, 29, v58
	s_delay_alu instid0(VALU_DEP_2) | instskip(SKIP_1) | instid1(VALU_DEP_2)
	v_lshlrev_b32_e32 v59, v59, v56
	v_bfe_u32 v56, v56, 3, 4
	v_and_b32_e32 v59, 7, v59
	s_delay_alu instid0(VALU_DEP_2) | instskip(NEXT) | instid1(VALU_DEP_2)
	v_cmp_eq_u32_e32 vcc_lo, 0, v56
	v_dual_cndmask_b32 v56, v56, v58 :: v_dual_cndmask_b32 v57, v57, v59
	v_and_b32_e32 v58, 0x80000000, v60
	s_delay_alu instid0(VALU_DEP_2) | instskip(NEXT) | instid1(VALU_DEP_3)
	v_lshl_add_u32 v56, v56, 23, 0x3b800000
	v_lshlrev_b32_e32 v57, 20, v57
	s_delay_alu instid0(VALU_DEP_1)
	v_or3_b32 v57, v58, v56, v57
.LBB6_903:                              ;   in Loop: Header=BB6_394 Depth=4
	s_or_b32 exec_lo, exec_lo, s36
	s_mov_b32 s13, 0
	s_mov_b32 s37, exec_lo
                                        ; implicit-def: $sgpr36
	v_cmpx_lt_i16_e32 0x7f, v47
	s_xor_b32 s37, exec_lo, s37
	s_cbranch_execnz .LBB6_2532
; %bb.904:                              ;   in Loop: Header=BB6_394 Depth=4
	s_or_saveexec_b32 s37, s37
	v_mov_b32_e32 v56, s36
	s_xor_b32 exec_lo, exec_lo, s37
	s_cbranch_execnz .LBB6_2535
.LBB6_905:                              ;   in Loop: Header=BB6_394 Depth=4
	s_or_b32 exec_lo, exec_lo, s37
	s_and_saveexec_b32 s36, s13
	s_cbranch_execz .LBB6_907
.LBB6_906:                              ;   in Loop: Header=BB6_394 Depth=4
	v_and_b32_e32 v47, 0xffff, v47
	v_lshlrev_b32_e32 v60, 16, v24
	s_delay_alu instid0(VALU_DEP_2) | instskip(NEXT) | instid1(VALU_DEP_1)
	v_and_b32_e32 v56, 7, v47
	v_clz_i32_u32_e32 v58, v56
	s_delay_alu instid0(VALU_DEP_1) | instskip(NEXT) | instid1(VALU_DEP_1)
	v_min_u32_e32 v58, 32, v58
	v_subrev_nc_u32_e32 v59, 28, v58
	v_sub_nc_u32_e32 v58, 29, v58
	s_delay_alu instid0(VALU_DEP_2) | instskip(SKIP_1) | instid1(VALU_DEP_2)
	v_lshlrev_b32_e32 v59, v59, v47
	v_bfe_u32 v47, v47, 3, 4
	v_and_b32_e32 v59, 7, v59
	s_delay_alu instid0(VALU_DEP_2) | instskip(NEXT) | instid1(VALU_DEP_2)
	v_cmp_eq_u32_e32 vcc_lo, 0, v47
	v_dual_cndmask_b32 v47, v47, v58 :: v_dual_cndmask_b32 v56, v56, v59
	v_and_b32_e32 v58, 0x80000000, v60
	s_delay_alu instid0(VALU_DEP_2) | instskip(NEXT) | instid1(VALU_DEP_3)
	v_lshl_add_u32 v47, v47, 23, 0x3b800000
	v_lshlrev_b32_e32 v56, 20, v56
	s_delay_alu instid0(VALU_DEP_1)
	v_or3_b32 v56, v58, v47, v56
.LBB6_907:                              ;   in Loop: Header=BB6_394 Depth=4
	s_or_b32 exec_lo, exec_lo, s36
	s_delay_alu instid0(VALU_DEP_1) | instskip(NEXT) | instid1(VALU_DEP_1)
	v_dual_max_f32 v47, v56, v56 :: v_dual_max_f32 v56, v57, v57
	v_min_f32_e32 v57, v56, v47
.LBB6_908:                              ;   in Loop: Header=BB6_394 Depth=4
	s_delay_alu instid0(VALU_DEP_1) | instskip(NEXT) | instid1(VALU_DEP_1)
	v_and_b32_e32 v47, 0x7f800000, v57
	v_cmp_ne_u32_e32 vcc_lo, 0x7f800000, v47
	v_mov_b32_e32 v47, 0x80
	s_and_saveexec_b32 s36, vcc_lo
	s_cbranch_execz .LBB6_916
; %bb.909:                              ;   in Loop: Header=BB6_394 Depth=4
	v_mov_b32_e32 v47, 0
	s_mov_b32 s37, exec_lo
	v_cmpx_ne_u32_e32 0, v57
	s_cbranch_execz .LBB6_915
; %bb.910:                              ;   in Loop: Header=BB6_394 Depth=4
	v_bfe_u32 v47, v57, 23, 8
	v_and_b32_e32 v56, 0x7fffff, v57
	s_delay_alu instid0(VALU_DEP_2) | instskip(SKIP_1) | instid1(VALU_DEP_3)
	v_sub_nc_u32_e32 v58, 0x78, v47
	v_cmp_gt_u32_e32 vcc_lo, 0x79, v47
	v_or_b32_e32 v59, 0x800000, v56
	s_delay_alu instid0(VALU_DEP_3) | instskip(SKIP_2) | instid1(VALU_DEP_3)
	v_cndmask_b32_e32 v58, 0, v58, vcc_lo
	v_cmp_eq_u32_e32 vcc_lo, 0, v47
	v_add_nc_u32_e32 v47, 0xffffff89, v47
	v_cndmask_b32_e64 v58, v58, 0x77, vcc_lo
	v_cndmask_b32_e32 v56, v59, v56, vcc_lo
	s_delay_alu instid0(VALU_DEP_3) | instskip(NEXT) | instid1(VALU_DEP_3)
	v_cndmask_b32_e64 v47, v47, 0xffffff8a, vcc_lo
	v_lshl_add_u32 v59, 0x100000, v58, -1
	s_delay_alu instid0(VALU_DEP_3) | instskip(SKIP_1) | instid1(VALU_DEP_4)
	v_lshrrev_b32_e32 v60, v58, v56
	v_lshlrev_b32_e64 v62, v58, 0x80000
	v_add_nc_u32_e32 v58, v58, v47
	s_delay_alu instid0(VALU_DEP_4) | instskip(NEXT) | instid1(VALU_DEP_4)
	v_and_b32_e32 v56, v59, v56
	v_bfe_u32 v61, v60, 20, 1
	s_delay_alu instid0(VALU_DEP_2) | instskip(NEXT) | instid1(VALU_DEP_2)
	v_cmp_eq_u32_e64 s13, v56, v62
	v_add_nc_u32_e32 v59, -1, v61
	s_delay_alu instid0(VALU_DEP_1) | instskip(SKIP_2) | instid1(VALU_DEP_2)
	v_cndmask_b32_e64 v56, 0, v59, s13
	v_lshrrev_b32_e32 v59, 23, v60
	s_mov_b32 s13, exec_lo
	v_add_nc_u32_e32 v56, v56, v60
	s_delay_alu instid0(VALU_DEP_2) | instskip(NEXT) | instid1(VALU_DEP_2)
	v_xor_b32_e32 v59, 1, v59
	v_and_b32_e32 v47, 0xfffff, v56
	s_delay_alu instid0(VALU_DEP_1) | instskip(NEXT) | instid1(VALU_DEP_3)
	v_add_nc_u32_e32 v56, v47, v60
                                        ; implicit-def: $vgpr47
	v_cmpx_ne_u32_e64 v58, v59
	s_xor_b32 s13, exec_lo, s13
; %bb.911:                              ;   in Loop: Header=BB6_394 Depth=4
	s_delay_alu instid0(VALU_DEP_2) | instskip(SKIP_2) | instid1(VALU_DEP_2)
	v_cmp_lt_u32_e32 vcc_lo, 0xffffff, v56
	v_sub_nc_u32_e32 v47, v58, v59
	v_cndmask_b32_e64 v58, 0, 1, vcc_lo
	v_add_co_ci_u32_e32 v47, vcc_lo, 0, v47, vcc_lo
	s_delay_alu instid0(VALU_DEP_2)
	v_lshrrev_b32_e32 v56, v58, v56
; %bb.912:                              ;   in Loop: Header=BB6_394 Depth=4
	s_and_not1_saveexec_b32 s13, s13
; %bb.913:                              ;   in Loop: Header=BB6_394 Depth=4
	s_delay_alu instid0(VALU_DEP_1)
	v_bfe_u32 v47, v56, 23, 1
; %bb.914:                              ;   in Loop: Header=BB6_394 Depth=4
	s_or_b32 exec_lo, exec_lo, s13
	v_lshrrev_b32_e32 v56, 20, v56
	s_delay_alu instid0(VALU_DEP_2) | instskip(SKIP_2) | instid1(VALU_DEP_2)
	v_cmp_gt_i32_e32 vcc_lo, 16, v47
	v_lshrrev_b32_e32 v57, 24, v57
	v_min_i32_e32 v58, 15, v47
	v_dual_cndmask_b32 v56, 7, v56 :: v_dual_and_b32 v57, 0x80, v57
	s_delay_alu instid0(VALU_DEP_1) | instskip(SKIP_1) | instid1(VALU_DEP_2)
	v_or_b32_e32 v47, v47, v56
	v_and_b32_e32 v59, 7, v56
	v_cmp_ne_u32_e32 vcc_lo, 0, v47
	v_lshlrev_b32_e32 v58, 3, v58
	s_delay_alu instid0(VALU_DEP_1) | instskip(NEXT) | instid1(VALU_DEP_1)
	v_or3_b32 v56, v58, v57, v59
	v_cndmask_b32_e32 v47, 0, v56, vcc_lo
.LBB6_915:                              ;   in Loop: Header=BB6_394 Depth=4
	s_or_b32 exec_lo, exec_lo, s37
.LBB6_916:                              ;   in Loop: Header=BB6_394 Depth=4
	s_delay_alu instid0(SALU_CYCLE_1) | instskip(SKIP_3) | instid1(VALU_DEP_2)
	s_or_b32 exec_lo, exec_lo, s36
	v_lshrrev_b32_e32 v57, 16, v32
	v_lshrrev_b32_e32 v56, 16, v24
	s_and_not1_b32 vcc_lo, exec_lo, s35
	v_and_b32_e32 v58, 0xff, v57
	s_delay_alu instid0(VALU_DEP_1)
	v_cmp_lt_i16_e64 s13, 0x7f, v58
	s_cbranch_vccnz .LBB6_926
; %bb.917:                              ;   in Loop: Header=BB6_394 Depth=4
	s_mov_b32 s36, 0
                                        ; implicit-def: $sgpr37
	s_delay_alu instid0(VALU_DEP_1) | instskip(NEXT) | instid1(SALU_CYCLE_1)
	s_and_saveexec_b32 vcc_lo, s13
	s_xor_b32 s13, exec_lo, vcc_lo
	s_cbranch_execnz .LBB6_2536
; %bb.918:                              ;   in Loop: Header=BB6_394 Depth=4
	s_or_saveexec_b32 s13, s13
	v_mov_b32_e32 v59, s37
	s_xor_b32 exec_lo, exec_lo, s13
	s_cbranch_execnz .LBB6_2539
.LBB6_919:                              ;   in Loop: Header=BB6_394 Depth=4
	s_or_b32 exec_lo, exec_lo, s13
	s_and_saveexec_b32 s13, s36
	s_cbranch_execz .LBB6_921
.LBB6_920:                              ;   in Loop: Header=BB6_394 Depth=4
	v_bfe_u32 v59, v32, 16, 3
	v_bfe_u32 v62, v32, 19, 4
	v_lshlrev_b32_e32 v63, 24, v57
	s_delay_alu instid0(VALU_DEP_3) | instskip(NEXT) | instid1(VALU_DEP_3)
	v_clz_i32_u32_e32 v60, v59
	v_cmp_eq_u32_e32 vcc_lo, 0, v62
	s_delay_alu instid0(VALU_DEP_2) | instskip(NEXT) | instid1(VALU_DEP_1)
	v_min_u32_e32 v60, 32, v60
	v_subrev_nc_u32_e32 v61, 28, v60
	v_sub_nc_u32_e32 v60, 29, v60
	s_delay_alu instid0(VALU_DEP_1) | instskip(NEXT) | instid1(VALU_DEP_1)
	v_dual_cndmask_b32 v60, v62, v60 :: v_dual_lshlrev_b32 v61, v61, v57
	v_and_b32_e32 v61, 7, v61
	s_delay_alu instid0(VALU_DEP_2) | instskip(NEXT) | instid1(VALU_DEP_2)
	v_lshl_add_u32 v60, v60, 23, 0x3b800000
	v_cndmask_b32_e32 v59, v59, v61, vcc_lo
	v_and_b32_e32 v61, 0x80000000, v63
	s_delay_alu instid0(VALU_DEP_2) | instskip(NEXT) | instid1(VALU_DEP_1)
	v_lshlrev_b32_e32 v59, 20, v59
	v_or3_b32 v59, v61, v60, v59
.LBB6_921:                              ;   in Loop: Header=BB6_394 Depth=4
	s_or_b32 exec_lo, exec_lo, s13
	v_and_b32_e32 v61, 0xff, v56
	s_mov_b32 s13, 0
	s_mov_b32 s37, exec_lo
                                        ; implicit-def: $sgpr36
	s_delay_alu instid0(VALU_DEP_1)
	v_cmpx_lt_i16_e32 0x7f, v61
	s_xor_b32 s37, exec_lo, s37
	s_cbranch_execnz .LBB6_2540
; %bb.922:                              ;   in Loop: Header=BB6_394 Depth=4
	s_or_saveexec_b32 s37, s37
	v_mov_b32_e32 v60, s36
	s_xor_b32 exec_lo, exec_lo, s37
	s_cbranch_execnz .LBB6_2543
.LBB6_923:                              ;   in Loop: Header=BB6_394 Depth=4
	s_or_b32 exec_lo, exec_lo, s37
	s_and_saveexec_b32 s36, s13
	s_cbranch_execz .LBB6_925
.LBB6_924:                              ;   in Loop: Header=BB6_394 Depth=4
	v_bfe_u32 v60, v24, 16, 3
	v_bfe_u32 v63, v24, 19, 4
	v_lshlrev_b32_e32 v72, 24, v56
	s_delay_alu instid0(VALU_DEP_3) | instskip(NEXT) | instid1(VALU_DEP_3)
	v_clz_i32_u32_e32 v61, v60
	v_cmp_eq_u32_e32 vcc_lo, 0, v63
	s_delay_alu instid0(VALU_DEP_2) | instskip(NEXT) | instid1(VALU_DEP_1)
	v_min_u32_e32 v61, 32, v61
	v_subrev_nc_u32_e32 v62, 28, v61
	v_sub_nc_u32_e32 v61, 29, v61
	s_delay_alu instid0(VALU_DEP_1) | instskip(NEXT) | instid1(VALU_DEP_1)
	v_dual_cndmask_b32 v61, v63, v61 :: v_dual_lshlrev_b32 v62, v62, v56
	v_and_b32_e32 v62, 7, v62
	s_delay_alu instid0(VALU_DEP_2) | instskip(NEXT) | instid1(VALU_DEP_2)
	v_lshl_add_u32 v61, v61, 23, 0x3b800000
	v_cndmask_b32_e32 v60, v60, v62, vcc_lo
	v_and_b32_e32 v62, 0x80000000, v72
	s_delay_alu instid0(VALU_DEP_2) | instskip(NEXT) | instid1(VALU_DEP_1)
	v_lshlrev_b32_e32 v60, 20, v60
	v_or3_b32 v60, v62, v61, v60
.LBB6_925:                              ;   in Loop: Header=BB6_394 Depth=4
	s_or_b32 exec_lo, exec_lo, s36
	s_delay_alu instid0(VALU_DEP_1) | instskip(SKIP_1) | instid1(VALU_DEP_1)
	v_dual_max_f32 v60, v60, v60 :: v_dual_max_f32 v59, v59, v59
	s_mov_b32 s13, 0
	v_max_f32_e32 v59, v59, v60
	s_branch .LBB6_927
.LBB6_926:                              ;   in Loop: Header=BB6_394 Depth=4
	s_mov_b32 s13, -1
                                        ; implicit-def: $vgpr59
.LBB6_927:                              ;   in Loop: Header=BB6_394 Depth=4
	s_delay_alu instid0(SALU_CYCLE_1)
	s_and_b32 vcc_lo, exec_lo, s13
	s_cbranch_vccz .LBB6_937
; %bb.928:                              ;   in Loop: Header=BB6_394 Depth=4
	s_mov_b32 s13, 0
	s_mov_b32 s37, exec_lo
                                        ; implicit-def: $sgpr36
	v_cmpx_lt_i16_e32 0x7f, v58
	s_xor_b32 s37, exec_lo, s37
	s_cbranch_execnz .LBB6_2544
; %bb.929:                              ;   in Loop: Header=BB6_394 Depth=4
	s_or_saveexec_b32 s37, s37
	v_mov_b32_e32 v59, s36
	s_xor_b32 exec_lo, exec_lo, s37
	s_cbranch_execnz .LBB6_2547
.LBB6_930:                              ;   in Loop: Header=BB6_394 Depth=4
	s_or_b32 exec_lo, exec_lo, s37
	s_and_saveexec_b32 s36, s13
	s_cbranch_execz .LBB6_932
.LBB6_931:                              ;   in Loop: Header=BB6_394 Depth=4
	v_bfe_u32 v58, v32, 16, 3
	v_bfe_u32 v61, v32, 19, 4
	s_delay_alu instid0(VALU_DEP_2) | instskip(NEXT) | instid1(VALU_DEP_2)
	v_clz_i32_u32_e32 v59, v58
	v_cmp_eq_u32_e32 vcc_lo, 0, v61
	s_delay_alu instid0(VALU_DEP_2) | instskip(NEXT) | instid1(VALU_DEP_1)
	v_min_u32_e32 v59, 32, v59
	v_subrev_nc_u32_e32 v60, 28, v59
	v_sub_nc_u32_e32 v59, 29, v59
	s_delay_alu instid0(VALU_DEP_1) | instskip(NEXT) | instid1(VALU_DEP_1)
	v_dual_cndmask_b32 v59, v61, v59 :: v_dual_lshlrev_b32 v60, v60, v57
	v_and_b32_e32 v60, 7, v60
	v_lshlrev_b32_e32 v57, 24, v57
	s_delay_alu instid0(VALU_DEP_3) | instskip(NEXT) | instid1(VALU_DEP_2)
	v_lshl_add_u32 v59, v59, 23, 0x3b800000
	v_dual_cndmask_b32 v58, v58, v60 :: v_dual_and_b32 v57, 0x80000000, v57
	s_delay_alu instid0(VALU_DEP_1) | instskip(NEXT) | instid1(VALU_DEP_1)
	v_lshlrev_b32_e32 v58, 20, v58
	v_or3_b32 v59, v57, v59, v58
.LBB6_932:                              ;   in Loop: Header=BB6_394 Depth=4
	s_or_b32 exec_lo, exec_lo, s36
	v_and_b32_e32 v58, 0xff, v56
	s_mov_b32 s13, 0
	s_mov_b32 s37, exec_lo
                                        ; implicit-def: $sgpr36
	s_delay_alu instid0(VALU_DEP_1)
	v_cmpx_lt_i16_e32 0x7f, v58
	s_xor_b32 s37, exec_lo, s37
	s_cbranch_execnz .LBB6_2548
; %bb.933:                              ;   in Loop: Header=BB6_394 Depth=4
	s_or_saveexec_b32 s37, s37
	v_mov_b32_e32 v57, s36
	s_xor_b32 exec_lo, exec_lo, s37
	s_cbranch_execnz .LBB6_2551
.LBB6_934:                              ;   in Loop: Header=BB6_394 Depth=4
	s_or_b32 exec_lo, exec_lo, s37
	s_and_saveexec_b32 s36, s13
	s_cbranch_execz .LBB6_936
.LBB6_935:                              ;   in Loop: Header=BB6_394 Depth=4
	v_bfe_u32 v57, v24, 16, 3
	v_bfe_u32 v61, v24, 19, 4
	s_delay_alu instid0(VALU_DEP_2) | instskip(NEXT) | instid1(VALU_DEP_2)
	v_clz_i32_u32_e32 v58, v57
	v_cmp_eq_u32_e32 vcc_lo, 0, v61
	s_delay_alu instid0(VALU_DEP_2) | instskip(NEXT) | instid1(VALU_DEP_1)
	v_min_u32_e32 v58, 32, v58
	v_subrev_nc_u32_e32 v60, 28, v58
	v_sub_nc_u32_e32 v58, 29, v58
	s_delay_alu instid0(VALU_DEP_2) | instskip(SKIP_1) | instid1(VALU_DEP_2)
	v_lshlrev_b32_e32 v60, v60, v56
	v_lshlrev_b32_e32 v56, 24, v56
	v_and_b32_e32 v60, 7, v60
	s_delay_alu instid0(VALU_DEP_2) | instskip(NEXT) | instid1(VALU_DEP_2)
	v_and_b32_e32 v56, 0x80000000, v56
	v_cndmask_b32_e32 v57, v57, v60, vcc_lo
	s_delay_alu instid0(VALU_DEP_1) | instskip(NEXT) | instid1(VALU_DEP_1)
	v_dual_cndmask_b32 v58, v61, v58 :: v_dual_lshlrev_b32 v57, 20, v57
	v_lshl_add_u32 v58, v58, 23, 0x3b800000
	s_delay_alu instid0(VALU_DEP_1)
	v_or3_b32 v57, v56, v58, v57
.LBB6_936:                              ;   in Loop: Header=BB6_394 Depth=4
	s_or_b32 exec_lo, exec_lo, s36
	s_delay_alu instid0(VALU_DEP_1) | instskip(NEXT) | instid1(VALU_DEP_1)
	v_dual_max_f32 v56, v57, v57 :: v_dual_max_f32 v57, v59, v59
	v_min_f32_e32 v59, v57, v56
.LBB6_937:                              ;   in Loop: Header=BB6_394 Depth=4
	s_delay_alu instid0(VALU_DEP_1) | instskip(NEXT) | instid1(VALU_DEP_1)
	v_and_b32_e32 v56, 0x7f800000, v59
	v_cmp_ne_u32_e32 vcc_lo, 0x7f800000, v56
	v_mov_b32_e32 v56, 0x80
	s_and_saveexec_b32 s36, vcc_lo
	s_cbranch_execz .LBB6_945
; %bb.938:                              ;   in Loop: Header=BB6_394 Depth=4
	v_mov_b32_e32 v56, 0
	s_mov_b32 s37, exec_lo
	v_cmpx_ne_u32_e32 0, v59
	s_cbranch_execz .LBB6_944
; %bb.939:                              ;   in Loop: Header=BB6_394 Depth=4
	v_bfe_u32 v56, v59, 23, 8
	s_delay_alu instid0(VALU_DEP_1) | instskip(SKIP_1) | instid1(VALU_DEP_2)
	v_sub_nc_u32_e32 v58, 0x78, v56
	v_cmp_gt_u32_e32 vcc_lo, 0x79, v56
	v_dual_cndmask_b32 v58, 0, v58 :: v_dual_and_b32 v57, 0x7fffff, v59
	s_delay_alu instid0(VALU_DEP_1) | instskip(SKIP_2) | instid1(VALU_DEP_4)
	v_or_b32_e32 v60, 0x800000, v57
	v_cmp_eq_u32_e32 vcc_lo, 0, v56
	v_add_nc_u32_e32 v56, 0xffffff89, v56
	v_cndmask_b32_e64 v58, v58, 0x77, vcc_lo
	s_delay_alu instid0(VALU_DEP_4) | instskip(NEXT) | instid1(VALU_DEP_3)
	v_cndmask_b32_e32 v57, v60, v57, vcc_lo
	v_cndmask_b32_e64 v56, v56, 0xffffff8a, vcc_lo
	s_delay_alu instid0(VALU_DEP_3) | instskip(NEXT) | instid1(VALU_DEP_3)
	v_lshl_add_u32 v60, 0x100000, v58, -1
	v_lshrrev_b32_e32 v61, v58, v57
	v_lshlrev_b32_e64 v63, v58, 0x80000
	s_delay_alu instid0(VALU_DEP_4) | instskip(NEXT) | instid1(VALU_DEP_4)
	v_add_nc_u32_e32 v58, v58, v56
	v_and_b32_e32 v57, v60, v57
	s_delay_alu instid0(VALU_DEP_4) | instskip(NEXT) | instid1(VALU_DEP_2)
	v_bfe_u32 v62, v61, 20, 1
	v_cmp_eq_u32_e64 s13, v57, v63
	s_delay_alu instid0(VALU_DEP_2) | instskip(NEXT) | instid1(VALU_DEP_1)
	v_add_nc_u32_e32 v60, -1, v62
	v_cndmask_b32_e64 v57, 0, v60, s13
	v_lshrrev_b32_e32 v60, 23, v61
	s_mov_b32 s13, exec_lo
	s_delay_alu instid0(VALU_DEP_2) | instskip(NEXT) | instid1(VALU_DEP_2)
	v_add_nc_u32_e32 v57, v57, v61
	v_xor_b32_e32 v60, 1, v60
	s_delay_alu instid0(VALU_DEP_2) | instskip(NEXT) | instid1(VALU_DEP_1)
	v_and_b32_e32 v56, 0xfffff, v57
	v_add_nc_u32_e32 v57, v56, v61
                                        ; implicit-def: $vgpr56
	s_delay_alu instid0(VALU_DEP_3)
	v_cmpx_ne_u32_e64 v58, v60
	s_xor_b32 s13, exec_lo, s13
; %bb.940:                              ;   in Loop: Header=BB6_394 Depth=4
	s_delay_alu instid0(VALU_DEP_2) | instskip(SKIP_2) | instid1(VALU_DEP_2)
	v_cmp_lt_u32_e32 vcc_lo, 0xffffff, v57
	v_sub_nc_u32_e32 v56, v58, v60
	v_cndmask_b32_e64 v58, 0, 1, vcc_lo
	v_add_co_ci_u32_e32 v56, vcc_lo, 0, v56, vcc_lo
	s_delay_alu instid0(VALU_DEP_2)
	v_lshrrev_b32_e32 v57, v58, v57
; %bb.941:                              ;   in Loop: Header=BB6_394 Depth=4
	s_and_not1_saveexec_b32 s13, s13
; %bb.942:                              ;   in Loop: Header=BB6_394 Depth=4
	s_delay_alu instid0(VALU_DEP_1)
	v_bfe_u32 v56, v57, 23, 1
; %bb.943:                              ;   in Loop: Header=BB6_394 Depth=4
	s_or_b32 exec_lo, exec_lo, s13
	v_lshrrev_b32_e32 v57, 20, v57
	s_delay_alu instid0(VALU_DEP_2) | instskip(SKIP_2) | instid1(VALU_DEP_2)
	v_cmp_gt_i32_e32 vcc_lo, 16, v56
	v_lshrrev_b32_e32 v58, 24, v59
	v_min_i32_e32 v59, 15, v56
	v_dual_cndmask_b32 v57, 7, v57 :: v_dual_and_b32 v58, 0x80, v58
	s_delay_alu instid0(VALU_DEP_1) | instskip(SKIP_1) | instid1(VALU_DEP_2)
	v_or_b32_e32 v56, v56, v57
	v_and_b32_e32 v60, 7, v57
	v_cmp_ne_u32_e32 vcc_lo, 0, v56
	v_lshlrev_b32_e32 v59, 3, v59
	s_delay_alu instid0(VALU_DEP_1) | instskip(NEXT) | instid1(VALU_DEP_1)
	v_or3_b32 v57, v59, v58, v60
	v_cndmask_b32_e32 v56, 0, v57, vcc_lo
.LBB6_944:                              ;   in Loop: Header=BB6_394 Depth=4
	s_or_b32 exec_lo, exec_lo, s37
.LBB6_945:                              ;   in Loop: Header=BB6_394 Depth=4
	s_delay_alu instid0(SALU_CYCLE_1) | instskip(SKIP_3) | instid1(VALU_DEP_2)
	s_or_b32 exec_lo, exec_lo, s36
	v_lshrrev_b32_e32 v58, 24, v32
	v_lshrrev_b32_e32 v57, 24, v24
	s_and_not1_b32 vcc_lo, exec_lo, s35
	v_cmp_lt_i16_e64 s13, 0x7f, v58
	s_cbranch_vccnz .LBB6_955
; %bb.946:                              ;   in Loop: Header=BB6_394 Depth=4
	s_mov_b32 s36, 0
                                        ; implicit-def: $sgpr37
	s_delay_alu instid0(VALU_DEP_1) | instskip(NEXT) | instid1(SALU_CYCLE_1)
	s_and_saveexec_b32 vcc_lo, s13
	s_xor_b32 s13, exec_lo, vcc_lo
	s_cbranch_execnz .LBB6_2552
; %bb.947:                              ;   in Loop: Header=BB6_394 Depth=4
	s_or_saveexec_b32 s13, s13
	v_mov_b32_e32 v59, s37
	s_xor_b32 exec_lo, exec_lo, s13
	s_cbranch_execnz .LBB6_2555
.LBB6_948:                              ;   in Loop: Header=BB6_394 Depth=4
	s_or_b32 exec_lo, exec_lo, s13
	s_and_saveexec_b32 s13, s36
	s_cbranch_execz .LBB6_950
.LBB6_949:                              ;   in Loop: Header=BB6_394 Depth=4
	v_bfe_u32 v59, v32, 24, 3
	v_bfe_u32 v62, v32, 27, 4
	s_delay_alu instid0(VALU_DEP_2) | instskip(NEXT) | instid1(VALU_DEP_2)
	v_clz_i32_u32_e32 v60, v59
	v_cmp_eq_u32_e32 vcc_lo, 0, v62
	s_delay_alu instid0(VALU_DEP_2) | instskip(NEXT) | instid1(VALU_DEP_1)
	v_min_u32_e32 v60, 32, v60
	v_subrev_nc_u32_e32 v61, 28, v60
	v_sub_nc_u32_e32 v60, 29, v60
	s_delay_alu instid0(VALU_DEP_1) | instskip(NEXT) | instid1(VALU_DEP_1)
	v_dual_cndmask_b32 v60, v62, v60 :: v_dual_lshlrev_b32 v61, v61, v58
	v_and_b32_e32 v61, 7, v61
	s_delay_alu instid0(VALU_DEP_2) | instskip(NEXT) | instid1(VALU_DEP_2)
	v_lshl_add_u32 v60, v60, 23, 0x3b800000
	v_cndmask_b32_e32 v59, v59, v61, vcc_lo
	v_and_b32_e32 v61, 0x80000000, v32
	s_delay_alu instid0(VALU_DEP_2) | instskip(NEXT) | instid1(VALU_DEP_1)
	v_lshlrev_b32_e32 v59, 20, v59
	v_or3_b32 v59, v61, v60, v59
.LBB6_950:                              ;   in Loop: Header=BB6_394 Depth=4
	s_or_b32 exec_lo, exec_lo, s13
	s_mov_b32 s13, 0
	s_mov_b32 s37, exec_lo
                                        ; implicit-def: $sgpr36
	v_cmpx_lt_i16_e32 0x7f, v57
	s_xor_b32 s37, exec_lo, s37
	s_cbranch_execnz .LBB6_2556
; %bb.951:                              ;   in Loop: Header=BB6_394 Depth=4
	s_or_saveexec_b32 s37, s37
	v_mov_b32_e32 v60, s36
	s_xor_b32 exec_lo, exec_lo, s37
	s_cbranch_execnz .LBB6_2559
.LBB6_952:                              ;   in Loop: Header=BB6_394 Depth=4
	s_or_b32 exec_lo, exec_lo, s37
	s_and_saveexec_b32 s36, s13
	s_cbranch_execz .LBB6_954
.LBB6_953:                              ;   in Loop: Header=BB6_394 Depth=4
	v_bfe_u32 v60, v24, 24, 3
	v_bfe_u32 v63, v24, 27, 4
	s_delay_alu instid0(VALU_DEP_2) | instskip(NEXT) | instid1(VALU_DEP_2)
	v_clz_i32_u32_e32 v61, v60
	v_cmp_eq_u32_e32 vcc_lo, 0, v63
	s_delay_alu instid0(VALU_DEP_2) | instskip(NEXT) | instid1(VALU_DEP_1)
	v_min_u32_e32 v61, 32, v61
	v_subrev_nc_u32_e32 v62, 28, v61
	v_sub_nc_u32_e32 v61, 29, v61
	s_delay_alu instid0(VALU_DEP_2) | instskip(NEXT) | instid1(VALU_DEP_1)
	v_lshlrev_b32_e32 v62, v62, v57
	v_dual_cndmask_b32 v61, v63, v61 :: v_dual_and_b32 v62, 7, v62
	s_delay_alu instid0(VALU_DEP_1) | instskip(NEXT) | instid1(VALU_DEP_2)
	v_lshl_add_u32 v61, v61, 23, 0x3b800000
	v_cndmask_b32_e32 v60, v60, v62, vcc_lo
	v_and_b32_e32 v62, 0x80000000, v24
	s_delay_alu instid0(VALU_DEP_2) | instskip(NEXT) | instid1(VALU_DEP_1)
	v_lshlrev_b32_e32 v60, 20, v60
	v_or3_b32 v60, v62, v61, v60
.LBB6_954:                              ;   in Loop: Header=BB6_394 Depth=4
	s_or_b32 exec_lo, exec_lo, s36
	s_delay_alu instid0(VALU_DEP_1) | instskip(SKIP_1) | instid1(VALU_DEP_1)
	v_dual_max_f32 v60, v60, v60 :: v_dual_max_f32 v59, v59, v59
	s_mov_b32 s13, 0
	v_max_f32_e32 v59, v59, v60
	s_branch .LBB6_956
.LBB6_955:                              ;   in Loop: Header=BB6_394 Depth=4
	s_mov_b32 s13, -1
                                        ; implicit-def: $vgpr59
.LBB6_956:                              ;   in Loop: Header=BB6_394 Depth=4
	s_delay_alu instid0(SALU_CYCLE_1)
	s_and_b32 vcc_lo, exec_lo, s13
	s_cbranch_vccz .LBB6_966
; %bb.957:                              ;   in Loop: Header=BB6_394 Depth=4
	s_mov_b32 s13, 0
	s_mov_b32 s37, exec_lo
                                        ; implicit-def: $sgpr36
	v_cmpx_lt_i16_e32 0x7f, v58
	s_xor_b32 s37, exec_lo, s37
	s_cbranch_execnz .LBB6_2560
; %bb.958:                              ;   in Loop: Header=BB6_394 Depth=4
	s_or_saveexec_b32 s37, s37
	v_mov_b32_e32 v59, s36
	s_xor_b32 exec_lo, exec_lo, s37
	s_cbranch_execnz .LBB6_2563
.LBB6_959:                              ;   in Loop: Header=BB6_394 Depth=4
	s_or_b32 exec_lo, exec_lo, s37
	s_and_saveexec_b32 s36, s13
	s_cbranch_execz .LBB6_961
.LBB6_960:                              ;   in Loop: Header=BB6_394 Depth=4
	v_bfe_u32 v59, v32, 24, 3
	s_delay_alu instid0(VALU_DEP_1) | instskip(NEXT) | instid1(VALU_DEP_1)
	v_clz_i32_u32_e32 v60, v59
	v_min_u32_e32 v60, 32, v60
	s_delay_alu instid0(VALU_DEP_1) | instskip(SKIP_1) | instid1(VALU_DEP_2)
	v_subrev_nc_u32_e32 v61, 28, v60
	v_sub_nc_u32_e32 v60, 29, v60
	v_lshlrev_b32_e32 v58, v61, v58
	v_bfe_u32 v61, v32, 27, 4
	v_and_b32_e32 v32, 0x80000000, v32
	s_delay_alu instid0(VALU_DEP_3) | instskip(NEXT) | instid1(VALU_DEP_3)
	v_and_b32_e32 v58, 7, v58
	v_cmp_eq_u32_e32 vcc_lo, 0, v61
	v_cndmask_b32_e32 v60, v61, v60, vcc_lo
	s_delay_alu instid0(VALU_DEP_3) | instskip(NEXT) | instid1(VALU_DEP_2)
	v_cndmask_b32_e32 v58, v59, v58, vcc_lo
	v_lshl_add_u32 v59, v60, 23, 0x3b800000
	s_delay_alu instid0(VALU_DEP_2) | instskip(NEXT) | instid1(VALU_DEP_1)
	v_lshlrev_b32_e32 v58, 20, v58
	v_or3_b32 v59, v32, v59, v58
.LBB6_961:                              ;   in Loop: Header=BB6_394 Depth=4
	s_or_b32 exec_lo, exec_lo, s36
	s_mov_b32 s13, 0
	s_mov_b32 s37, exec_lo
                                        ; implicit-def: $sgpr36
	v_cmpx_lt_i16_e32 0x7f, v57
	s_xor_b32 s37, exec_lo, s37
	s_cbranch_execnz .LBB6_2564
; %bb.962:                              ;   in Loop: Header=BB6_394 Depth=4
	s_or_saveexec_b32 s37, s37
	v_mov_b32_e32 v32, s36
	s_xor_b32 exec_lo, exec_lo, s37
	s_cbranch_execnz .LBB6_2567
.LBB6_963:                              ;   in Loop: Header=BB6_394 Depth=4
	s_or_b32 exec_lo, exec_lo, s37
	s_and_saveexec_b32 s36, s13
	s_cbranch_execz .LBB6_965
.LBB6_964:                              ;   in Loop: Header=BB6_394 Depth=4
	v_bfe_u32 v32, v24, 24, 3
	s_delay_alu instid0(VALU_DEP_1) | instskip(NEXT) | instid1(VALU_DEP_1)
	v_clz_i32_u32_e32 v58, v32
	v_min_u32_e32 v58, 32, v58
	s_delay_alu instid0(VALU_DEP_1) | instskip(SKIP_1) | instid1(VALU_DEP_2)
	v_subrev_nc_u32_e32 v60, 28, v58
	v_sub_nc_u32_e32 v58, 29, v58
	v_lshlrev_b32_e32 v57, v60, v57
	v_bfe_u32 v60, v24, 27, 4
	v_and_b32_e32 v24, 0x80000000, v24
	s_delay_alu instid0(VALU_DEP_2) | instskip(NEXT) | instid1(VALU_DEP_4)
	v_cmp_eq_u32_e32 vcc_lo, 0, v60
	v_dual_cndmask_b32 v58, v60, v58 :: v_dual_and_b32 v57, 7, v57
	s_delay_alu instid0(VALU_DEP_1) | instskip(NEXT) | instid1(VALU_DEP_2)
	v_cndmask_b32_e32 v32, v32, v57, vcc_lo
	v_lshl_add_u32 v57, v58, 23, 0x3b800000
	s_delay_alu instid0(VALU_DEP_2) | instskip(NEXT) | instid1(VALU_DEP_1)
	v_lshlrev_b32_e32 v32, 20, v32
	v_or3_b32 v32, v24, v57, v32
.LBB6_965:                              ;   in Loop: Header=BB6_394 Depth=4
	s_or_b32 exec_lo, exec_lo, s36
	s_delay_alu instid0(VALU_DEP_1) | instskip(SKIP_1) | instid1(VALU_DEP_1)
	v_max_f32_e32 v24, v32, v32
	v_max_f32_e32 v32, v59, v59
	v_min_f32_e32 v59, v32, v24
.LBB6_966:                              ;   in Loop: Header=BB6_394 Depth=4
	s_delay_alu instid0(VALU_DEP_1) | instskip(NEXT) | instid1(VALU_DEP_1)
	v_and_b32_e32 v24, 0x7f800000, v59
	v_cmp_ne_u32_e32 vcc_lo, 0x7f800000, v24
	v_mov_b32_e32 v24, 0x80
	s_and_saveexec_b32 s36, vcc_lo
	s_cbranch_execz .LBB6_974
; %bb.967:                              ;   in Loop: Header=BB6_394 Depth=4
	v_mov_b32_e32 v24, 0
	s_mov_b32 s37, exec_lo
	v_cmpx_ne_u32_e32 0, v59
	s_cbranch_execz .LBB6_973
; %bb.968:                              ;   in Loop: Header=BB6_394 Depth=4
	v_bfe_u32 v24, v59, 23, 8
	s_delay_alu instid0(VALU_DEP_1) | instskip(SKIP_1) | instid1(VALU_DEP_2)
	v_sub_nc_u32_e32 v57, 0x78, v24
	v_cmp_gt_u32_e32 vcc_lo, 0x79, v24
	v_dual_cndmask_b32 v57, 0, v57 :: v_dual_and_b32 v32, 0x7fffff, v59
	s_delay_alu instid0(VALU_DEP_1) | instskip(SKIP_2) | instid1(VALU_DEP_4)
	v_or_b32_e32 v58, 0x800000, v32
	v_cmp_eq_u32_e32 vcc_lo, 0, v24
	v_add_nc_u32_e32 v24, 0xffffff89, v24
	v_cndmask_b32_e64 v57, v57, 0x77, vcc_lo
	s_delay_alu instid0(VALU_DEP_4) | instskip(NEXT) | instid1(VALU_DEP_3)
	v_cndmask_b32_e32 v32, v58, v32, vcc_lo
	v_cndmask_b32_e64 v24, v24, 0xffffff8a, vcc_lo
	s_delay_alu instid0(VALU_DEP_3) | instskip(NEXT) | instid1(VALU_DEP_3)
	v_lshl_add_u32 v58, 0x100000, v57, -1
	v_lshrrev_b32_e32 v60, v57, v32
	v_lshlrev_b32_e64 v62, v57, 0x80000
	s_delay_alu instid0(VALU_DEP_4) | instskip(NEXT) | instid1(VALU_DEP_4)
	v_add_nc_u32_e32 v57, v57, v24
	v_and_b32_e32 v32, v58, v32
	s_delay_alu instid0(VALU_DEP_4) | instskip(NEXT) | instid1(VALU_DEP_2)
	v_bfe_u32 v61, v60, 20, 1
	v_cmp_eq_u32_e64 s13, v32, v62
	s_delay_alu instid0(VALU_DEP_2) | instskip(NEXT) | instid1(VALU_DEP_1)
	v_add_nc_u32_e32 v58, -1, v61
	v_cndmask_b32_e64 v32, 0, v58, s13
	v_lshrrev_b32_e32 v58, 23, v60
	s_mov_b32 s13, exec_lo
	s_delay_alu instid0(VALU_DEP_2) | instskip(NEXT) | instid1(VALU_DEP_2)
	v_add_nc_u32_e32 v32, v32, v60
	v_xor_b32_e32 v58, 1, v58
	s_delay_alu instid0(VALU_DEP_2) | instskip(NEXT) | instid1(VALU_DEP_1)
	v_and_b32_e32 v24, 0xfffff, v32
	v_add_nc_u32_e32 v32, v24, v60
                                        ; implicit-def: $vgpr24
	s_delay_alu instid0(VALU_DEP_3)
	v_cmpx_ne_u32_e64 v57, v58
	s_xor_b32 s13, exec_lo, s13
; %bb.969:                              ;   in Loop: Header=BB6_394 Depth=4
	s_delay_alu instid0(VALU_DEP_2) | instskip(SKIP_2) | instid1(VALU_DEP_2)
	v_cmp_lt_u32_e32 vcc_lo, 0xffffff, v32
	v_sub_nc_u32_e32 v24, v57, v58
	v_cndmask_b32_e64 v57, 0, 1, vcc_lo
	v_add_co_ci_u32_e32 v24, vcc_lo, 0, v24, vcc_lo
	s_delay_alu instid0(VALU_DEP_2)
	v_lshrrev_b32_e32 v32, v57, v32
; %bb.970:                              ;   in Loop: Header=BB6_394 Depth=4
	s_and_not1_saveexec_b32 s13, s13
; %bb.971:                              ;   in Loop: Header=BB6_394 Depth=4
	s_delay_alu instid0(VALU_DEP_1)
	v_bfe_u32 v24, v32, 23, 1
; %bb.972:                              ;   in Loop: Header=BB6_394 Depth=4
	s_or_b32 exec_lo, exec_lo, s13
	v_lshrrev_b32_e32 v32, 20, v32
	s_delay_alu instid0(VALU_DEP_2) | instskip(SKIP_2) | instid1(VALU_DEP_2)
	v_cmp_gt_i32_e32 vcc_lo, 16, v24
	v_lshrrev_b32_e32 v57, 24, v59
	v_min_i32_e32 v58, 15, v24
	v_dual_cndmask_b32 v32, 7, v32 :: v_dual_and_b32 v57, 0x80, v57
	s_delay_alu instid0(VALU_DEP_2) | instskip(NEXT) | instid1(VALU_DEP_2)
	v_lshlrev_b32_e32 v58, 3, v58
	v_and_b32_e32 v59, 7, v32
	v_or_b32_e32 v24, v24, v32
	s_delay_alu instid0(VALU_DEP_2) | instskip(NEXT) | instid1(VALU_DEP_2)
	v_or3_b32 v32, v58, v57, v59
	v_cmp_ne_u32_e32 vcc_lo, 0, v24
	s_delay_alu instid0(VALU_DEP_2)
	v_cndmask_b32_e32 v24, 0, v32, vcc_lo
.LBB6_973:                              ;   in Loop: Header=BB6_394 Depth=4
	s_or_b32 exec_lo, exec_lo, s37
.LBB6_974:                              ;   in Loop: Header=BB6_394 Depth=4
	s_delay_alu instid0(SALU_CYCLE_1) | instskip(SKIP_2) | instid1(VALU_DEP_1)
	s_or_b32 exec_lo, exec_lo, s36
	v_and_b32_e32 v32, 0xff, v33
	s_and_not1_b32 vcc_lo, exec_lo, s35
	v_cmp_lt_i16_e64 s13, 0x7f, v32
	s_cbranch_vccnz .LBB6_984
; %bb.975:                              ;   in Loop: Header=BB6_394 Depth=4
	s_mov_b32 s36, 0
                                        ; implicit-def: $sgpr37
	s_delay_alu instid0(VALU_DEP_1) | instskip(NEXT) | instid1(SALU_CYCLE_1)
	s_and_saveexec_b32 vcc_lo, s13
	s_xor_b32 s13, exec_lo, vcc_lo
	s_cbranch_execnz .LBB6_2568
; %bb.976:                              ;   in Loop: Header=BB6_394 Depth=4
	s_or_saveexec_b32 s13, s13
	v_mov_b32_e32 v57, s37
	s_xor_b32 exec_lo, exec_lo, s13
	s_cbranch_execnz .LBB6_2571
.LBB6_977:                              ;   in Loop: Header=BB6_394 Depth=4
	s_or_b32 exec_lo, exec_lo, s13
	s_and_saveexec_b32 s13, s36
	s_cbranch_execz .LBB6_979
.LBB6_978:                              ;   in Loop: Header=BB6_394 Depth=4
	v_bfe_u32 v60, v33, 3, 4
	v_lshlrev_b32_e32 v61, 24, v33
	s_delay_alu instid0(VALU_DEP_2) | instskip(SKIP_1) | instid1(VALU_DEP_1)
	v_cmp_eq_u32_e32 vcc_lo, 0, v60
	v_and_b32_e32 v57, 7, v33
	v_clz_i32_u32_e32 v58, v57
	s_delay_alu instid0(VALU_DEP_1) | instskip(NEXT) | instid1(VALU_DEP_1)
	v_min_u32_e32 v58, 32, v58
	v_subrev_nc_u32_e32 v59, 28, v58
	v_sub_nc_u32_e32 v58, 29, v58
	s_delay_alu instid0(VALU_DEP_1) | instskip(NEXT) | instid1(VALU_DEP_1)
	v_dual_cndmask_b32 v58, v60, v58 :: v_dual_lshlrev_b32 v59, v59, v33
	v_and_b32_e32 v59, 7, v59
	s_delay_alu instid0(VALU_DEP_2) | instskip(NEXT) | instid1(VALU_DEP_2)
	v_lshl_add_u32 v58, v58, 23, 0x3b800000
	v_cndmask_b32_e32 v57, v57, v59, vcc_lo
	v_and_b32_e32 v59, 0x80000000, v61
	s_delay_alu instid0(VALU_DEP_2) | instskip(NEXT) | instid1(VALU_DEP_1)
	v_lshlrev_b32_e32 v57, 20, v57
	v_or3_b32 v57, v59, v58, v57
.LBB6_979:                              ;   in Loop: Header=BB6_394 Depth=4
	s_or_b32 exec_lo, exec_lo, s13
	v_and_b32_e32 v59, 0xff, v25
	s_mov_b32 s13, 0
	s_mov_b32 s37, exec_lo
                                        ; implicit-def: $sgpr36
	s_delay_alu instid0(VALU_DEP_1)
	v_cmpx_lt_i16_e32 0x7f, v59
	s_xor_b32 s37, exec_lo, s37
	s_cbranch_execnz .LBB6_2572
; %bb.980:                              ;   in Loop: Header=BB6_394 Depth=4
	s_or_saveexec_b32 s37, s37
	v_mov_b32_e32 v58, s36
	s_xor_b32 exec_lo, exec_lo, s37
	s_cbranch_execnz .LBB6_2575
.LBB6_981:                              ;   in Loop: Header=BB6_394 Depth=4
	s_or_b32 exec_lo, exec_lo, s37
	s_and_saveexec_b32 s36, s13
	s_cbranch_execz .LBB6_983
.LBB6_982:                              ;   in Loop: Header=BB6_394 Depth=4
	v_bfe_u32 v61, v25, 3, 4
	v_lshlrev_b32_e32 v62, 24, v25
	s_delay_alu instid0(VALU_DEP_2) | instskip(SKIP_1) | instid1(VALU_DEP_1)
	v_cmp_eq_u32_e32 vcc_lo, 0, v61
	v_and_b32_e32 v58, 7, v25
	v_clz_i32_u32_e32 v59, v58
	s_delay_alu instid0(VALU_DEP_1) | instskip(NEXT) | instid1(VALU_DEP_1)
	v_min_u32_e32 v59, 32, v59
	v_subrev_nc_u32_e32 v60, 28, v59
	v_sub_nc_u32_e32 v59, 29, v59
	s_delay_alu instid0(VALU_DEP_1) | instskip(NEXT) | instid1(VALU_DEP_1)
	v_dual_cndmask_b32 v59, v61, v59 :: v_dual_lshlrev_b32 v60, v60, v25
	v_and_b32_e32 v60, 7, v60
	s_delay_alu instid0(VALU_DEP_2) | instskip(NEXT) | instid1(VALU_DEP_2)
	v_lshl_add_u32 v59, v59, 23, 0x3b800000
	v_cndmask_b32_e32 v58, v58, v60, vcc_lo
	v_and_b32_e32 v60, 0x80000000, v62
	s_delay_alu instid0(VALU_DEP_2) | instskip(NEXT) | instid1(VALU_DEP_1)
	v_lshlrev_b32_e32 v58, 20, v58
	v_or3_b32 v58, v60, v59, v58
.LBB6_983:                              ;   in Loop: Header=BB6_394 Depth=4
	s_or_b32 exec_lo, exec_lo, s36
	s_delay_alu instid0(VALU_DEP_1) | instskip(SKIP_1) | instid1(VALU_DEP_1)
	v_dual_max_f32 v58, v58, v58 :: v_dual_max_f32 v57, v57, v57
	s_mov_b32 s13, 0
	v_max_f32_e32 v57, v57, v58
	s_branch .LBB6_985
.LBB6_984:                              ;   in Loop: Header=BB6_394 Depth=4
	s_mov_b32 s13, -1
                                        ; implicit-def: $vgpr57
.LBB6_985:                              ;   in Loop: Header=BB6_394 Depth=4
	s_delay_alu instid0(SALU_CYCLE_1)
	s_and_b32 vcc_lo, exec_lo, s13
	s_cbranch_vccz .LBB6_995
; %bb.986:                              ;   in Loop: Header=BB6_394 Depth=4
	s_mov_b32 s13, 0
	s_mov_b32 s37, exec_lo
                                        ; implicit-def: $sgpr36
	v_cmpx_lt_i16_e32 0x7f, v32
	s_xor_b32 s37, exec_lo, s37
	s_cbranch_execnz .LBB6_2576
; %bb.987:                              ;   in Loop: Header=BB6_394 Depth=4
	s_or_saveexec_b32 s37, s37
	v_mov_b32_e32 v57, s36
	s_xor_b32 exec_lo, exec_lo, s37
	s_cbranch_execnz .LBB6_2579
.LBB6_988:                              ;   in Loop: Header=BB6_394 Depth=4
	s_or_b32 exec_lo, exec_lo, s37
	s_and_saveexec_b32 s36, s13
	s_cbranch_execz .LBB6_990
.LBB6_989:                              ;   in Loop: Header=BB6_394 Depth=4
	v_and_b32_e32 v32, 7, v33
	v_bfe_u32 v59, v33, 3, 4
	v_lshlrev_b32_e32 v60, 24, v33
	s_delay_alu instid0(VALU_DEP_3) | instskip(NEXT) | instid1(VALU_DEP_3)
	v_clz_i32_u32_e32 v57, v32
	v_cmp_eq_u32_e32 vcc_lo, 0, v59
	s_delay_alu instid0(VALU_DEP_2) | instskip(NEXT) | instid1(VALU_DEP_1)
	v_min_u32_e32 v57, 32, v57
	v_subrev_nc_u32_e32 v58, 28, v57
	v_sub_nc_u32_e32 v57, 29, v57
	s_delay_alu instid0(VALU_DEP_2) | instskip(NEXT) | instid1(VALU_DEP_1)
	v_lshlrev_b32_e32 v58, v58, v33
	v_dual_cndmask_b32 v57, v59, v57 :: v_dual_and_b32 v58, 7, v58
	s_delay_alu instid0(VALU_DEP_1) | instskip(NEXT) | instid1(VALU_DEP_2)
	v_lshl_add_u32 v57, v57, 23, 0x3b800000
	v_cndmask_b32_e32 v32, v32, v58, vcc_lo
	v_and_b32_e32 v58, 0x80000000, v60
	s_delay_alu instid0(VALU_DEP_2) | instskip(NEXT) | instid1(VALU_DEP_1)
	v_lshlrev_b32_e32 v32, 20, v32
	v_or3_b32 v57, v58, v57, v32
.LBB6_990:                              ;   in Loop: Header=BB6_394 Depth=4
	s_or_b32 exec_lo, exec_lo, s36
	v_and_b32_e32 v58, 0xff, v25
	s_mov_b32 s13, 0
	s_mov_b32 s37, exec_lo
                                        ; implicit-def: $sgpr36
	s_delay_alu instid0(VALU_DEP_1)
	v_cmpx_lt_i16_e32 0x7f, v58
	s_xor_b32 s37, exec_lo, s37
	s_cbranch_execnz .LBB6_2580
; %bb.991:                              ;   in Loop: Header=BB6_394 Depth=4
	s_or_saveexec_b32 s37, s37
	v_mov_b32_e32 v32, s36
	s_xor_b32 exec_lo, exec_lo, s37
	s_cbranch_execnz .LBB6_2583
.LBB6_992:                              ;   in Loop: Header=BB6_394 Depth=4
	s_or_b32 exec_lo, exec_lo, s37
	s_and_saveexec_b32 s36, s13
	s_cbranch_execz .LBB6_994
.LBB6_993:                              ;   in Loop: Header=BB6_394 Depth=4
	v_and_b32_e32 v32, 7, v25
	v_bfe_u32 v60, v25, 3, 4
	s_delay_alu instid0(VALU_DEP_2) | instskip(NEXT) | instid1(VALU_DEP_2)
	v_clz_i32_u32_e32 v58, v32
	v_cmp_eq_u32_e32 vcc_lo, 0, v60
	s_delay_alu instid0(VALU_DEP_2) | instskip(NEXT) | instid1(VALU_DEP_1)
	v_min_u32_e32 v58, 32, v58
	v_subrev_nc_u32_e32 v59, 28, v58
	v_sub_nc_u32_e32 v58, 29, v58
	s_delay_alu instid0(VALU_DEP_1) | instskip(NEXT) | instid1(VALU_DEP_1)
	v_dual_cndmask_b32 v58, v60, v58 :: v_dual_lshlrev_b32 v59, v59, v25
	v_and_b32_e32 v59, 7, v59
	v_lshlrev_b32_e32 v61, 24, v25
	s_delay_alu instid0(VALU_DEP_3) | instskip(NEXT) | instid1(VALU_DEP_2)
	v_lshl_add_u32 v58, v58, 23, 0x3b800000
	v_dual_cndmask_b32 v32, v32, v59 :: v_dual_and_b32 v59, 0x80000000, v61
	s_delay_alu instid0(VALU_DEP_1) | instskip(NEXT) | instid1(VALU_DEP_1)
	v_lshlrev_b32_e32 v32, 20, v32
	v_or3_b32 v32, v59, v58, v32
.LBB6_994:                              ;   in Loop: Header=BB6_394 Depth=4
	s_or_b32 exec_lo, exec_lo, s36
	s_delay_alu instid0(VALU_DEP_1) | instskip(NEXT) | instid1(VALU_DEP_1)
	v_dual_max_f32 v32, v32, v32 :: v_dual_max_f32 v57, v57, v57
	v_min_f32_e32 v57, v57, v32
.LBB6_995:                              ;   in Loop: Header=BB6_394 Depth=4
	s_delay_alu instid0(VALU_DEP_1) | instskip(NEXT) | instid1(VALU_DEP_1)
	v_and_b32_e32 v32, 0x7f800000, v57
	v_cmp_ne_u32_e32 vcc_lo, 0x7f800000, v32
	v_mov_b32_e32 v32, 0x80
	s_and_saveexec_b32 s36, vcc_lo
	s_cbranch_execz .LBB6_1003
; %bb.996:                              ;   in Loop: Header=BB6_394 Depth=4
	v_mov_b32_e32 v32, 0
	s_mov_b32 s37, exec_lo
	v_cmpx_ne_u32_e32 0, v57
	s_cbranch_execz .LBB6_1002
; %bb.997:                              ;   in Loop: Header=BB6_394 Depth=4
	v_bfe_u32 v32, v57, 23, 8
	s_delay_alu instid0(VALU_DEP_1) | instskip(SKIP_1) | instid1(VALU_DEP_2)
	v_sub_nc_u32_e32 v59, 0x78, v32
	v_cmp_gt_u32_e32 vcc_lo, 0x79, v32
	v_dual_cndmask_b32 v59, 0, v59 :: v_dual_and_b32 v58, 0x7fffff, v57
	s_delay_alu instid0(VALU_DEP_1) | instskip(SKIP_2) | instid1(VALU_DEP_4)
	v_or_b32_e32 v60, 0x800000, v58
	v_cmp_eq_u32_e32 vcc_lo, 0, v32
	v_add_nc_u32_e32 v32, 0xffffff89, v32
	v_cndmask_b32_e64 v59, v59, 0x77, vcc_lo
	s_delay_alu instid0(VALU_DEP_2) | instskip(SKIP_1) | instid1(VALU_DEP_3)
	v_cndmask_b32_e64 v32, v32, 0xffffff8a, vcc_lo
	v_cndmask_b32_e32 v58, v60, v58, vcc_lo
	v_lshl_add_u32 v60, 0x100000, v59, -1
	v_lshlrev_b32_e64 v63, v59, 0x80000
	s_delay_alu instid0(VALU_DEP_3) | instskip(SKIP_1) | instid1(VALU_DEP_4)
	v_lshrrev_b32_e32 v61, v59, v58
	v_add_nc_u32_e32 v59, v59, v32
	v_and_b32_e32 v58, v60, v58
	s_delay_alu instid0(VALU_DEP_3) | instskip(NEXT) | instid1(VALU_DEP_2)
	v_bfe_u32 v62, v61, 20, 1
	v_cmp_eq_u32_e64 s13, v58, v63
	s_delay_alu instid0(VALU_DEP_2) | instskip(NEXT) | instid1(VALU_DEP_1)
	v_add_nc_u32_e32 v60, -1, v62
	v_cndmask_b32_e64 v58, 0, v60, s13
	v_lshrrev_b32_e32 v60, 23, v61
	s_mov_b32 s13, exec_lo
	s_delay_alu instid0(VALU_DEP_2) | instskip(NEXT) | instid1(VALU_DEP_2)
	v_add_nc_u32_e32 v58, v58, v61
	v_xor_b32_e32 v60, 1, v60
	s_delay_alu instid0(VALU_DEP_2) | instskip(NEXT) | instid1(VALU_DEP_1)
	v_and_b32_e32 v32, 0xfffff, v58
	v_add_nc_u32_e32 v58, v32, v61
                                        ; implicit-def: $vgpr32
	s_delay_alu instid0(VALU_DEP_3)
	v_cmpx_ne_u32_e64 v59, v60
	s_xor_b32 s13, exec_lo, s13
; %bb.998:                              ;   in Loop: Header=BB6_394 Depth=4
	s_delay_alu instid0(VALU_DEP_2) | instskip(SKIP_2) | instid1(VALU_DEP_2)
	v_cmp_lt_u32_e32 vcc_lo, 0xffffff, v58
	v_sub_nc_u32_e32 v32, v59, v60
	v_cndmask_b32_e64 v59, 0, 1, vcc_lo
	v_add_co_ci_u32_e32 v32, vcc_lo, 0, v32, vcc_lo
	s_delay_alu instid0(VALU_DEP_2)
	v_lshrrev_b32_e32 v58, v59, v58
; %bb.999:                              ;   in Loop: Header=BB6_394 Depth=4
	s_and_not1_saveexec_b32 s13, s13
; %bb.1000:                             ;   in Loop: Header=BB6_394 Depth=4
	s_delay_alu instid0(VALU_DEP_1)
	v_bfe_u32 v32, v58, 23, 1
; %bb.1001:                             ;   in Loop: Header=BB6_394 Depth=4
	s_or_b32 exec_lo, exec_lo, s13
	v_lshrrev_b32_e32 v58, 20, v58
	s_delay_alu instid0(VALU_DEP_2) | instskip(SKIP_2) | instid1(VALU_DEP_2)
	v_cmp_gt_i32_e32 vcc_lo, 16, v32
	v_lshrrev_b32_e32 v57, 24, v57
	v_min_i32_e32 v59, 15, v32
	v_dual_cndmask_b32 v58, 7, v58 :: v_dual_and_b32 v57, 0x80, v57
	s_delay_alu instid0(VALU_DEP_1) | instskip(SKIP_1) | instid1(VALU_DEP_2)
	v_or_b32_e32 v32, v32, v58
	v_and_b32_e32 v60, 7, v58
	v_cmp_ne_u32_e32 vcc_lo, 0, v32
	v_lshlrev_b32_e32 v59, 3, v59
	s_delay_alu instid0(VALU_DEP_1) | instskip(NEXT) | instid1(VALU_DEP_1)
	v_or3_b32 v57, v59, v57, v60
	v_cndmask_b32_e32 v32, 0, v57, vcc_lo
.LBB6_1002:                             ;   in Loop: Header=BB6_394 Depth=4
	s_or_b32 exec_lo, exec_lo, s37
.LBB6_1003:                             ;   in Loop: Header=BB6_394 Depth=4
	s_delay_alu instid0(SALU_CYCLE_1) | instskip(SKIP_3) | instid1(VALU_DEP_2)
	s_or_b32 exec_lo, exec_lo, s36
	v_lshrrev_b16 v58, 8, v33
	v_lshrrev_b16 v57, 8, v25
	s_and_not1_b32 vcc_lo, exec_lo, s35
	v_cmp_lt_i16_e64 s13, 0x7f, v58
	s_cbranch_vccnz .LBB6_1013
; %bb.1004:                             ;   in Loop: Header=BB6_394 Depth=4
	s_mov_b32 s36, 0
                                        ; implicit-def: $sgpr37
	s_delay_alu instid0(VALU_DEP_1) | instskip(NEXT) | instid1(SALU_CYCLE_1)
	s_and_saveexec_b32 vcc_lo, s13
	s_xor_b32 s13, exec_lo, vcc_lo
	s_cbranch_execnz .LBB6_2584
; %bb.1005:                             ;   in Loop: Header=BB6_394 Depth=4
	s_or_saveexec_b32 s13, s13
	v_mov_b32_e32 v59, s37
	s_xor_b32 exec_lo, exec_lo, s13
	s_cbranch_execnz .LBB6_2587
.LBB6_1006:                             ;   in Loop: Header=BB6_394 Depth=4
	s_or_b32 exec_lo, exec_lo, s13
	s_and_saveexec_b32 s13, s36
	s_cbranch_execz .LBB6_1008
.LBB6_1007:                             ;   in Loop: Header=BB6_394 Depth=4
	v_and_b32_e32 v59, 0xffff, v58
	s_delay_alu instid0(VALU_DEP_1) | instskip(NEXT) | instid1(VALU_DEP_1)
	v_and_b32_e32 v60, 7, v59
	v_clz_i32_u32_e32 v61, v60
	s_delay_alu instid0(VALU_DEP_1) | instskip(NEXT) | instid1(VALU_DEP_1)
	v_min_u32_e32 v61, 32, v61
	v_subrev_nc_u32_e32 v62, 28, v61
	v_sub_nc_u32_e32 v61, 29, v61
	s_delay_alu instid0(VALU_DEP_2) | instskip(SKIP_1) | instid1(VALU_DEP_2)
	v_lshlrev_b32_e32 v62, v62, v59
	v_bfe_u32 v59, v59, 3, 4
	v_and_b32_e32 v62, 7, v62
	s_delay_alu instid0(VALU_DEP_2) | instskip(SKIP_1) | instid1(VALU_DEP_3)
	v_cmp_eq_u32_e32 vcc_lo, 0, v59
	v_cndmask_b32_e32 v59, v59, v61, vcc_lo
	v_dual_cndmask_b32 v60, v60, v62 :: v_dual_lshlrev_b32 v63, 16, v33
	s_delay_alu instid0(VALU_DEP_2) | instskip(NEXT) | instid1(VALU_DEP_2)
	v_lshl_add_u32 v59, v59, 23, 0x3b800000
	v_and_b32_e32 v61, 0x80000000, v63
	s_delay_alu instid0(VALU_DEP_3) | instskip(NEXT) | instid1(VALU_DEP_1)
	v_lshlrev_b32_e32 v60, 20, v60
	v_or3_b32 v59, v61, v59, v60
.LBB6_1008:                             ;   in Loop: Header=BB6_394 Depth=4
	s_or_b32 exec_lo, exec_lo, s13
	s_mov_b32 s13, 0
	s_mov_b32 s37, exec_lo
                                        ; implicit-def: $sgpr36
	v_cmpx_lt_i16_e32 0x7f, v57
	s_xor_b32 s37, exec_lo, s37
	s_cbranch_execnz .LBB6_2588
; %bb.1009:                             ;   in Loop: Header=BB6_394 Depth=4
	s_or_saveexec_b32 s37, s37
	v_mov_b32_e32 v60, s36
	s_xor_b32 exec_lo, exec_lo, s37
	s_cbranch_execnz .LBB6_2591
.LBB6_1010:                             ;   in Loop: Header=BB6_394 Depth=4
	s_or_b32 exec_lo, exec_lo, s37
	s_and_saveexec_b32 s36, s13
	s_cbranch_execz .LBB6_1012
.LBB6_1011:                             ;   in Loop: Header=BB6_394 Depth=4
	v_and_b32_e32 v60, 0xffff, v57
	v_lshlrev_b32_e32 v72, 16, v25
	s_delay_alu instid0(VALU_DEP_2) | instskip(NEXT) | instid1(VALU_DEP_1)
	v_and_b32_e32 v61, 7, v60
	v_clz_i32_u32_e32 v62, v61
	s_delay_alu instid0(VALU_DEP_1) | instskip(NEXT) | instid1(VALU_DEP_1)
	v_min_u32_e32 v62, 32, v62
	v_subrev_nc_u32_e32 v63, 28, v62
	v_sub_nc_u32_e32 v62, 29, v62
	s_delay_alu instid0(VALU_DEP_2) | instskip(SKIP_1) | instid1(VALU_DEP_2)
	v_lshlrev_b32_e32 v63, v63, v60
	v_bfe_u32 v60, v60, 3, 4
	v_and_b32_e32 v63, 7, v63
	s_delay_alu instid0(VALU_DEP_2) | instskip(NEXT) | instid1(VALU_DEP_2)
	v_cmp_eq_u32_e32 vcc_lo, 0, v60
	v_dual_cndmask_b32 v60, v60, v62 :: v_dual_cndmask_b32 v61, v61, v63
	v_and_b32_e32 v62, 0x80000000, v72
	s_delay_alu instid0(VALU_DEP_2) | instskip(NEXT) | instid1(VALU_DEP_3)
	v_lshl_add_u32 v60, v60, 23, 0x3b800000
	v_lshlrev_b32_e32 v61, 20, v61
	s_delay_alu instid0(VALU_DEP_1)
	v_or3_b32 v60, v62, v60, v61
.LBB6_1012:                             ;   in Loop: Header=BB6_394 Depth=4
	s_or_b32 exec_lo, exec_lo, s36
	s_delay_alu instid0(VALU_DEP_1) | instskip(SKIP_1) | instid1(VALU_DEP_1)
	v_dual_max_f32 v60, v60, v60 :: v_dual_max_f32 v59, v59, v59
	s_mov_b32 s13, 0
	v_max_f32_e32 v59, v59, v60
	s_branch .LBB6_1014
.LBB6_1013:                             ;   in Loop: Header=BB6_394 Depth=4
	s_mov_b32 s13, -1
                                        ; implicit-def: $vgpr59
.LBB6_1014:                             ;   in Loop: Header=BB6_394 Depth=4
	s_delay_alu instid0(SALU_CYCLE_1)
	s_and_b32 vcc_lo, exec_lo, s13
	s_cbranch_vccz .LBB6_1024
; %bb.1015:                             ;   in Loop: Header=BB6_394 Depth=4
	s_mov_b32 s13, 0
	s_mov_b32 s37, exec_lo
                                        ; implicit-def: $sgpr36
	v_cmpx_lt_i16_e32 0x7f, v58
	s_xor_b32 s37, exec_lo, s37
	s_cbranch_execnz .LBB6_2592
; %bb.1016:                             ;   in Loop: Header=BB6_394 Depth=4
	s_or_saveexec_b32 s37, s37
	v_mov_b32_e32 v59, s36
	s_xor_b32 exec_lo, exec_lo, s37
	s_cbranch_execnz .LBB6_2595
.LBB6_1017:                             ;   in Loop: Header=BB6_394 Depth=4
	s_or_b32 exec_lo, exec_lo, s37
	s_and_saveexec_b32 s36, s13
	s_cbranch_execz .LBB6_1019
.LBB6_1018:                             ;   in Loop: Header=BB6_394 Depth=4
	v_and_b32_e32 v58, 0xffff, v58
	v_lshlrev_b32_e32 v62, 16, v33
	s_delay_alu instid0(VALU_DEP_2) | instskip(NEXT) | instid1(VALU_DEP_1)
	v_and_b32_e32 v59, 7, v58
	v_clz_i32_u32_e32 v60, v59
	s_delay_alu instid0(VALU_DEP_1) | instskip(NEXT) | instid1(VALU_DEP_1)
	v_min_u32_e32 v60, 32, v60
	v_subrev_nc_u32_e32 v61, 28, v60
	v_sub_nc_u32_e32 v60, 29, v60
	s_delay_alu instid0(VALU_DEP_2) | instskip(SKIP_1) | instid1(VALU_DEP_2)
	v_lshlrev_b32_e32 v61, v61, v58
	v_bfe_u32 v58, v58, 3, 4
	v_and_b32_e32 v61, 7, v61
	s_delay_alu instid0(VALU_DEP_2) | instskip(NEXT) | instid1(VALU_DEP_2)
	v_cmp_eq_u32_e32 vcc_lo, 0, v58
	v_dual_cndmask_b32 v58, v58, v60 :: v_dual_cndmask_b32 v59, v59, v61
	v_and_b32_e32 v60, 0x80000000, v62
	s_delay_alu instid0(VALU_DEP_2) | instskip(NEXT) | instid1(VALU_DEP_3)
	v_lshl_add_u32 v58, v58, 23, 0x3b800000
	v_lshlrev_b32_e32 v59, 20, v59
	s_delay_alu instid0(VALU_DEP_1)
	v_or3_b32 v59, v60, v58, v59
.LBB6_1019:                             ;   in Loop: Header=BB6_394 Depth=4
	s_or_b32 exec_lo, exec_lo, s36
	s_mov_b32 s13, 0
	s_mov_b32 s37, exec_lo
                                        ; implicit-def: $sgpr36
	v_cmpx_lt_i16_e32 0x7f, v57
	s_xor_b32 s37, exec_lo, s37
	s_cbranch_execnz .LBB6_2596
; %bb.1020:                             ;   in Loop: Header=BB6_394 Depth=4
	s_or_saveexec_b32 s37, s37
	v_mov_b32_e32 v58, s36
	s_xor_b32 exec_lo, exec_lo, s37
	s_cbranch_execnz .LBB6_2599
.LBB6_1021:                             ;   in Loop: Header=BB6_394 Depth=4
	s_or_b32 exec_lo, exec_lo, s37
	s_and_saveexec_b32 s36, s13
	s_cbranch_execz .LBB6_1023
.LBB6_1022:                             ;   in Loop: Header=BB6_394 Depth=4
	v_and_b32_e32 v57, 0xffff, v57
	v_lshlrev_b32_e32 v62, 16, v25
	s_delay_alu instid0(VALU_DEP_2) | instskip(NEXT) | instid1(VALU_DEP_1)
	v_and_b32_e32 v58, 7, v57
	v_clz_i32_u32_e32 v60, v58
	s_delay_alu instid0(VALU_DEP_1) | instskip(NEXT) | instid1(VALU_DEP_1)
	v_min_u32_e32 v60, 32, v60
	v_subrev_nc_u32_e32 v61, 28, v60
	v_sub_nc_u32_e32 v60, 29, v60
	s_delay_alu instid0(VALU_DEP_2) | instskip(SKIP_1) | instid1(VALU_DEP_2)
	v_lshlrev_b32_e32 v61, v61, v57
	v_bfe_u32 v57, v57, 3, 4
	v_and_b32_e32 v61, 7, v61
	s_delay_alu instid0(VALU_DEP_2) | instskip(NEXT) | instid1(VALU_DEP_2)
	v_cmp_eq_u32_e32 vcc_lo, 0, v57
	v_dual_cndmask_b32 v57, v57, v60 :: v_dual_cndmask_b32 v58, v58, v61
	v_and_b32_e32 v60, 0x80000000, v62
	s_delay_alu instid0(VALU_DEP_2) | instskip(NEXT) | instid1(VALU_DEP_3)
	v_lshl_add_u32 v57, v57, 23, 0x3b800000
	v_lshlrev_b32_e32 v58, 20, v58
	s_delay_alu instid0(VALU_DEP_1)
	v_or3_b32 v58, v60, v57, v58
.LBB6_1023:                             ;   in Loop: Header=BB6_394 Depth=4
	s_or_b32 exec_lo, exec_lo, s36
	s_delay_alu instid0(VALU_DEP_1) | instskip(NEXT) | instid1(VALU_DEP_1)
	v_dual_max_f32 v57, v58, v58 :: v_dual_max_f32 v58, v59, v59
	v_min_f32_e32 v59, v58, v57
.LBB6_1024:                             ;   in Loop: Header=BB6_394 Depth=4
	s_delay_alu instid0(VALU_DEP_1) | instskip(NEXT) | instid1(VALU_DEP_1)
	v_and_b32_e32 v57, 0x7f800000, v59
	v_cmp_ne_u32_e32 vcc_lo, 0x7f800000, v57
	v_mov_b32_e32 v57, 0x80
	s_and_saveexec_b32 s36, vcc_lo
	s_cbranch_execz .LBB6_1032
; %bb.1025:                             ;   in Loop: Header=BB6_394 Depth=4
	v_mov_b32_e32 v57, 0
	s_mov_b32 s37, exec_lo
	v_cmpx_ne_u32_e32 0, v59
	s_cbranch_execz .LBB6_1031
; %bb.1026:                             ;   in Loop: Header=BB6_394 Depth=4
	v_bfe_u32 v57, v59, 23, 8
	v_and_b32_e32 v58, 0x7fffff, v59
	s_delay_alu instid0(VALU_DEP_2) | instskip(SKIP_1) | instid1(VALU_DEP_3)
	v_sub_nc_u32_e32 v60, 0x78, v57
	v_cmp_gt_u32_e32 vcc_lo, 0x79, v57
	v_or_b32_e32 v61, 0x800000, v58
	s_delay_alu instid0(VALU_DEP_3) | instskip(SKIP_2) | instid1(VALU_DEP_3)
	v_cndmask_b32_e32 v60, 0, v60, vcc_lo
	v_cmp_eq_u32_e32 vcc_lo, 0, v57
	v_add_nc_u32_e32 v57, 0xffffff89, v57
	v_cndmask_b32_e64 v60, v60, 0x77, vcc_lo
	v_cndmask_b32_e32 v58, v61, v58, vcc_lo
	s_delay_alu instid0(VALU_DEP_3) | instskip(NEXT) | instid1(VALU_DEP_3)
	v_cndmask_b32_e64 v57, v57, 0xffffff8a, vcc_lo
	v_lshl_add_u32 v61, 0x100000, v60, -1
	s_delay_alu instid0(VALU_DEP_3) | instskip(SKIP_1) | instid1(VALU_DEP_4)
	v_lshrrev_b32_e32 v62, v60, v58
	v_lshlrev_b32_e64 v72, v60, 0x80000
	v_add_nc_u32_e32 v60, v60, v57
	s_delay_alu instid0(VALU_DEP_4) | instskip(NEXT) | instid1(VALU_DEP_4)
	v_and_b32_e32 v58, v61, v58
	v_bfe_u32 v63, v62, 20, 1
	s_delay_alu instid0(VALU_DEP_2) | instskip(NEXT) | instid1(VALU_DEP_2)
	v_cmp_eq_u32_e64 s13, v58, v72
	v_add_nc_u32_e32 v61, -1, v63
	s_delay_alu instid0(VALU_DEP_1) | instskip(SKIP_2) | instid1(VALU_DEP_2)
	v_cndmask_b32_e64 v58, 0, v61, s13
	v_lshrrev_b32_e32 v61, 23, v62
	s_mov_b32 s13, exec_lo
	v_add_nc_u32_e32 v58, v58, v62
	s_delay_alu instid0(VALU_DEP_2) | instskip(NEXT) | instid1(VALU_DEP_2)
	v_xor_b32_e32 v61, 1, v61
	v_and_b32_e32 v57, 0xfffff, v58
	s_delay_alu instid0(VALU_DEP_1) | instskip(NEXT) | instid1(VALU_DEP_3)
	v_add_nc_u32_e32 v58, v57, v62
                                        ; implicit-def: $vgpr57
	v_cmpx_ne_u32_e64 v60, v61
	s_xor_b32 s13, exec_lo, s13
; %bb.1027:                             ;   in Loop: Header=BB6_394 Depth=4
	s_delay_alu instid0(VALU_DEP_2) | instskip(SKIP_2) | instid1(VALU_DEP_2)
	v_cmp_lt_u32_e32 vcc_lo, 0xffffff, v58
	v_sub_nc_u32_e32 v57, v60, v61
	v_cndmask_b32_e64 v60, 0, 1, vcc_lo
	v_add_co_ci_u32_e32 v57, vcc_lo, 0, v57, vcc_lo
	s_delay_alu instid0(VALU_DEP_2)
	v_lshrrev_b32_e32 v58, v60, v58
; %bb.1028:                             ;   in Loop: Header=BB6_394 Depth=4
	s_and_not1_saveexec_b32 s13, s13
; %bb.1029:                             ;   in Loop: Header=BB6_394 Depth=4
	s_delay_alu instid0(VALU_DEP_1)
	v_bfe_u32 v57, v58, 23, 1
; %bb.1030:                             ;   in Loop: Header=BB6_394 Depth=4
	s_or_b32 exec_lo, exec_lo, s13
	v_lshrrev_b32_e32 v58, 20, v58
	s_delay_alu instid0(VALU_DEP_2) | instskip(SKIP_2) | instid1(VALU_DEP_2)
	v_cmp_gt_i32_e32 vcc_lo, 16, v57
	v_lshrrev_b32_e32 v59, 24, v59
	v_min_i32_e32 v60, 15, v57
	v_dual_cndmask_b32 v58, 7, v58 :: v_dual_and_b32 v59, 0x80, v59
	s_delay_alu instid0(VALU_DEP_1) | instskip(SKIP_1) | instid1(VALU_DEP_2)
	v_or_b32_e32 v57, v57, v58
	v_and_b32_e32 v61, 7, v58
	v_cmp_ne_u32_e32 vcc_lo, 0, v57
	v_lshlrev_b32_e32 v60, 3, v60
	s_delay_alu instid0(VALU_DEP_1) | instskip(NEXT) | instid1(VALU_DEP_1)
	v_or3_b32 v58, v60, v59, v61
	v_cndmask_b32_e32 v57, 0, v58, vcc_lo
.LBB6_1031:                             ;   in Loop: Header=BB6_394 Depth=4
	s_or_b32 exec_lo, exec_lo, s37
.LBB6_1032:                             ;   in Loop: Header=BB6_394 Depth=4
	s_delay_alu instid0(SALU_CYCLE_1) | instskip(SKIP_3) | instid1(VALU_DEP_2)
	s_or_b32 exec_lo, exec_lo, s36
	v_lshrrev_b32_e32 v59, 16, v33
	v_lshrrev_b32_e32 v58, 16, v25
	s_and_not1_b32 vcc_lo, exec_lo, s35
	v_and_b32_e32 v60, 0xff, v59
	s_delay_alu instid0(VALU_DEP_1)
	v_cmp_lt_i16_e64 s13, 0x7f, v60
	s_cbranch_vccnz .LBB6_1042
; %bb.1033:                             ;   in Loop: Header=BB6_394 Depth=4
	s_mov_b32 s36, 0
                                        ; implicit-def: $sgpr37
	s_delay_alu instid0(VALU_DEP_1) | instskip(NEXT) | instid1(SALU_CYCLE_1)
	s_and_saveexec_b32 vcc_lo, s13
	s_xor_b32 s13, exec_lo, vcc_lo
	s_cbranch_execnz .LBB6_2600
; %bb.1034:                             ;   in Loop: Header=BB6_394 Depth=4
	s_or_saveexec_b32 s13, s13
	v_mov_b32_e32 v61, s37
	s_xor_b32 exec_lo, exec_lo, s13
	s_cbranch_execnz .LBB6_2603
.LBB6_1035:                             ;   in Loop: Header=BB6_394 Depth=4
	s_or_b32 exec_lo, exec_lo, s13
	s_and_saveexec_b32 s13, s36
	s_cbranch_execz .LBB6_1037
.LBB6_1036:                             ;   in Loop: Header=BB6_394 Depth=4
	v_bfe_u32 v61, v33, 16, 3
	v_bfe_u32 v72, v33, 19, 4
	v_lshlrev_b32_e32 v73, 24, v59
	s_delay_alu instid0(VALU_DEP_3) | instskip(NEXT) | instid1(VALU_DEP_3)
	v_clz_i32_u32_e32 v62, v61
	v_cmp_eq_u32_e32 vcc_lo, 0, v72
	s_delay_alu instid0(VALU_DEP_2) | instskip(NEXT) | instid1(VALU_DEP_1)
	v_min_u32_e32 v62, 32, v62
	v_subrev_nc_u32_e32 v63, 28, v62
	v_sub_nc_u32_e32 v62, 29, v62
	s_delay_alu instid0(VALU_DEP_1) | instskip(NEXT) | instid1(VALU_DEP_1)
	v_dual_cndmask_b32 v62, v72, v62 :: v_dual_lshlrev_b32 v63, v63, v59
	v_and_b32_e32 v63, 7, v63
	s_delay_alu instid0(VALU_DEP_2) | instskip(NEXT) | instid1(VALU_DEP_2)
	v_lshl_add_u32 v62, v62, 23, 0x3b800000
	v_cndmask_b32_e32 v61, v61, v63, vcc_lo
	v_and_b32_e32 v63, 0x80000000, v73
	s_delay_alu instid0(VALU_DEP_2) | instskip(NEXT) | instid1(VALU_DEP_1)
	v_lshlrev_b32_e32 v61, 20, v61
	v_or3_b32 v61, v63, v62, v61
.LBB6_1037:                             ;   in Loop: Header=BB6_394 Depth=4
	s_or_b32 exec_lo, exec_lo, s13
	v_and_b32_e32 v63, 0xff, v58
	s_mov_b32 s13, 0
	s_mov_b32 s37, exec_lo
                                        ; implicit-def: $sgpr36
	s_delay_alu instid0(VALU_DEP_1)
	v_cmpx_lt_i16_e32 0x7f, v63
	s_xor_b32 s37, exec_lo, s37
	s_cbranch_execnz .LBB6_2604
; %bb.1038:                             ;   in Loop: Header=BB6_394 Depth=4
	s_or_saveexec_b32 s37, s37
	v_mov_b32_e32 v62, s36
	s_xor_b32 exec_lo, exec_lo, s37
	s_cbranch_execnz .LBB6_2607
.LBB6_1039:                             ;   in Loop: Header=BB6_394 Depth=4
	s_or_b32 exec_lo, exec_lo, s37
	s_and_saveexec_b32 s36, s13
	s_cbranch_execz .LBB6_1041
.LBB6_1040:                             ;   in Loop: Header=BB6_394 Depth=4
	v_bfe_u32 v62, v25, 16, 3
	v_bfe_u32 v73, v25, 19, 4
	v_lshlrev_b32_e32 v74, 24, v58
	s_delay_alu instid0(VALU_DEP_3) | instskip(NEXT) | instid1(VALU_DEP_3)
	v_clz_i32_u32_e32 v63, v62
	v_cmp_eq_u32_e32 vcc_lo, 0, v73
	s_delay_alu instid0(VALU_DEP_2) | instskip(NEXT) | instid1(VALU_DEP_1)
	v_min_u32_e32 v63, 32, v63
	v_subrev_nc_u32_e32 v72, 28, v63
	v_sub_nc_u32_e32 v63, 29, v63
	s_delay_alu instid0(VALU_DEP_1) | instskip(NEXT) | instid1(VALU_DEP_1)
	v_dual_cndmask_b32 v63, v73, v63 :: v_dual_lshlrev_b32 v72, v72, v58
	v_and_b32_e32 v72, 7, v72
	s_delay_alu instid0(VALU_DEP_2) | instskip(NEXT) | instid1(VALU_DEP_2)
	v_lshl_add_u32 v63, v63, 23, 0x3b800000
	v_cndmask_b32_e32 v62, v62, v72, vcc_lo
	v_and_b32_e32 v72, 0x80000000, v74
	s_delay_alu instid0(VALU_DEP_2) | instskip(NEXT) | instid1(VALU_DEP_1)
	v_lshlrev_b32_e32 v62, 20, v62
	v_or3_b32 v62, v72, v63, v62
.LBB6_1041:                             ;   in Loop: Header=BB6_394 Depth=4
	s_or_b32 exec_lo, exec_lo, s36
	s_delay_alu instid0(VALU_DEP_1) | instskip(SKIP_1) | instid1(VALU_DEP_1)
	v_dual_max_f32 v62, v62, v62 :: v_dual_max_f32 v61, v61, v61
	s_mov_b32 s13, 0
	v_max_f32_e32 v61, v61, v62
	s_branch .LBB6_1043
.LBB6_1042:                             ;   in Loop: Header=BB6_394 Depth=4
	s_mov_b32 s13, -1
                                        ; implicit-def: $vgpr61
.LBB6_1043:                             ;   in Loop: Header=BB6_394 Depth=4
	s_delay_alu instid0(SALU_CYCLE_1)
	s_and_b32 vcc_lo, exec_lo, s13
	s_cbranch_vccz .LBB6_1053
; %bb.1044:                             ;   in Loop: Header=BB6_394 Depth=4
	s_mov_b32 s13, 0
	s_mov_b32 s37, exec_lo
                                        ; implicit-def: $sgpr36
	v_cmpx_lt_i16_e32 0x7f, v60
	s_xor_b32 s37, exec_lo, s37
	s_cbranch_execnz .LBB6_2608
; %bb.1045:                             ;   in Loop: Header=BB6_394 Depth=4
	s_or_saveexec_b32 s37, s37
	v_mov_b32_e32 v61, s36
	s_xor_b32 exec_lo, exec_lo, s37
	s_cbranch_execnz .LBB6_2611
.LBB6_1046:                             ;   in Loop: Header=BB6_394 Depth=4
	s_or_b32 exec_lo, exec_lo, s37
	s_and_saveexec_b32 s36, s13
	s_cbranch_execz .LBB6_1048
.LBB6_1047:                             ;   in Loop: Header=BB6_394 Depth=4
	v_bfe_u32 v60, v33, 16, 3
	v_bfe_u32 v63, v33, 19, 4
	s_delay_alu instid0(VALU_DEP_2) | instskip(NEXT) | instid1(VALU_DEP_2)
	v_clz_i32_u32_e32 v61, v60
	v_cmp_eq_u32_e32 vcc_lo, 0, v63
	s_delay_alu instid0(VALU_DEP_2) | instskip(NEXT) | instid1(VALU_DEP_1)
	v_min_u32_e32 v61, 32, v61
	v_subrev_nc_u32_e32 v62, 28, v61
	v_sub_nc_u32_e32 v61, 29, v61
	s_delay_alu instid0(VALU_DEP_1) | instskip(NEXT) | instid1(VALU_DEP_1)
	v_dual_cndmask_b32 v61, v63, v61 :: v_dual_lshlrev_b32 v62, v62, v59
	v_and_b32_e32 v62, 7, v62
	v_lshlrev_b32_e32 v59, 24, v59
	s_delay_alu instid0(VALU_DEP_3) | instskip(NEXT) | instid1(VALU_DEP_2)
	v_lshl_add_u32 v61, v61, 23, 0x3b800000
	v_dual_cndmask_b32 v60, v60, v62 :: v_dual_and_b32 v59, 0x80000000, v59
	s_delay_alu instid0(VALU_DEP_1) | instskip(NEXT) | instid1(VALU_DEP_1)
	v_lshlrev_b32_e32 v60, 20, v60
	v_or3_b32 v61, v59, v61, v60
.LBB6_1048:                             ;   in Loop: Header=BB6_394 Depth=4
	s_or_b32 exec_lo, exec_lo, s36
	v_and_b32_e32 v60, 0xff, v58
	s_mov_b32 s13, 0
	s_mov_b32 s37, exec_lo
                                        ; implicit-def: $sgpr36
	s_delay_alu instid0(VALU_DEP_1)
	v_cmpx_lt_i16_e32 0x7f, v60
	s_xor_b32 s37, exec_lo, s37
	s_cbranch_execnz .LBB6_2612
; %bb.1049:                             ;   in Loop: Header=BB6_394 Depth=4
	s_or_saveexec_b32 s37, s37
	v_mov_b32_e32 v59, s36
	s_xor_b32 exec_lo, exec_lo, s37
	s_cbranch_execnz .LBB6_2615
.LBB6_1050:                             ;   in Loop: Header=BB6_394 Depth=4
	s_or_b32 exec_lo, exec_lo, s37
	s_and_saveexec_b32 s36, s13
	s_cbranch_execz .LBB6_1052
.LBB6_1051:                             ;   in Loop: Header=BB6_394 Depth=4
	v_bfe_u32 v59, v25, 16, 3
	v_bfe_u32 v63, v25, 19, 4
	s_delay_alu instid0(VALU_DEP_2) | instskip(NEXT) | instid1(VALU_DEP_2)
	v_clz_i32_u32_e32 v60, v59
	v_cmp_eq_u32_e32 vcc_lo, 0, v63
	s_delay_alu instid0(VALU_DEP_2) | instskip(NEXT) | instid1(VALU_DEP_1)
	v_min_u32_e32 v60, 32, v60
	v_subrev_nc_u32_e32 v62, 28, v60
	v_sub_nc_u32_e32 v60, 29, v60
	s_delay_alu instid0(VALU_DEP_2) | instskip(SKIP_1) | instid1(VALU_DEP_2)
	v_lshlrev_b32_e32 v62, v62, v58
	v_lshlrev_b32_e32 v58, 24, v58
	v_and_b32_e32 v62, 7, v62
	s_delay_alu instid0(VALU_DEP_2) | instskip(NEXT) | instid1(VALU_DEP_2)
	v_and_b32_e32 v58, 0x80000000, v58
	v_cndmask_b32_e32 v59, v59, v62, vcc_lo
	s_delay_alu instid0(VALU_DEP_1) | instskip(NEXT) | instid1(VALU_DEP_1)
	v_dual_cndmask_b32 v60, v63, v60 :: v_dual_lshlrev_b32 v59, 20, v59
	v_lshl_add_u32 v60, v60, 23, 0x3b800000
	s_delay_alu instid0(VALU_DEP_1)
	v_or3_b32 v59, v58, v60, v59
.LBB6_1052:                             ;   in Loop: Header=BB6_394 Depth=4
	s_or_b32 exec_lo, exec_lo, s36
	s_delay_alu instid0(VALU_DEP_1) | instskip(NEXT) | instid1(VALU_DEP_1)
	v_dual_max_f32 v58, v59, v59 :: v_dual_max_f32 v59, v61, v61
	v_min_f32_e32 v61, v59, v58
.LBB6_1053:                             ;   in Loop: Header=BB6_394 Depth=4
	s_delay_alu instid0(VALU_DEP_1) | instskip(NEXT) | instid1(VALU_DEP_1)
	v_and_b32_e32 v58, 0x7f800000, v61
	v_cmp_ne_u32_e32 vcc_lo, 0x7f800000, v58
	v_mov_b32_e32 v58, 0x80
	s_and_saveexec_b32 s36, vcc_lo
	s_cbranch_execz .LBB6_1061
; %bb.1054:                             ;   in Loop: Header=BB6_394 Depth=4
	v_mov_b32_e32 v58, 0
	s_mov_b32 s37, exec_lo
	v_cmpx_ne_u32_e32 0, v61
	s_cbranch_execz .LBB6_1060
; %bb.1055:                             ;   in Loop: Header=BB6_394 Depth=4
	v_bfe_u32 v58, v61, 23, 8
	s_delay_alu instid0(VALU_DEP_1) | instskip(SKIP_1) | instid1(VALU_DEP_2)
	v_sub_nc_u32_e32 v60, 0x78, v58
	v_cmp_gt_u32_e32 vcc_lo, 0x79, v58
	v_dual_cndmask_b32 v60, 0, v60 :: v_dual_and_b32 v59, 0x7fffff, v61
	s_delay_alu instid0(VALU_DEP_1) | instskip(SKIP_2) | instid1(VALU_DEP_4)
	v_or_b32_e32 v62, 0x800000, v59
	v_cmp_eq_u32_e32 vcc_lo, 0, v58
	v_add_nc_u32_e32 v58, 0xffffff89, v58
	v_cndmask_b32_e64 v60, v60, 0x77, vcc_lo
	s_delay_alu instid0(VALU_DEP_4) | instskip(NEXT) | instid1(VALU_DEP_3)
	v_cndmask_b32_e32 v59, v62, v59, vcc_lo
	v_cndmask_b32_e64 v58, v58, 0xffffff8a, vcc_lo
	s_delay_alu instid0(VALU_DEP_3) | instskip(NEXT) | instid1(VALU_DEP_3)
	v_lshl_add_u32 v62, 0x100000, v60, -1
	v_lshrrev_b32_e32 v63, v60, v59
	v_lshlrev_b32_e64 v73, v60, 0x80000
	s_delay_alu instid0(VALU_DEP_4) | instskip(NEXT) | instid1(VALU_DEP_4)
	v_add_nc_u32_e32 v60, v60, v58
	v_and_b32_e32 v59, v62, v59
	s_delay_alu instid0(VALU_DEP_4) | instskip(NEXT) | instid1(VALU_DEP_2)
	v_bfe_u32 v72, v63, 20, 1
	v_cmp_eq_u32_e64 s13, v59, v73
	s_delay_alu instid0(VALU_DEP_2) | instskip(NEXT) | instid1(VALU_DEP_1)
	v_add_nc_u32_e32 v62, -1, v72
	v_cndmask_b32_e64 v59, 0, v62, s13
	v_lshrrev_b32_e32 v62, 23, v63
	s_mov_b32 s13, exec_lo
	s_delay_alu instid0(VALU_DEP_2) | instskip(NEXT) | instid1(VALU_DEP_2)
	v_add_nc_u32_e32 v59, v59, v63
	v_xor_b32_e32 v62, 1, v62
	s_delay_alu instid0(VALU_DEP_2) | instskip(NEXT) | instid1(VALU_DEP_1)
	v_and_b32_e32 v58, 0xfffff, v59
	v_add_nc_u32_e32 v59, v58, v63
                                        ; implicit-def: $vgpr58
	s_delay_alu instid0(VALU_DEP_3)
	v_cmpx_ne_u32_e64 v60, v62
	s_xor_b32 s13, exec_lo, s13
; %bb.1056:                             ;   in Loop: Header=BB6_394 Depth=4
	s_delay_alu instid0(VALU_DEP_2) | instskip(SKIP_2) | instid1(VALU_DEP_2)
	v_cmp_lt_u32_e32 vcc_lo, 0xffffff, v59
	v_sub_nc_u32_e32 v58, v60, v62
	v_cndmask_b32_e64 v60, 0, 1, vcc_lo
	v_add_co_ci_u32_e32 v58, vcc_lo, 0, v58, vcc_lo
	s_delay_alu instid0(VALU_DEP_2)
	v_lshrrev_b32_e32 v59, v60, v59
; %bb.1057:                             ;   in Loop: Header=BB6_394 Depth=4
	s_and_not1_saveexec_b32 s13, s13
; %bb.1058:                             ;   in Loop: Header=BB6_394 Depth=4
	s_delay_alu instid0(VALU_DEP_1)
	v_bfe_u32 v58, v59, 23, 1
; %bb.1059:                             ;   in Loop: Header=BB6_394 Depth=4
	s_or_b32 exec_lo, exec_lo, s13
	v_lshrrev_b32_e32 v59, 20, v59
	s_delay_alu instid0(VALU_DEP_2) | instskip(SKIP_2) | instid1(VALU_DEP_2)
	v_cmp_gt_i32_e32 vcc_lo, 16, v58
	v_min_i32_e32 v60, 15, v58
	v_lshrrev_b32_e32 v61, 24, v61
	v_dual_cndmask_b32 v59, 7, v59 :: v_dual_lshlrev_b32 v60, 3, v60
	s_delay_alu instid0(VALU_DEP_1) | instskip(SKIP_1) | instid1(VALU_DEP_3)
	v_or_b32_e32 v58, v58, v59
	v_and_b32_e32 v62, 7, v59
	v_and_b32_e32 v60, 0xf8, v60
	s_delay_alu instid0(VALU_DEP_3) | instskip(SKIP_1) | instid1(VALU_DEP_1)
	v_cmp_ne_u32_e32 vcc_lo, 0, v58
	v_and_b32_e32 v61, 0x80, v61
	v_or3_b32 v59, v60, v61, v62
	s_delay_alu instid0(VALU_DEP_1)
	v_cndmask_b32_e32 v58, 0, v59, vcc_lo
.LBB6_1060:                             ;   in Loop: Header=BB6_394 Depth=4
	s_or_b32 exec_lo, exec_lo, s37
.LBB6_1061:                             ;   in Loop: Header=BB6_394 Depth=4
	s_delay_alu instid0(SALU_CYCLE_1) | instskip(SKIP_3) | instid1(VALU_DEP_2)
	s_or_b32 exec_lo, exec_lo, s36
	v_lshrrev_b32_e32 v60, 24, v33
	v_lshrrev_b32_e32 v59, 24, v25
	s_and_not1_b32 vcc_lo, exec_lo, s35
	v_cmp_lt_i16_e64 s13, 0x7f, v60
	s_cbranch_vccnz .LBB6_1071
; %bb.1062:                             ;   in Loop: Header=BB6_394 Depth=4
	s_mov_b32 s36, 0
                                        ; implicit-def: $sgpr37
	s_delay_alu instid0(VALU_DEP_1) | instskip(NEXT) | instid1(SALU_CYCLE_1)
	s_and_saveexec_b32 vcc_lo, s13
	s_xor_b32 s13, exec_lo, vcc_lo
	s_cbranch_execnz .LBB6_2616
; %bb.1063:                             ;   in Loop: Header=BB6_394 Depth=4
	s_or_saveexec_b32 s13, s13
	v_mov_b32_e32 v61, s37
	s_xor_b32 exec_lo, exec_lo, s13
	s_cbranch_execnz .LBB6_2619
.LBB6_1064:                             ;   in Loop: Header=BB6_394 Depth=4
	s_or_b32 exec_lo, exec_lo, s13
	s_and_saveexec_b32 s13, s36
	s_cbranch_execz .LBB6_1066
.LBB6_1065:                             ;   in Loop: Header=BB6_394 Depth=4
	v_bfe_u32 v61, v33, 24, 3
	v_bfe_u32 v72, v33, 27, 4
	s_delay_alu instid0(VALU_DEP_2) | instskip(NEXT) | instid1(VALU_DEP_2)
	v_clz_i32_u32_e32 v62, v61
	v_cmp_eq_u32_e32 vcc_lo, 0, v72
	s_delay_alu instid0(VALU_DEP_2) | instskip(NEXT) | instid1(VALU_DEP_1)
	v_min_u32_e32 v62, 32, v62
	v_subrev_nc_u32_e32 v63, 28, v62
	v_sub_nc_u32_e32 v62, 29, v62
	s_delay_alu instid0(VALU_DEP_1) | instskip(NEXT) | instid1(VALU_DEP_1)
	v_dual_cndmask_b32 v62, v72, v62 :: v_dual_lshlrev_b32 v63, v63, v60
	v_and_b32_e32 v63, 7, v63
	s_delay_alu instid0(VALU_DEP_2) | instskip(NEXT) | instid1(VALU_DEP_2)
	v_lshl_add_u32 v62, v62, 23, 0x3b800000
	v_cndmask_b32_e32 v61, v61, v63, vcc_lo
	v_and_b32_e32 v63, 0x80000000, v33
	s_delay_alu instid0(VALU_DEP_2) | instskip(NEXT) | instid1(VALU_DEP_1)
	v_lshlrev_b32_e32 v61, 20, v61
	v_or3_b32 v61, v63, v62, v61
.LBB6_1066:                             ;   in Loop: Header=BB6_394 Depth=4
	s_or_b32 exec_lo, exec_lo, s13
	s_mov_b32 s13, 0
	s_mov_b32 s37, exec_lo
                                        ; implicit-def: $sgpr36
	v_cmpx_lt_i16_e32 0x7f, v59
	s_xor_b32 s37, exec_lo, s37
	s_cbranch_execnz .LBB6_2620
; %bb.1067:                             ;   in Loop: Header=BB6_394 Depth=4
	s_or_saveexec_b32 s37, s37
	v_mov_b32_e32 v62, s36
	s_xor_b32 exec_lo, exec_lo, s37
	s_cbranch_execnz .LBB6_2623
.LBB6_1068:                             ;   in Loop: Header=BB6_394 Depth=4
	s_or_b32 exec_lo, exec_lo, s37
	s_and_saveexec_b32 s36, s13
	s_cbranch_execz .LBB6_1070
.LBB6_1069:                             ;   in Loop: Header=BB6_394 Depth=4
	v_bfe_u32 v62, v25, 24, 3
	v_bfe_u32 v73, v25, 27, 4
	s_delay_alu instid0(VALU_DEP_2) | instskip(NEXT) | instid1(VALU_DEP_2)
	v_clz_i32_u32_e32 v63, v62
	v_cmp_eq_u32_e32 vcc_lo, 0, v73
	s_delay_alu instid0(VALU_DEP_2) | instskip(NEXT) | instid1(VALU_DEP_1)
	v_min_u32_e32 v63, 32, v63
	v_subrev_nc_u32_e32 v72, 28, v63
	v_sub_nc_u32_e32 v63, 29, v63
	s_delay_alu instid0(VALU_DEP_2) | instskip(NEXT) | instid1(VALU_DEP_1)
	v_lshlrev_b32_e32 v72, v72, v59
	v_dual_cndmask_b32 v63, v73, v63 :: v_dual_and_b32 v72, 7, v72
	s_delay_alu instid0(VALU_DEP_1) | instskip(NEXT) | instid1(VALU_DEP_2)
	v_lshl_add_u32 v63, v63, 23, 0x3b800000
	v_cndmask_b32_e32 v62, v62, v72, vcc_lo
	v_and_b32_e32 v72, 0x80000000, v25
	s_delay_alu instid0(VALU_DEP_2) | instskip(NEXT) | instid1(VALU_DEP_1)
	v_lshlrev_b32_e32 v62, 20, v62
	v_or3_b32 v62, v72, v63, v62
.LBB6_1070:                             ;   in Loop: Header=BB6_394 Depth=4
	s_or_b32 exec_lo, exec_lo, s36
	s_delay_alu instid0(VALU_DEP_1) | instskip(SKIP_1) | instid1(VALU_DEP_1)
	v_dual_max_f32 v62, v62, v62 :: v_dual_max_f32 v61, v61, v61
	s_mov_b32 s13, 0
	v_max_f32_e32 v61, v61, v62
	s_branch .LBB6_1072
.LBB6_1071:                             ;   in Loop: Header=BB6_394 Depth=4
	s_mov_b32 s13, -1
                                        ; implicit-def: $vgpr61
.LBB6_1072:                             ;   in Loop: Header=BB6_394 Depth=4
	s_delay_alu instid0(SALU_CYCLE_1)
	s_and_b32 vcc_lo, exec_lo, s13
	s_cbranch_vccz .LBB6_1082
; %bb.1073:                             ;   in Loop: Header=BB6_394 Depth=4
	s_mov_b32 s13, 0
	s_mov_b32 s37, exec_lo
                                        ; implicit-def: $sgpr36
	v_cmpx_lt_i16_e32 0x7f, v60
	s_xor_b32 s37, exec_lo, s37
	s_cbranch_execnz .LBB6_2624
; %bb.1074:                             ;   in Loop: Header=BB6_394 Depth=4
	s_or_saveexec_b32 s37, s37
	v_mov_b32_e32 v61, s36
	s_xor_b32 exec_lo, exec_lo, s37
	s_cbranch_execnz .LBB6_2627
.LBB6_1075:                             ;   in Loop: Header=BB6_394 Depth=4
	s_or_b32 exec_lo, exec_lo, s37
	s_and_saveexec_b32 s36, s13
	s_cbranch_execz .LBB6_1077
.LBB6_1076:                             ;   in Loop: Header=BB6_394 Depth=4
	v_bfe_u32 v61, v33, 24, 3
	s_delay_alu instid0(VALU_DEP_1) | instskip(NEXT) | instid1(VALU_DEP_1)
	v_clz_i32_u32_e32 v62, v61
	v_min_u32_e32 v62, 32, v62
	s_delay_alu instid0(VALU_DEP_1) | instskip(SKIP_1) | instid1(VALU_DEP_2)
	v_subrev_nc_u32_e32 v63, 28, v62
	v_sub_nc_u32_e32 v62, 29, v62
	v_lshlrev_b32_e32 v60, v63, v60
	v_bfe_u32 v63, v33, 27, 4
	v_and_b32_e32 v33, 0x80000000, v33
	s_delay_alu instid0(VALU_DEP_3) | instskip(NEXT) | instid1(VALU_DEP_3)
	v_and_b32_e32 v60, 7, v60
	v_cmp_eq_u32_e32 vcc_lo, 0, v63
	v_cndmask_b32_e32 v62, v63, v62, vcc_lo
	s_delay_alu instid0(VALU_DEP_3) | instskip(NEXT) | instid1(VALU_DEP_2)
	v_cndmask_b32_e32 v60, v61, v60, vcc_lo
	v_lshl_add_u32 v61, v62, 23, 0x3b800000
	s_delay_alu instid0(VALU_DEP_2) | instskip(NEXT) | instid1(VALU_DEP_1)
	v_lshlrev_b32_e32 v60, 20, v60
	v_or3_b32 v61, v33, v61, v60
.LBB6_1077:                             ;   in Loop: Header=BB6_394 Depth=4
	s_or_b32 exec_lo, exec_lo, s36
	s_mov_b32 s13, 0
	s_mov_b32 s37, exec_lo
                                        ; implicit-def: $sgpr36
	v_cmpx_lt_i16_e32 0x7f, v59
	s_xor_b32 s37, exec_lo, s37
	s_cbranch_execnz .LBB6_2628
; %bb.1078:                             ;   in Loop: Header=BB6_394 Depth=4
	s_or_saveexec_b32 s37, s37
	v_mov_b32_e32 v33, s36
	s_xor_b32 exec_lo, exec_lo, s37
	s_cbranch_execnz .LBB6_2631
.LBB6_1079:                             ;   in Loop: Header=BB6_394 Depth=4
	s_or_b32 exec_lo, exec_lo, s37
	s_and_saveexec_b32 s36, s13
	s_cbranch_execz .LBB6_1081
.LBB6_1080:                             ;   in Loop: Header=BB6_394 Depth=4
	v_bfe_u32 v33, v25, 24, 3
	s_delay_alu instid0(VALU_DEP_1) | instskip(NEXT) | instid1(VALU_DEP_1)
	v_clz_i32_u32_e32 v60, v33
	v_min_u32_e32 v60, 32, v60
	s_delay_alu instid0(VALU_DEP_1) | instskip(SKIP_1) | instid1(VALU_DEP_2)
	v_subrev_nc_u32_e32 v62, 28, v60
	v_sub_nc_u32_e32 v60, 29, v60
	v_lshlrev_b32_e32 v59, v62, v59
	v_bfe_u32 v62, v25, 27, 4
	v_and_b32_e32 v25, 0x80000000, v25
	s_delay_alu instid0(VALU_DEP_2) | instskip(NEXT) | instid1(VALU_DEP_4)
	v_cmp_eq_u32_e32 vcc_lo, 0, v62
	v_dual_cndmask_b32 v60, v62, v60 :: v_dual_and_b32 v59, 7, v59
	s_delay_alu instid0(VALU_DEP_1) | instskip(NEXT) | instid1(VALU_DEP_2)
	v_cndmask_b32_e32 v33, v33, v59, vcc_lo
	v_lshl_add_u32 v59, v60, 23, 0x3b800000
	s_delay_alu instid0(VALU_DEP_2) | instskip(NEXT) | instid1(VALU_DEP_1)
	v_lshlrev_b32_e32 v33, 20, v33
	v_or3_b32 v33, v25, v59, v33
.LBB6_1081:                             ;   in Loop: Header=BB6_394 Depth=4
	s_or_b32 exec_lo, exec_lo, s36
	s_delay_alu instid0(VALU_DEP_1) | instskip(SKIP_1) | instid1(VALU_DEP_1)
	v_max_f32_e32 v25, v33, v33
	v_max_f32_e32 v33, v61, v61
	v_min_f32_e32 v61, v33, v25
.LBB6_1082:                             ;   in Loop: Header=BB6_394 Depth=4
	s_delay_alu instid0(VALU_DEP_1) | instskip(NEXT) | instid1(VALU_DEP_1)
	v_and_b32_e32 v25, 0x7f800000, v61
	v_cmp_ne_u32_e32 vcc_lo, 0x7f800000, v25
	v_mov_b32_e32 v25, 0x8000
	s_and_saveexec_b32 s36, vcc_lo
	s_cbranch_execz .LBB6_1090
; %bb.1083:                             ;   in Loop: Header=BB6_394 Depth=4
	v_mov_b32_e32 v25, 0
	s_mov_b32 s37, exec_lo
	v_cmpx_ne_u32_e32 0, v61
	s_cbranch_execz .LBB6_1089
; %bb.1084:                             ;   in Loop: Header=BB6_394 Depth=4
	v_bfe_u32 v25, v61, 23, 8
	v_and_b32_e32 v33, 0x7fffff, v61
	s_delay_alu instid0(VALU_DEP_2) | instskip(SKIP_1) | instid1(VALU_DEP_3)
	v_sub_nc_u32_e32 v59, 0x78, v25
	v_cmp_gt_u32_e32 vcc_lo, 0x79, v25
	v_or_b32_e32 v60, 0x800000, v33
	s_delay_alu instid0(VALU_DEP_3) | instskip(SKIP_2) | instid1(VALU_DEP_3)
	v_cndmask_b32_e32 v59, 0, v59, vcc_lo
	v_cmp_eq_u32_e32 vcc_lo, 0, v25
	v_add_nc_u32_e32 v25, 0xffffff89, v25
	v_cndmask_b32_e64 v59, v59, 0x77, vcc_lo
	v_cndmask_b32_e32 v33, v60, v33, vcc_lo
	s_delay_alu instid0(VALU_DEP_3) | instskip(NEXT) | instid1(VALU_DEP_3)
	v_cndmask_b32_e64 v25, v25, 0xffffff8a, vcc_lo
	v_lshl_add_u32 v60, 0x100000, v59, -1
	s_delay_alu instid0(VALU_DEP_3) | instskip(SKIP_1) | instid1(VALU_DEP_4)
	v_lshrrev_b32_e32 v62, v59, v33
	v_lshlrev_b32_e64 v72, v59, 0x80000
	v_add_nc_u32_e32 v59, v59, v25
	s_delay_alu instid0(VALU_DEP_4) | instskip(NEXT) | instid1(VALU_DEP_4)
	v_and_b32_e32 v33, v60, v33
	v_bfe_u32 v63, v62, 20, 1
	s_delay_alu instid0(VALU_DEP_2) | instskip(NEXT) | instid1(VALU_DEP_2)
	v_cmp_eq_u32_e64 s13, v33, v72
	v_add_nc_u32_e32 v60, -1, v63
	s_delay_alu instid0(VALU_DEP_1) | instskip(SKIP_2) | instid1(VALU_DEP_2)
	v_cndmask_b32_e64 v33, 0, v60, s13
	v_lshrrev_b32_e32 v60, 23, v62
	s_mov_b32 s13, exec_lo
	v_add_nc_u32_e32 v33, v33, v62
	s_delay_alu instid0(VALU_DEP_2) | instskip(NEXT) | instid1(VALU_DEP_2)
	v_xor_b32_e32 v60, 1, v60
	v_and_b32_e32 v25, 0xfffff, v33
	s_delay_alu instid0(VALU_DEP_1) | instskip(NEXT) | instid1(VALU_DEP_3)
	v_add_nc_u32_e32 v33, v25, v62
                                        ; implicit-def: $vgpr25
	v_cmpx_ne_u32_e64 v59, v60
	s_xor_b32 s13, exec_lo, s13
; %bb.1085:                             ;   in Loop: Header=BB6_394 Depth=4
	s_delay_alu instid0(VALU_DEP_2) | instskip(SKIP_2) | instid1(VALU_DEP_2)
	v_cmp_lt_u32_e32 vcc_lo, 0xffffff, v33
	v_sub_nc_u32_e32 v25, v59, v60
	v_cndmask_b32_e64 v59, 0, 1, vcc_lo
	v_add_co_ci_u32_e32 v25, vcc_lo, 0, v25, vcc_lo
	s_delay_alu instid0(VALU_DEP_2)
	v_lshrrev_b32_e32 v33, v59, v33
; %bb.1086:                             ;   in Loop: Header=BB6_394 Depth=4
	s_and_not1_saveexec_b32 s13, s13
; %bb.1087:                             ;   in Loop: Header=BB6_394 Depth=4
	s_delay_alu instid0(VALU_DEP_1)
	v_bfe_u32 v25, v33, 23, 1
; %bb.1088:                             ;   in Loop: Header=BB6_394 Depth=4
	s_or_b32 exec_lo, exec_lo, s13
	v_lshrrev_b32_e32 v33, 20, v33
	s_delay_alu instid0(VALU_DEP_2) | instskip(SKIP_2) | instid1(VALU_DEP_3)
	v_min_i32_e32 v59, 15, v25
	v_cmp_gt_i32_e32 vcc_lo, 16, v25
	v_lshrrev_b32_e32 v60, 24, v61
	v_lshlrev_b32_e32 v59, 3, v59
	s_delay_alu instid0(VALU_DEP_2) | instskip(NEXT) | instid1(VALU_DEP_2)
	v_dual_cndmask_b32 v33, 7, v33 :: v_dual_and_b32 v60, 0x80, v60
	v_and_b32_e32 v59, 0xf8, v59
	s_delay_alu instid0(VALU_DEP_2) | instskip(SKIP_1) | instid1(VALU_DEP_2)
	v_and_b32_e32 v61, 7, v33
	v_or_b32_e32 v25, v25, v33
	v_or3_b32 v59, v60, v59, v61
	s_delay_alu instid0(VALU_DEP_2) | instskip(NEXT) | instid1(VALU_DEP_2)
	v_cmp_ne_u32_e32 vcc_lo, 0, v25
	v_lshlrev_b32_e32 v33, 8, v59
	s_delay_alu instid0(VALU_DEP_1)
	v_cndmask_b32_e32 v25, 0, v33, vcc_lo
.LBB6_1089:                             ;   in Loop: Header=BB6_394 Depth=4
	s_or_b32 exec_lo, exec_lo, s37
.LBB6_1090:                             ;   in Loop: Header=BB6_394 Depth=4
	s_delay_alu instid0(SALU_CYCLE_1) | instskip(SKIP_2) | instid1(VALU_DEP_1)
	s_or_b32 exec_lo, exec_lo, s36
	v_and_b32_e32 v33, 0xff, v34
	s_and_not1_b32 vcc_lo, exec_lo, s35
	v_cmp_lt_i16_e64 s13, 0x7f, v33
	s_cbranch_vccnz .LBB6_1100
; %bb.1091:                             ;   in Loop: Header=BB6_394 Depth=4
	s_mov_b32 s36, 0
                                        ; implicit-def: $sgpr37
	s_delay_alu instid0(VALU_DEP_1) | instskip(NEXT) | instid1(SALU_CYCLE_1)
	s_and_saveexec_b32 vcc_lo, s13
	s_xor_b32 s13, exec_lo, vcc_lo
	s_cbranch_execnz .LBB6_2632
; %bb.1092:                             ;   in Loop: Header=BB6_394 Depth=4
	s_or_saveexec_b32 s13, s13
	v_mov_b32_e32 v59, s37
	s_xor_b32 exec_lo, exec_lo, s13
	s_cbranch_execnz .LBB6_2635
.LBB6_1093:                             ;   in Loop: Header=BB6_394 Depth=4
	s_or_b32 exec_lo, exec_lo, s13
	s_and_saveexec_b32 s13, s36
	s_cbranch_execz .LBB6_1095
.LBB6_1094:                             ;   in Loop: Header=BB6_394 Depth=4
	v_bfe_u32 v62, v34, 3, 4
	v_lshlrev_b32_e32 v63, 24, v34
	s_delay_alu instid0(VALU_DEP_2) | instskip(SKIP_1) | instid1(VALU_DEP_1)
	v_cmp_eq_u32_e32 vcc_lo, 0, v62
	v_and_b32_e32 v59, 7, v34
	v_clz_i32_u32_e32 v60, v59
	s_delay_alu instid0(VALU_DEP_1) | instskip(NEXT) | instid1(VALU_DEP_1)
	v_min_u32_e32 v60, 32, v60
	v_subrev_nc_u32_e32 v61, 28, v60
	v_sub_nc_u32_e32 v60, 29, v60
	s_delay_alu instid0(VALU_DEP_1) | instskip(NEXT) | instid1(VALU_DEP_1)
	v_dual_cndmask_b32 v60, v62, v60 :: v_dual_lshlrev_b32 v61, v61, v34
	v_and_b32_e32 v61, 7, v61
	s_delay_alu instid0(VALU_DEP_2) | instskip(NEXT) | instid1(VALU_DEP_2)
	v_lshl_add_u32 v60, v60, 23, 0x3b800000
	v_cndmask_b32_e32 v59, v59, v61, vcc_lo
	v_and_b32_e32 v61, 0x80000000, v63
	s_delay_alu instid0(VALU_DEP_2) | instskip(NEXT) | instid1(VALU_DEP_1)
	v_lshlrev_b32_e32 v59, 20, v59
	v_or3_b32 v59, v61, v60, v59
.LBB6_1095:                             ;   in Loop: Header=BB6_394 Depth=4
	s_or_b32 exec_lo, exec_lo, s13
	v_and_b32_e32 v61, 0xff, v26
	s_mov_b32 s13, 0
	s_mov_b32 s37, exec_lo
                                        ; implicit-def: $sgpr36
	s_delay_alu instid0(VALU_DEP_1)
	v_cmpx_lt_i16_e32 0x7f, v61
	s_xor_b32 s37, exec_lo, s37
	s_cbranch_execnz .LBB6_2636
; %bb.1096:                             ;   in Loop: Header=BB6_394 Depth=4
	s_or_saveexec_b32 s37, s37
	v_mov_b32_e32 v60, s36
	s_xor_b32 exec_lo, exec_lo, s37
	s_cbranch_execnz .LBB6_2639
.LBB6_1097:                             ;   in Loop: Header=BB6_394 Depth=4
	s_or_b32 exec_lo, exec_lo, s37
	s_and_saveexec_b32 s36, s13
	s_cbranch_execz .LBB6_1099
.LBB6_1098:                             ;   in Loop: Header=BB6_394 Depth=4
	v_bfe_u32 v63, v26, 3, 4
	v_lshlrev_b32_e32 v72, 24, v26
	s_delay_alu instid0(VALU_DEP_2) | instskip(SKIP_1) | instid1(VALU_DEP_1)
	v_cmp_eq_u32_e32 vcc_lo, 0, v63
	v_and_b32_e32 v60, 7, v26
	v_clz_i32_u32_e32 v61, v60
	s_delay_alu instid0(VALU_DEP_1) | instskip(NEXT) | instid1(VALU_DEP_1)
	v_min_u32_e32 v61, 32, v61
	v_subrev_nc_u32_e32 v62, 28, v61
	v_sub_nc_u32_e32 v61, 29, v61
	s_delay_alu instid0(VALU_DEP_1) | instskip(NEXT) | instid1(VALU_DEP_1)
	v_dual_cndmask_b32 v61, v63, v61 :: v_dual_lshlrev_b32 v62, v62, v26
	v_and_b32_e32 v62, 7, v62
	s_delay_alu instid0(VALU_DEP_2) | instskip(NEXT) | instid1(VALU_DEP_2)
	v_lshl_add_u32 v61, v61, 23, 0x3b800000
	v_cndmask_b32_e32 v60, v60, v62, vcc_lo
	v_and_b32_e32 v62, 0x80000000, v72
	s_delay_alu instid0(VALU_DEP_2) | instskip(NEXT) | instid1(VALU_DEP_1)
	v_lshlrev_b32_e32 v60, 20, v60
	v_or3_b32 v60, v62, v61, v60
.LBB6_1099:                             ;   in Loop: Header=BB6_394 Depth=4
	s_or_b32 exec_lo, exec_lo, s36
	s_delay_alu instid0(VALU_DEP_1) | instskip(SKIP_1) | instid1(VALU_DEP_1)
	v_dual_max_f32 v60, v60, v60 :: v_dual_max_f32 v59, v59, v59
	s_mov_b32 s13, 0
	v_max_f32_e32 v59, v59, v60
	s_branch .LBB6_1101
.LBB6_1100:                             ;   in Loop: Header=BB6_394 Depth=4
	s_mov_b32 s13, -1
                                        ; implicit-def: $vgpr59
.LBB6_1101:                             ;   in Loop: Header=BB6_394 Depth=4
	s_delay_alu instid0(SALU_CYCLE_1)
	s_and_b32 vcc_lo, exec_lo, s13
	s_cbranch_vccz .LBB6_1111
; %bb.1102:                             ;   in Loop: Header=BB6_394 Depth=4
	s_mov_b32 s13, 0
	s_mov_b32 s37, exec_lo
                                        ; implicit-def: $sgpr36
	v_cmpx_lt_i16_e32 0x7f, v33
	s_xor_b32 s37, exec_lo, s37
	s_cbranch_execnz .LBB6_2640
; %bb.1103:                             ;   in Loop: Header=BB6_394 Depth=4
	s_or_saveexec_b32 s37, s37
	v_mov_b32_e32 v59, s36
	s_xor_b32 exec_lo, exec_lo, s37
	s_cbranch_execnz .LBB6_2643
.LBB6_1104:                             ;   in Loop: Header=BB6_394 Depth=4
	s_or_b32 exec_lo, exec_lo, s37
	s_and_saveexec_b32 s36, s13
	s_cbranch_execz .LBB6_1106
.LBB6_1105:                             ;   in Loop: Header=BB6_394 Depth=4
	v_and_b32_e32 v33, 7, v34
	v_bfe_u32 v61, v34, 3, 4
	s_delay_alu instid0(VALU_DEP_2) | instskip(NEXT) | instid1(VALU_DEP_2)
	v_clz_i32_u32_e32 v59, v33
	v_cmp_eq_u32_e32 vcc_lo, 0, v61
	s_delay_alu instid0(VALU_DEP_2) | instskip(NEXT) | instid1(VALU_DEP_1)
	v_min_u32_e32 v59, 32, v59
	v_subrev_nc_u32_e32 v60, 28, v59
	v_sub_nc_u32_e32 v59, 29, v59
	s_delay_alu instid0(VALU_DEP_1) | instskip(NEXT) | instid1(VALU_DEP_1)
	v_dual_cndmask_b32 v59, v61, v59 :: v_dual_lshlrev_b32 v60, v60, v34
	v_and_b32_e32 v60, 7, v60
	v_lshlrev_b32_e32 v62, 24, v34
	s_delay_alu instid0(VALU_DEP_3) | instskip(NEXT) | instid1(VALU_DEP_2)
	v_lshl_add_u32 v59, v59, 23, 0x3b800000
	v_dual_cndmask_b32 v33, v33, v60 :: v_dual_and_b32 v60, 0x80000000, v62
	s_delay_alu instid0(VALU_DEP_1) | instskip(NEXT) | instid1(VALU_DEP_1)
	v_lshlrev_b32_e32 v33, 20, v33
	v_or3_b32 v59, v60, v59, v33
.LBB6_1106:                             ;   in Loop: Header=BB6_394 Depth=4
	s_or_b32 exec_lo, exec_lo, s36
	v_and_b32_e32 v60, 0xff, v26
	s_mov_b32 s13, 0
	s_mov_b32 s37, exec_lo
                                        ; implicit-def: $sgpr36
	s_delay_alu instid0(VALU_DEP_1)
	v_cmpx_lt_i16_e32 0x7f, v60
	s_xor_b32 s37, exec_lo, s37
	s_cbranch_execnz .LBB6_2644
; %bb.1107:                             ;   in Loop: Header=BB6_394 Depth=4
	s_or_saveexec_b32 s37, s37
	v_mov_b32_e32 v33, s36
	s_xor_b32 exec_lo, exec_lo, s37
	s_cbranch_execnz .LBB6_2647
.LBB6_1108:                             ;   in Loop: Header=BB6_394 Depth=4
	s_or_b32 exec_lo, exec_lo, s37
	s_and_saveexec_b32 s36, s13
	s_cbranch_execz .LBB6_1110
.LBB6_1109:                             ;   in Loop: Header=BB6_394 Depth=4
	v_bfe_u32 v62, v26, 3, 4
	v_lshlrev_b32_e32 v63, 24, v26
	s_delay_alu instid0(VALU_DEP_2) | instskip(SKIP_1) | instid1(VALU_DEP_1)
	v_cmp_eq_u32_e32 vcc_lo, 0, v62
	v_and_b32_e32 v33, 7, v26
	v_clz_i32_u32_e32 v60, v33
	s_delay_alu instid0(VALU_DEP_1) | instskip(NEXT) | instid1(VALU_DEP_1)
	v_min_u32_e32 v60, 32, v60
	v_subrev_nc_u32_e32 v61, 28, v60
	v_sub_nc_u32_e32 v60, 29, v60
	s_delay_alu instid0(VALU_DEP_1) | instskip(NEXT) | instid1(VALU_DEP_1)
	v_dual_cndmask_b32 v60, v62, v60 :: v_dual_lshlrev_b32 v61, v61, v26
	v_and_b32_e32 v61, 7, v61
	s_delay_alu instid0(VALU_DEP_2) | instskip(NEXT) | instid1(VALU_DEP_2)
	v_lshl_add_u32 v60, v60, 23, 0x3b800000
	v_cndmask_b32_e32 v33, v33, v61, vcc_lo
	v_and_b32_e32 v61, 0x80000000, v63
	s_delay_alu instid0(VALU_DEP_2) | instskip(NEXT) | instid1(VALU_DEP_1)
	v_lshlrev_b32_e32 v33, 20, v33
	v_or3_b32 v33, v61, v60, v33
.LBB6_1110:                             ;   in Loop: Header=BB6_394 Depth=4
	s_or_b32 exec_lo, exec_lo, s36
	s_delay_alu instid0(VALU_DEP_1) | instskip(SKIP_1) | instid1(VALU_DEP_1)
	v_max_f32_e32 v33, v33, v33
	v_max_f32_e32 v59, v59, v59
	v_min_f32_e32 v59, v59, v33
.LBB6_1111:                             ;   in Loop: Header=BB6_394 Depth=4
	s_delay_alu instid0(VALU_DEP_1) | instskip(NEXT) | instid1(VALU_DEP_1)
	v_and_b32_e32 v33, 0x7f800000, v59
	v_cmp_ne_u32_e32 vcc_lo, 0x7f800000, v33
	v_mov_b32_e32 v33, 0x80
	s_and_saveexec_b32 s36, vcc_lo
	s_cbranch_execz .LBB6_1119
; %bb.1112:                             ;   in Loop: Header=BB6_394 Depth=4
	v_mov_b32_e32 v33, 0
	s_mov_b32 s37, exec_lo
	v_cmpx_ne_u32_e32 0, v59
	s_cbranch_execz .LBB6_1118
; %bb.1113:                             ;   in Loop: Header=BB6_394 Depth=4
	v_bfe_u32 v33, v59, 23, 8
	s_delay_alu instid0(VALU_DEP_1) | instskip(SKIP_1) | instid1(VALU_DEP_2)
	v_sub_nc_u32_e32 v61, 0x78, v33
	v_cmp_gt_u32_e32 vcc_lo, 0x79, v33
	v_dual_cndmask_b32 v61, 0, v61 :: v_dual_and_b32 v60, 0x7fffff, v59
	s_delay_alu instid0(VALU_DEP_1) | instskip(SKIP_2) | instid1(VALU_DEP_4)
	v_or_b32_e32 v62, 0x800000, v60
	v_cmp_eq_u32_e32 vcc_lo, 0, v33
	v_add_nc_u32_e32 v33, 0xffffff89, v33
	v_cndmask_b32_e64 v61, v61, 0x77, vcc_lo
	s_delay_alu instid0(VALU_DEP_4) | instskip(NEXT) | instid1(VALU_DEP_3)
	v_cndmask_b32_e32 v60, v62, v60, vcc_lo
	v_cndmask_b32_e64 v33, v33, 0xffffff8a, vcc_lo
	s_delay_alu instid0(VALU_DEP_3) | instskip(NEXT) | instid1(VALU_DEP_3)
	v_lshl_add_u32 v62, 0x100000, v61, -1
	v_lshrrev_b32_e32 v63, v61, v60
	v_lshlrev_b32_e64 v73, v61, 0x80000
	s_delay_alu instid0(VALU_DEP_4) | instskip(NEXT) | instid1(VALU_DEP_4)
	v_add_nc_u32_e32 v61, v61, v33
	v_and_b32_e32 v60, v62, v60
	s_delay_alu instid0(VALU_DEP_4) | instskip(NEXT) | instid1(VALU_DEP_2)
	v_bfe_u32 v72, v63, 20, 1
	v_cmp_eq_u32_e64 s13, v60, v73
	s_delay_alu instid0(VALU_DEP_2) | instskip(NEXT) | instid1(VALU_DEP_1)
	v_add_nc_u32_e32 v62, -1, v72
	v_cndmask_b32_e64 v60, 0, v62, s13
	v_lshrrev_b32_e32 v62, 23, v63
	s_mov_b32 s13, exec_lo
	s_delay_alu instid0(VALU_DEP_2) | instskip(NEXT) | instid1(VALU_DEP_2)
	v_add_nc_u32_e32 v60, v60, v63
	v_xor_b32_e32 v62, 1, v62
	s_delay_alu instid0(VALU_DEP_2) | instskip(NEXT) | instid1(VALU_DEP_1)
	v_and_b32_e32 v33, 0xfffff, v60
	v_add_nc_u32_e32 v60, v33, v63
                                        ; implicit-def: $vgpr33
	s_delay_alu instid0(VALU_DEP_3)
	v_cmpx_ne_u32_e64 v61, v62
	s_xor_b32 s13, exec_lo, s13
; %bb.1114:                             ;   in Loop: Header=BB6_394 Depth=4
	s_delay_alu instid0(VALU_DEP_2) | instskip(SKIP_2) | instid1(VALU_DEP_2)
	v_cmp_lt_u32_e32 vcc_lo, 0xffffff, v60
	v_sub_nc_u32_e32 v33, v61, v62
	v_cndmask_b32_e64 v61, 0, 1, vcc_lo
	v_add_co_ci_u32_e32 v33, vcc_lo, 0, v33, vcc_lo
	s_delay_alu instid0(VALU_DEP_2)
	v_lshrrev_b32_e32 v60, v61, v60
; %bb.1115:                             ;   in Loop: Header=BB6_394 Depth=4
	s_and_not1_saveexec_b32 s13, s13
; %bb.1116:                             ;   in Loop: Header=BB6_394 Depth=4
	s_delay_alu instid0(VALU_DEP_1)
	v_bfe_u32 v33, v60, 23, 1
; %bb.1117:                             ;   in Loop: Header=BB6_394 Depth=4
	s_or_b32 exec_lo, exec_lo, s13
	v_lshrrev_b32_e32 v60, 20, v60
	s_delay_alu instid0(VALU_DEP_2) | instskip(SKIP_2) | instid1(VALU_DEP_2)
	v_cmp_gt_i32_e32 vcc_lo, 16, v33
	v_lshrrev_b32_e32 v59, 24, v59
	v_min_i32_e32 v61, 15, v33
	v_dual_cndmask_b32 v60, 7, v60 :: v_dual_and_b32 v59, 0x80, v59
	s_delay_alu instid0(VALU_DEP_2) | instskip(NEXT) | instid1(VALU_DEP_2)
	v_lshlrev_b32_e32 v61, 3, v61
	v_or_b32_e32 v33, v33, v60
	s_delay_alu instid0(VALU_DEP_1) | instskip(SKIP_1) | instid1(VALU_DEP_1)
	v_cmp_ne_u32_e32 vcc_lo, 0, v33
	v_and_b32_e32 v62, 7, v60
	v_or3_b32 v59, v61, v59, v62
	s_delay_alu instid0(VALU_DEP_1)
	v_cndmask_b32_e32 v33, 0, v59, vcc_lo
.LBB6_1118:                             ;   in Loop: Header=BB6_394 Depth=4
	s_or_b32 exec_lo, exec_lo, s37
.LBB6_1119:                             ;   in Loop: Header=BB6_394 Depth=4
	s_delay_alu instid0(SALU_CYCLE_1) | instskip(SKIP_3) | instid1(VALU_DEP_2)
	s_or_b32 exec_lo, exec_lo, s36
	v_lshrrev_b16 v60, 8, v34
	v_lshrrev_b16 v59, 8, v26
	s_and_not1_b32 vcc_lo, exec_lo, s35
	v_cmp_lt_i16_e64 s13, 0x7f, v60
	s_cbranch_vccnz .LBB6_1129
; %bb.1120:                             ;   in Loop: Header=BB6_394 Depth=4
	s_mov_b32 s36, 0
                                        ; implicit-def: $sgpr37
	s_delay_alu instid0(VALU_DEP_1) | instskip(NEXT) | instid1(SALU_CYCLE_1)
	s_and_saveexec_b32 vcc_lo, s13
	s_xor_b32 s13, exec_lo, vcc_lo
	s_cbranch_execnz .LBB6_2648
; %bb.1121:                             ;   in Loop: Header=BB6_394 Depth=4
	s_or_saveexec_b32 s13, s13
	v_mov_b32_e32 v61, s37
	s_xor_b32 exec_lo, exec_lo, s13
	s_cbranch_execnz .LBB6_2651
.LBB6_1122:                             ;   in Loop: Header=BB6_394 Depth=4
	s_or_b32 exec_lo, exec_lo, s13
	s_and_saveexec_b32 s13, s36
	s_cbranch_execz .LBB6_1124
.LBB6_1123:                             ;   in Loop: Header=BB6_394 Depth=4
	v_and_b32_e32 v61, 0xffff, v60
	s_delay_alu instid0(VALU_DEP_1) | instskip(NEXT) | instid1(VALU_DEP_1)
	v_and_b32_e32 v62, 7, v61
	v_clz_i32_u32_e32 v63, v62
	s_delay_alu instid0(VALU_DEP_1) | instskip(NEXT) | instid1(VALU_DEP_1)
	v_min_u32_e32 v63, 32, v63
	v_subrev_nc_u32_e32 v72, 28, v63
	v_sub_nc_u32_e32 v63, 29, v63
	s_delay_alu instid0(VALU_DEP_2) | instskip(SKIP_1) | instid1(VALU_DEP_2)
	v_lshlrev_b32_e32 v72, v72, v61
	v_bfe_u32 v61, v61, 3, 4
	v_and_b32_e32 v72, 7, v72
	s_delay_alu instid0(VALU_DEP_2) | instskip(SKIP_1) | instid1(VALU_DEP_3)
	v_cmp_eq_u32_e32 vcc_lo, 0, v61
	v_cndmask_b32_e32 v61, v61, v63, vcc_lo
	v_dual_cndmask_b32 v62, v62, v72 :: v_dual_lshlrev_b32 v73, 16, v34
	s_delay_alu instid0(VALU_DEP_2) | instskip(NEXT) | instid1(VALU_DEP_2)
	v_lshl_add_u32 v61, v61, 23, 0x3b800000
	v_and_b32_e32 v63, 0x80000000, v73
	s_delay_alu instid0(VALU_DEP_3) | instskip(NEXT) | instid1(VALU_DEP_1)
	v_lshlrev_b32_e32 v62, 20, v62
	v_or3_b32 v61, v63, v61, v62
.LBB6_1124:                             ;   in Loop: Header=BB6_394 Depth=4
	s_or_b32 exec_lo, exec_lo, s13
	s_mov_b32 s13, 0
	s_mov_b32 s37, exec_lo
                                        ; implicit-def: $sgpr36
	v_cmpx_lt_i16_e32 0x7f, v59
	s_xor_b32 s37, exec_lo, s37
	s_cbranch_execnz .LBB6_2652
; %bb.1125:                             ;   in Loop: Header=BB6_394 Depth=4
	s_or_saveexec_b32 s37, s37
	v_mov_b32_e32 v62, s36
	s_xor_b32 exec_lo, exec_lo, s37
	s_cbranch_execnz .LBB6_2655
.LBB6_1126:                             ;   in Loop: Header=BB6_394 Depth=4
	s_or_b32 exec_lo, exec_lo, s37
	s_and_saveexec_b32 s36, s13
	s_cbranch_execz .LBB6_1128
.LBB6_1127:                             ;   in Loop: Header=BB6_394 Depth=4
	v_and_b32_e32 v62, 0xffff, v59
	v_lshlrev_b32_e32 v74, 16, v26
	s_delay_alu instid0(VALU_DEP_2) | instskip(NEXT) | instid1(VALU_DEP_1)
	v_and_b32_e32 v63, 7, v62
	v_clz_i32_u32_e32 v72, v63
	s_delay_alu instid0(VALU_DEP_1) | instskip(NEXT) | instid1(VALU_DEP_1)
	v_min_u32_e32 v72, 32, v72
	v_subrev_nc_u32_e32 v73, 28, v72
	v_sub_nc_u32_e32 v72, 29, v72
	s_delay_alu instid0(VALU_DEP_2) | instskip(SKIP_1) | instid1(VALU_DEP_2)
	v_lshlrev_b32_e32 v73, v73, v62
	v_bfe_u32 v62, v62, 3, 4
	v_and_b32_e32 v73, 7, v73
	s_delay_alu instid0(VALU_DEP_2) | instskip(NEXT) | instid1(VALU_DEP_2)
	v_cmp_eq_u32_e32 vcc_lo, 0, v62
	v_dual_cndmask_b32 v62, v62, v72 :: v_dual_cndmask_b32 v63, v63, v73
	v_and_b32_e32 v72, 0x80000000, v74
	s_delay_alu instid0(VALU_DEP_2) | instskip(NEXT) | instid1(VALU_DEP_3)
	v_lshl_add_u32 v62, v62, 23, 0x3b800000
	v_lshlrev_b32_e32 v63, 20, v63
	s_delay_alu instid0(VALU_DEP_1)
	v_or3_b32 v62, v72, v62, v63
.LBB6_1128:                             ;   in Loop: Header=BB6_394 Depth=4
	s_or_b32 exec_lo, exec_lo, s36
	s_delay_alu instid0(VALU_DEP_1) | instskip(SKIP_1) | instid1(VALU_DEP_1)
	v_dual_max_f32 v62, v62, v62 :: v_dual_max_f32 v61, v61, v61
	s_mov_b32 s13, 0
	v_max_f32_e32 v61, v61, v62
	s_branch .LBB6_1130
.LBB6_1129:                             ;   in Loop: Header=BB6_394 Depth=4
	s_mov_b32 s13, -1
                                        ; implicit-def: $vgpr61
.LBB6_1130:                             ;   in Loop: Header=BB6_394 Depth=4
	s_delay_alu instid0(SALU_CYCLE_1)
	s_and_b32 vcc_lo, exec_lo, s13
	s_cbranch_vccz .LBB6_1140
; %bb.1131:                             ;   in Loop: Header=BB6_394 Depth=4
	s_mov_b32 s13, 0
	s_mov_b32 s37, exec_lo
                                        ; implicit-def: $sgpr36
	v_cmpx_lt_i16_e32 0x7f, v60
	s_xor_b32 s37, exec_lo, s37
	s_cbranch_execnz .LBB6_2656
; %bb.1132:                             ;   in Loop: Header=BB6_394 Depth=4
	s_or_saveexec_b32 s37, s37
	v_mov_b32_e32 v61, s36
	s_xor_b32 exec_lo, exec_lo, s37
	s_cbranch_execnz .LBB6_2659
.LBB6_1133:                             ;   in Loop: Header=BB6_394 Depth=4
	s_or_b32 exec_lo, exec_lo, s37
	s_and_saveexec_b32 s36, s13
	s_cbranch_execz .LBB6_1135
.LBB6_1134:                             ;   in Loop: Header=BB6_394 Depth=4
	v_and_b32_e32 v60, 0xffff, v60
	v_lshlrev_b32_e32 v72, 16, v34
	s_delay_alu instid0(VALU_DEP_2) | instskip(NEXT) | instid1(VALU_DEP_1)
	v_and_b32_e32 v61, 7, v60
	v_clz_i32_u32_e32 v62, v61
	s_delay_alu instid0(VALU_DEP_1) | instskip(NEXT) | instid1(VALU_DEP_1)
	v_min_u32_e32 v62, 32, v62
	v_subrev_nc_u32_e32 v63, 28, v62
	v_sub_nc_u32_e32 v62, 29, v62
	s_delay_alu instid0(VALU_DEP_2) | instskip(SKIP_1) | instid1(VALU_DEP_2)
	v_lshlrev_b32_e32 v63, v63, v60
	v_bfe_u32 v60, v60, 3, 4
	v_and_b32_e32 v63, 7, v63
	s_delay_alu instid0(VALU_DEP_2) | instskip(NEXT) | instid1(VALU_DEP_2)
	v_cmp_eq_u32_e32 vcc_lo, 0, v60
	v_dual_cndmask_b32 v60, v60, v62 :: v_dual_cndmask_b32 v61, v61, v63
	v_and_b32_e32 v62, 0x80000000, v72
	s_delay_alu instid0(VALU_DEP_2) | instskip(NEXT) | instid1(VALU_DEP_3)
	v_lshl_add_u32 v60, v60, 23, 0x3b800000
	v_lshlrev_b32_e32 v61, 20, v61
	s_delay_alu instid0(VALU_DEP_1)
	v_or3_b32 v61, v62, v60, v61
.LBB6_1135:                             ;   in Loop: Header=BB6_394 Depth=4
	s_or_b32 exec_lo, exec_lo, s36
	s_mov_b32 s13, 0
	s_mov_b32 s37, exec_lo
                                        ; implicit-def: $sgpr36
	v_cmpx_lt_i16_e32 0x7f, v59
	s_xor_b32 s37, exec_lo, s37
	s_cbranch_execnz .LBB6_2660
; %bb.1136:                             ;   in Loop: Header=BB6_394 Depth=4
	s_or_saveexec_b32 s37, s37
	v_mov_b32_e32 v60, s36
	s_xor_b32 exec_lo, exec_lo, s37
	s_cbranch_execnz .LBB6_2663
.LBB6_1137:                             ;   in Loop: Header=BB6_394 Depth=4
	s_or_b32 exec_lo, exec_lo, s37
	s_and_saveexec_b32 s36, s13
	s_cbranch_execz .LBB6_1139
.LBB6_1138:                             ;   in Loop: Header=BB6_394 Depth=4
	v_and_b32_e32 v59, 0xffff, v59
	v_lshlrev_b32_e32 v72, 16, v26
	s_delay_alu instid0(VALU_DEP_2) | instskip(NEXT) | instid1(VALU_DEP_1)
	v_and_b32_e32 v60, 7, v59
	v_clz_i32_u32_e32 v62, v60
	s_delay_alu instid0(VALU_DEP_1) | instskip(NEXT) | instid1(VALU_DEP_1)
	v_min_u32_e32 v62, 32, v62
	v_subrev_nc_u32_e32 v63, 28, v62
	v_sub_nc_u32_e32 v62, 29, v62
	s_delay_alu instid0(VALU_DEP_2) | instskip(SKIP_1) | instid1(VALU_DEP_2)
	v_lshlrev_b32_e32 v63, v63, v59
	v_bfe_u32 v59, v59, 3, 4
	v_and_b32_e32 v63, 7, v63
	s_delay_alu instid0(VALU_DEP_2) | instskip(NEXT) | instid1(VALU_DEP_2)
	v_cmp_eq_u32_e32 vcc_lo, 0, v59
	v_dual_cndmask_b32 v59, v59, v62 :: v_dual_cndmask_b32 v60, v60, v63
	v_and_b32_e32 v62, 0x80000000, v72
	s_delay_alu instid0(VALU_DEP_2) | instskip(NEXT) | instid1(VALU_DEP_3)
	v_lshl_add_u32 v59, v59, 23, 0x3b800000
	v_lshlrev_b32_e32 v60, 20, v60
	s_delay_alu instid0(VALU_DEP_1)
	v_or3_b32 v60, v62, v59, v60
.LBB6_1139:                             ;   in Loop: Header=BB6_394 Depth=4
	s_or_b32 exec_lo, exec_lo, s36
	s_delay_alu instid0(VALU_DEP_1) | instskip(NEXT) | instid1(VALU_DEP_1)
	v_dual_max_f32 v59, v60, v60 :: v_dual_max_f32 v60, v61, v61
	v_min_f32_e32 v61, v60, v59
.LBB6_1140:                             ;   in Loop: Header=BB6_394 Depth=4
	s_delay_alu instid0(VALU_DEP_1) | instskip(NEXT) | instid1(VALU_DEP_1)
	v_and_b32_e32 v59, 0x7f800000, v61
	v_cmp_ne_u32_e32 vcc_lo, 0x7f800000, v59
	v_mov_b32_e32 v59, 0x80
	s_and_saveexec_b32 s36, vcc_lo
	s_cbranch_execz .LBB6_1148
; %bb.1141:                             ;   in Loop: Header=BB6_394 Depth=4
	v_mov_b32_e32 v59, 0
	s_mov_b32 s37, exec_lo
	v_cmpx_ne_u32_e32 0, v61
	s_cbranch_execz .LBB6_1147
; %bb.1142:                             ;   in Loop: Header=BB6_394 Depth=4
	v_bfe_u32 v59, v61, 23, 8
	v_and_b32_e32 v60, 0x7fffff, v61
	s_delay_alu instid0(VALU_DEP_2) | instskip(SKIP_1) | instid1(VALU_DEP_3)
	v_sub_nc_u32_e32 v62, 0x78, v59
	v_cmp_gt_u32_e32 vcc_lo, 0x79, v59
	v_or_b32_e32 v63, 0x800000, v60
	s_delay_alu instid0(VALU_DEP_3) | instskip(SKIP_2) | instid1(VALU_DEP_3)
	v_cndmask_b32_e32 v62, 0, v62, vcc_lo
	v_cmp_eq_u32_e32 vcc_lo, 0, v59
	v_add_nc_u32_e32 v59, 0xffffff89, v59
	v_cndmask_b32_e64 v62, v62, 0x77, vcc_lo
	v_cndmask_b32_e32 v60, v63, v60, vcc_lo
	s_delay_alu instid0(VALU_DEP_3) | instskip(NEXT) | instid1(VALU_DEP_3)
	v_cndmask_b32_e64 v59, v59, 0xffffff8a, vcc_lo
	v_lshl_add_u32 v63, 0x100000, v62, -1
	s_delay_alu instid0(VALU_DEP_3) | instskip(SKIP_1) | instid1(VALU_DEP_4)
	v_lshrrev_b32_e32 v72, v62, v60
	v_lshlrev_b32_e64 v74, v62, 0x80000
	v_add_nc_u32_e32 v62, v62, v59
	s_delay_alu instid0(VALU_DEP_4) | instskip(NEXT) | instid1(VALU_DEP_4)
	v_and_b32_e32 v60, v63, v60
	v_bfe_u32 v73, v72, 20, 1
	s_delay_alu instid0(VALU_DEP_2) | instskip(NEXT) | instid1(VALU_DEP_2)
	v_cmp_eq_u32_e64 s13, v60, v74
	v_add_nc_u32_e32 v63, -1, v73
	s_delay_alu instid0(VALU_DEP_1) | instskip(SKIP_2) | instid1(VALU_DEP_2)
	v_cndmask_b32_e64 v60, 0, v63, s13
	v_lshrrev_b32_e32 v63, 23, v72
	s_mov_b32 s13, exec_lo
	v_add_nc_u32_e32 v60, v60, v72
	s_delay_alu instid0(VALU_DEP_2) | instskip(NEXT) | instid1(VALU_DEP_2)
	v_xor_b32_e32 v63, 1, v63
	v_and_b32_e32 v59, 0xfffff, v60
	s_delay_alu instid0(VALU_DEP_1) | instskip(NEXT) | instid1(VALU_DEP_3)
	v_add_nc_u32_e32 v60, v59, v72
                                        ; implicit-def: $vgpr59
	v_cmpx_ne_u32_e64 v62, v63
	s_xor_b32 s13, exec_lo, s13
; %bb.1143:                             ;   in Loop: Header=BB6_394 Depth=4
	s_delay_alu instid0(VALU_DEP_2) | instskip(SKIP_2) | instid1(VALU_DEP_2)
	v_cmp_lt_u32_e32 vcc_lo, 0xffffff, v60
	v_sub_nc_u32_e32 v59, v62, v63
	v_cndmask_b32_e64 v62, 0, 1, vcc_lo
	v_add_co_ci_u32_e32 v59, vcc_lo, 0, v59, vcc_lo
	s_delay_alu instid0(VALU_DEP_2)
	v_lshrrev_b32_e32 v60, v62, v60
; %bb.1144:                             ;   in Loop: Header=BB6_394 Depth=4
	s_and_not1_saveexec_b32 s13, s13
; %bb.1145:                             ;   in Loop: Header=BB6_394 Depth=4
	s_delay_alu instid0(VALU_DEP_1)
	v_bfe_u32 v59, v60, 23, 1
; %bb.1146:                             ;   in Loop: Header=BB6_394 Depth=4
	s_or_b32 exec_lo, exec_lo, s13
	v_lshrrev_b32_e32 v60, 20, v60
	s_delay_alu instid0(VALU_DEP_2) | instskip(SKIP_2) | instid1(VALU_DEP_2)
	v_cmp_gt_i32_e32 vcc_lo, 16, v59
	v_lshrrev_b32_e32 v61, 24, v61
	v_min_i32_e32 v62, 15, v59
	v_dual_cndmask_b32 v60, 7, v60 :: v_dual_and_b32 v61, 0x80, v61
	s_delay_alu instid0(VALU_DEP_1) | instskip(SKIP_1) | instid1(VALU_DEP_2)
	v_or_b32_e32 v59, v59, v60
	v_and_b32_e32 v63, 7, v60
	v_cmp_ne_u32_e32 vcc_lo, 0, v59
	v_lshlrev_b32_e32 v62, 3, v62
	s_delay_alu instid0(VALU_DEP_1) | instskip(NEXT) | instid1(VALU_DEP_1)
	v_or3_b32 v60, v62, v61, v63
	v_cndmask_b32_e32 v59, 0, v60, vcc_lo
.LBB6_1147:                             ;   in Loop: Header=BB6_394 Depth=4
	s_or_b32 exec_lo, exec_lo, s37
.LBB6_1148:                             ;   in Loop: Header=BB6_394 Depth=4
	s_delay_alu instid0(SALU_CYCLE_1) | instskip(SKIP_3) | instid1(VALU_DEP_2)
	s_or_b32 exec_lo, exec_lo, s36
	v_lshrrev_b32_e32 v61, 16, v34
	v_lshrrev_b32_e32 v60, 16, v26
	s_and_not1_b32 vcc_lo, exec_lo, s35
	v_and_b32_e32 v62, 0xff, v61
	s_delay_alu instid0(VALU_DEP_1)
	v_cmp_lt_i16_e64 s13, 0x7f, v62
	s_cbranch_vccnz .LBB6_1158
; %bb.1149:                             ;   in Loop: Header=BB6_394 Depth=4
	s_mov_b32 s36, 0
                                        ; implicit-def: $sgpr37
	s_delay_alu instid0(VALU_DEP_1) | instskip(NEXT) | instid1(SALU_CYCLE_1)
	s_and_saveexec_b32 vcc_lo, s13
	s_xor_b32 s13, exec_lo, vcc_lo
	s_cbranch_execnz .LBB6_2664
; %bb.1150:                             ;   in Loop: Header=BB6_394 Depth=4
	s_or_saveexec_b32 s13, s13
	v_mov_b32_e32 v63, s37
	s_xor_b32 exec_lo, exec_lo, s13
	s_cbranch_execnz .LBB6_2667
.LBB6_1151:                             ;   in Loop: Header=BB6_394 Depth=4
	s_or_b32 exec_lo, exec_lo, s13
	s_and_saveexec_b32 s13, s36
	s_cbranch_execz .LBB6_1153
.LBB6_1152:                             ;   in Loop: Header=BB6_394 Depth=4
	v_bfe_u32 v63, v34, 16, 3
	v_bfe_u32 v74, v34, 19, 4
	v_lshlrev_b32_e32 v75, 24, v61
	s_delay_alu instid0(VALU_DEP_3) | instskip(NEXT) | instid1(VALU_DEP_3)
	v_clz_i32_u32_e32 v72, v63
	v_cmp_eq_u32_e32 vcc_lo, 0, v74
	s_delay_alu instid0(VALU_DEP_2) | instskip(NEXT) | instid1(VALU_DEP_1)
	v_min_u32_e32 v72, 32, v72
	v_subrev_nc_u32_e32 v73, 28, v72
	v_sub_nc_u32_e32 v72, 29, v72
	s_delay_alu instid0(VALU_DEP_1) | instskip(NEXT) | instid1(VALU_DEP_1)
	v_dual_cndmask_b32 v72, v74, v72 :: v_dual_lshlrev_b32 v73, v73, v61
	v_and_b32_e32 v73, 7, v73
	s_delay_alu instid0(VALU_DEP_2) | instskip(NEXT) | instid1(VALU_DEP_2)
	v_lshl_add_u32 v72, v72, 23, 0x3b800000
	v_cndmask_b32_e32 v63, v63, v73, vcc_lo
	v_and_b32_e32 v73, 0x80000000, v75
	s_delay_alu instid0(VALU_DEP_2) | instskip(NEXT) | instid1(VALU_DEP_1)
	v_lshlrev_b32_e32 v63, 20, v63
	v_or3_b32 v63, v73, v72, v63
.LBB6_1153:                             ;   in Loop: Header=BB6_394 Depth=4
	s_or_b32 exec_lo, exec_lo, s13
	v_and_b32_e32 v73, 0xff, v60
	s_mov_b32 s13, 0
	s_mov_b32 s37, exec_lo
                                        ; implicit-def: $sgpr36
	s_delay_alu instid0(VALU_DEP_1)
	v_cmpx_lt_i16_e32 0x7f, v73
	s_xor_b32 s37, exec_lo, s37
	s_cbranch_execnz .LBB6_2668
; %bb.1154:                             ;   in Loop: Header=BB6_394 Depth=4
	s_or_saveexec_b32 s37, s37
	v_mov_b32_e32 v72, s36
	s_xor_b32 exec_lo, exec_lo, s37
	s_cbranch_execnz .LBB6_2671
.LBB6_1155:                             ;   in Loop: Header=BB6_394 Depth=4
	s_or_b32 exec_lo, exec_lo, s37
	s_and_saveexec_b32 s36, s13
	s_cbranch_execz .LBB6_1157
.LBB6_1156:                             ;   in Loop: Header=BB6_394 Depth=4
	v_bfe_u32 v72, v26, 16, 3
	v_bfe_u32 v75, v26, 19, 4
	v_lshlrev_b32_e32 v76, 24, v60
	s_delay_alu instid0(VALU_DEP_3) | instskip(NEXT) | instid1(VALU_DEP_3)
	v_clz_i32_u32_e32 v73, v72
	v_cmp_eq_u32_e32 vcc_lo, 0, v75
	s_delay_alu instid0(VALU_DEP_2) | instskip(NEXT) | instid1(VALU_DEP_1)
	v_min_u32_e32 v73, 32, v73
	v_subrev_nc_u32_e32 v74, 28, v73
	v_sub_nc_u32_e32 v73, 29, v73
	s_delay_alu instid0(VALU_DEP_1) | instskip(NEXT) | instid1(VALU_DEP_1)
	v_dual_cndmask_b32 v73, v75, v73 :: v_dual_lshlrev_b32 v74, v74, v60
	v_and_b32_e32 v74, 7, v74
	s_delay_alu instid0(VALU_DEP_2) | instskip(NEXT) | instid1(VALU_DEP_2)
	v_lshl_add_u32 v73, v73, 23, 0x3b800000
	v_cndmask_b32_e32 v72, v72, v74, vcc_lo
	v_and_b32_e32 v74, 0x80000000, v76
	s_delay_alu instid0(VALU_DEP_2) | instskip(NEXT) | instid1(VALU_DEP_1)
	v_lshlrev_b32_e32 v72, 20, v72
	v_or3_b32 v72, v74, v73, v72
.LBB6_1157:                             ;   in Loop: Header=BB6_394 Depth=4
	s_or_b32 exec_lo, exec_lo, s36
	s_delay_alu instid0(VALU_DEP_1) | instskip(SKIP_1) | instid1(VALU_DEP_1)
	v_dual_max_f32 v72, v72, v72 :: v_dual_max_f32 v63, v63, v63
	s_mov_b32 s13, 0
	v_max_f32_e32 v63, v63, v72
	s_branch .LBB6_1159
.LBB6_1158:                             ;   in Loop: Header=BB6_394 Depth=4
	s_mov_b32 s13, -1
                                        ; implicit-def: $vgpr63
.LBB6_1159:                             ;   in Loop: Header=BB6_394 Depth=4
	s_delay_alu instid0(SALU_CYCLE_1)
	s_and_b32 vcc_lo, exec_lo, s13
	s_cbranch_vccz .LBB6_1169
; %bb.1160:                             ;   in Loop: Header=BB6_394 Depth=4
	s_mov_b32 s13, 0
	s_mov_b32 s37, exec_lo
                                        ; implicit-def: $sgpr36
	v_cmpx_lt_i16_e32 0x7f, v62
	s_xor_b32 s37, exec_lo, s37
	s_cbranch_execnz .LBB6_2672
; %bb.1161:                             ;   in Loop: Header=BB6_394 Depth=4
	s_or_saveexec_b32 s37, s37
	v_mov_b32_e32 v63, s36
	s_xor_b32 exec_lo, exec_lo, s37
	s_cbranch_execnz .LBB6_2675
.LBB6_1162:                             ;   in Loop: Header=BB6_394 Depth=4
	s_or_b32 exec_lo, exec_lo, s37
	s_and_saveexec_b32 s36, s13
	s_cbranch_execz .LBB6_1164
.LBB6_1163:                             ;   in Loop: Header=BB6_394 Depth=4
	v_bfe_u32 v62, v34, 16, 3
	v_bfe_u32 v73, v34, 19, 4
	s_delay_alu instid0(VALU_DEP_2) | instskip(NEXT) | instid1(VALU_DEP_2)
	v_clz_i32_u32_e32 v63, v62
	v_cmp_eq_u32_e32 vcc_lo, 0, v73
	s_delay_alu instid0(VALU_DEP_2) | instskip(NEXT) | instid1(VALU_DEP_1)
	v_min_u32_e32 v63, 32, v63
	v_subrev_nc_u32_e32 v72, 28, v63
	v_sub_nc_u32_e32 v63, 29, v63
	s_delay_alu instid0(VALU_DEP_1) | instskip(NEXT) | instid1(VALU_DEP_1)
	v_dual_cndmask_b32 v63, v73, v63 :: v_dual_lshlrev_b32 v72, v72, v61
	v_and_b32_e32 v72, 7, v72
	v_lshlrev_b32_e32 v61, 24, v61
	s_delay_alu instid0(VALU_DEP_3) | instskip(NEXT) | instid1(VALU_DEP_2)
	v_lshl_add_u32 v63, v63, 23, 0x3b800000
	v_dual_cndmask_b32 v62, v62, v72 :: v_dual_and_b32 v61, 0x80000000, v61
	s_delay_alu instid0(VALU_DEP_1) | instskip(NEXT) | instid1(VALU_DEP_1)
	v_lshlrev_b32_e32 v62, 20, v62
	v_or3_b32 v63, v61, v63, v62
.LBB6_1164:                             ;   in Loop: Header=BB6_394 Depth=4
	s_or_b32 exec_lo, exec_lo, s36
	v_and_b32_e32 v62, 0xff, v60
	s_mov_b32 s13, 0
	s_mov_b32 s37, exec_lo
                                        ; implicit-def: $sgpr36
	s_delay_alu instid0(VALU_DEP_1)
	v_cmpx_lt_i16_e32 0x7f, v62
	s_xor_b32 s37, exec_lo, s37
	s_cbranch_execnz .LBB6_2676
; %bb.1165:                             ;   in Loop: Header=BB6_394 Depth=4
	s_or_saveexec_b32 s37, s37
	v_mov_b32_e32 v61, s36
	s_xor_b32 exec_lo, exec_lo, s37
	s_cbranch_execnz .LBB6_2679
.LBB6_1166:                             ;   in Loop: Header=BB6_394 Depth=4
	s_or_b32 exec_lo, exec_lo, s37
	s_and_saveexec_b32 s36, s13
	s_cbranch_execz .LBB6_1168
.LBB6_1167:                             ;   in Loop: Header=BB6_394 Depth=4
	v_bfe_u32 v61, v26, 16, 3
	v_bfe_u32 v73, v26, 19, 4
	s_delay_alu instid0(VALU_DEP_2) | instskip(NEXT) | instid1(VALU_DEP_2)
	v_clz_i32_u32_e32 v62, v61
	v_cmp_eq_u32_e32 vcc_lo, 0, v73
	s_delay_alu instid0(VALU_DEP_2) | instskip(NEXT) | instid1(VALU_DEP_1)
	v_min_u32_e32 v62, 32, v62
	v_subrev_nc_u32_e32 v72, 28, v62
	v_sub_nc_u32_e32 v62, 29, v62
	s_delay_alu instid0(VALU_DEP_2) | instskip(SKIP_1) | instid1(VALU_DEP_2)
	v_lshlrev_b32_e32 v72, v72, v60
	v_lshlrev_b32_e32 v60, 24, v60
	v_and_b32_e32 v72, 7, v72
	s_delay_alu instid0(VALU_DEP_2) | instskip(NEXT) | instid1(VALU_DEP_2)
	v_and_b32_e32 v60, 0x80000000, v60
	v_cndmask_b32_e32 v61, v61, v72, vcc_lo
	s_delay_alu instid0(VALU_DEP_1) | instskip(NEXT) | instid1(VALU_DEP_1)
	v_dual_cndmask_b32 v62, v73, v62 :: v_dual_lshlrev_b32 v61, 20, v61
	v_lshl_add_u32 v62, v62, 23, 0x3b800000
	s_delay_alu instid0(VALU_DEP_1)
	v_or3_b32 v61, v60, v62, v61
.LBB6_1168:                             ;   in Loop: Header=BB6_394 Depth=4
	s_or_b32 exec_lo, exec_lo, s36
	s_delay_alu instid0(VALU_DEP_1) | instskip(NEXT) | instid1(VALU_DEP_1)
	v_dual_max_f32 v60, v61, v61 :: v_dual_max_f32 v61, v63, v63
	v_min_f32_e32 v63, v61, v60
.LBB6_1169:                             ;   in Loop: Header=BB6_394 Depth=4
	s_delay_alu instid0(VALU_DEP_1) | instskip(NEXT) | instid1(VALU_DEP_1)
	v_and_b32_e32 v60, 0x7f800000, v63
	v_cmp_ne_u32_e32 vcc_lo, 0x7f800000, v60
	v_mov_b32_e32 v60, 0x80
	s_and_saveexec_b32 s36, vcc_lo
	s_cbranch_execz .LBB6_1177
; %bb.1170:                             ;   in Loop: Header=BB6_394 Depth=4
	v_mov_b32_e32 v60, 0
	s_mov_b32 s37, exec_lo
	v_cmpx_ne_u32_e32 0, v63
	s_cbranch_execz .LBB6_1176
; %bb.1171:                             ;   in Loop: Header=BB6_394 Depth=4
	v_bfe_u32 v60, v63, 23, 8
	s_delay_alu instid0(VALU_DEP_1) | instskip(SKIP_1) | instid1(VALU_DEP_2)
	v_sub_nc_u32_e32 v62, 0x78, v60
	v_cmp_gt_u32_e32 vcc_lo, 0x79, v60
	v_dual_cndmask_b32 v62, 0, v62 :: v_dual_and_b32 v61, 0x7fffff, v63
	s_delay_alu instid0(VALU_DEP_1) | instskip(SKIP_2) | instid1(VALU_DEP_4)
	v_or_b32_e32 v72, 0x800000, v61
	v_cmp_eq_u32_e32 vcc_lo, 0, v60
	v_add_nc_u32_e32 v60, 0xffffff89, v60
	v_cndmask_b32_e64 v62, v62, 0x77, vcc_lo
	s_delay_alu instid0(VALU_DEP_4) | instskip(NEXT) | instid1(VALU_DEP_3)
	v_cndmask_b32_e32 v61, v72, v61, vcc_lo
	v_cndmask_b32_e64 v60, v60, 0xffffff8a, vcc_lo
	s_delay_alu instid0(VALU_DEP_3) | instskip(NEXT) | instid1(VALU_DEP_3)
	v_lshl_add_u32 v72, 0x100000, v62, -1
	v_lshrrev_b32_e32 v73, v62, v61
	v_lshlrev_b32_e64 v75, v62, 0x80000
	s_delay_alu instid0(VALU_DEP_4) | instskip(NEXT) | instid1(VALU_DEP_4)
	v_add_nc_u32_e32 v62, v62, v60
	v_and_b32_e32 v61, v72, v61
	s_delay_alu instid0(VALU_DEP_4) | instskip(NEXT) | instid1(VALU_DEP_2)
	v_bfe_u32 v74, v73, 20, 1
	v_cmp_eq_u32_e64 s13, v61, v75
	s_delay_alu instid0(VALU_DEP_2) | instskip(NEXT) | instid1(VALU_DEP_1)
	v_add_nc_u32_e32 v72, -1, v74
	v_cndmask_b32_e64 v61, 0, v72, s13
	v_lshrrev_b32_e32 v72, 23, v73
	s_mov_b32 s13, exec_lo
	s_delay_alu instid0(VALU_DEP_2) | instskip(NEXT) | instid1(VALU_DEP_2)
	v_add_nc_u32_e32 v61, v61, v73
	v_xor_b32_e32 v72, 1, v72
	s_delay_alu instid0(VALU_DEP_2) | instskip(NEXT) | instid1(VALU_DEP_1)
	v_and_b32_e32 v60, 0xfffff, v61
	v_add_nc_u32_e32 v61, v60, v73
                                        ; implicit-def: $vgpr60
	s_delay_alu instid0(VALU_DEP_3)
	v_cmpx_ne_u32_e64 v62, v72
	s_xor_b32 s13, exec_lo, s13
; %bb.1172:                             ;   in Loop: Header=BB6_394 Depth=4
	s_delay_alu instid0(VALU_DEP_2) | instskip(SKIP_2) | instid1(VALU_DEP_2)
	v_cmp_lt_u32_e32 vcc_lo, 0xffffff, v61
	v_sub_nc_u32_e32 v60, v62, v72
	v_cndmask_b32_e64 v62, 0, 1, vcc_lo
	v_add_co_ci_u32_e32 v60, vcc_lo, 0, v60, vcc_lo
	s_delay_alu instid0(VALU_DEP_2)
	v_lshrrev_b32_e32 v61, v62, v61
; %bb.1173:                             ;   in Loop: Header=BB6_394 Depth=4
	s_and_not1_saveexec_b32 s13, s13
; %bb.1174:                             ;   in Loop: Header=BB6_394 Depth=4
	s_delay_alu instid0(VALU_DEP_1)
	v_bfe_u32 v60, v61, 23, 1
; %bb.1175:                             ;   in Loop: Header=BB6_394 Depth=4
	s_or_b32 exec_lo, exec_lo, s13
	v_lshrrev_b32_e32 v61, 20, v61
	s_delay_alu instid0(VALU_DEP_2) | instskip(SKIP_2) | instid1(VALU_DEP_2)
	v_cmp_gt_i32_e32 vcc_lo, 16, v60
	v_lshrrev_b32_e32 v62, 24, v63
	v_min_i32_e32 v63, 15, v60
	v_dual_cndmask_b32 v61, 7, v61 :: v_dual_and_b32 v62, 0x80, v62
	s_delay_alu instid0(VALU_DEP_1) | instskip(SKIP_1) | instid1(VALU_DEP_2)
	v_or_b32_e32 v60, v60, v61
	v_and_b32_e32 v72, 7, v61
	v_cmp_ne_u32_e32 vcc_lo, 0, v60
	v_lshlrev_b32_e32 v63, 3, v63
	s_delay_alu instid0(VALU_DEP_1) | instskip(NEXT) | instid1(VALU_DEP_1)
	v_or3_b32 v61, v63, v62, v72
	v_cndmask_b32_e32 v60, 0, v61, vcc_lo
.LBB6_1176:                             ;   in Loop: Header=BB6_394 Depth=4
	s_or_b32 exec_lo, exec_lo, s37
.LBB6_1177:                             ;   in Loop: Header=BB6_394 Depth=4
	s_delay_alu instid0(SALU_CYCLE_1) | instskip(SKIP_3) | instid1(VALU_DEP_2)
	s_or_b32 exec_lo, exec_lo, s36
	v_lshrrev_b32_e32 v62, 24, v34
	v_lshrrev_b32_e32 v61, 24, v26
	s_and_not1_b32 vcc_lo, exec_lo, s35
	v_cmp_lt_i16_e64 s13, 0x7f, v62
	s_cbranch_vccnz .LBB6_1187
; %bb.1178:                             ;   in Loop: Header=BB6_394 Depth=4
	s_mov_b32 s36, 0
                                        ; implicit-def: $sgpr37
	s_delay_alu instid0(VALU_DEP_1) | instskip(NEXT) | instid1(SALU_CYCLE_1)
	s_and_saveexec_b32 vcc_lo, s13
	s_xor_b32 s13, exec_lo, vcc_lo
	s_cbranch_execnz .LBB6_2680
; %bb.1179:                             ;   in Loop: Header=BB6_394 Depth=4
	s_or_saveexec_b32 s13, s13
	v_mov_b32_e32 v63, s37
	s_xor_b32 exec_lo, exec_lo, s13
	s_cbranch_execnz .LBB6_2683
.LBB6_1180:                             ;   in Loop: Header=BB6_394 Depth=4
	s_or_b32 exec_lo, exec_lo, s13
	s_and_saveexec_b32 s13, s36
	s_cbranch_execz .LBB6_1182
.LBB6_1181:                             ;   in Loop: Header=BB6_394 Depth=4
	v_bfe_u32 v63, v34, 24, 3
	v_bfe_u32 v74, v34, 27, 4
	s_delay_alu instid0(VALU_DEP_2) | instskip(NEXT) | instid1(VALU_DEP_2)
	v_clz_i32_u32_e32 v72, v63
	v_cmp_eq_u32_e32 vcc_lo, 0, v74
	s_delay_alu instid0(VALU_DEP_2) | instskip(NEXT) | instid1(VALU_DEP_1)
	v_min_u32_e32 v72, 32, v72
	v_subrev_nc_u32_e32 v73, 28, v72
	v_sub_nc_u32_e32 v72, 29, v72
	s_delay_alu instid0(VALU_DEP_1) | instskip(NEXT) | instid1(VALU_DEP_1)
	v_dual_cndmask_b32 v72, v74, v72 :: v_dual_lshlrev_b32 v73, v73, v62
	v_and_b32_e32 v73, 7, v73
	s_delay_alu instid0(VALU_DEP_2) | instskip(NEXT) | instid1(VALU_DEP_2)
	v_lshl_add_u32 v72, v72, 23, 0x3b800000
	v_cndmask_b32_e32 v63, v63, v73, vcc_lo
	v_and_b32_e32 v73, 0x80000000, v34
	s_delay_alu instid0(VALU_DEP_2) | instskip(NEXT) | instid1(VALU_DEP_1)
	v_lshlrev_b32_e32 v63, 20, v63
	v_or3_b32 v63, v73, v72, v63
.LBB6_1182:                             ;   in Loop: Header=BB6_394 Depth=4
	s_or_b32 exec_lo, exec_lo, s13
	s_mov_b32 s13, 0
	s_mov_b32 s37, exec_lo
                                        ; implicit-def: $sgpr36
	v_cmpx_lt_i16_e32 0x7f, v61
	s_xor_b32 s37, exec_lo, s37
	s_cbranch_execnz .LBB6_2684
; %bb.1183:                             ;   in Loop: Header=BB6_394 Depth=4
	s_or_saveexec_b32 s37, s37
	v_mov_b32_e32 v72, s36
	s_xor_b32 exec_lo, exec_lo, s37
	s_cbranch_execnz .LBB6_2687
.LBB6_1184:                             ;   in Loop: Header=BB6_394 Depth=4
	s_or_b32 exec_lo, exec_lo, s37
	s_and_saveexec_b32 s36, s13
	s_cbranch_execz .LBB6_1186
.LBB6_1185:                             ;   in Loop: Header=BB6_394 Depth=4
	v_bfe_u32 v72, v26, 24, 3
	v_bfe_u32 v75, v26, 27, 4
	s_delay_alu instid0(VALU_DEP_2) | instskip(NEXT) | instid1(VALU_DEP_2)
	v_clz_i32_u32_e32 v73, v72
	v_cmp_eq_u32_e32 vcc_lo, 0, v75
	s_delay_alu instid0(VALU_DEP_2) | instskip(NEXT) | instid1(VALU_DEP_1)
	v_min_u32_e32 v73, 32, v73
	v_subrev_nc_u32_e32 v74, 28, v73
	v_sub_nc_u32_e32 v73, 29, v73
	s_delay_alu instid0(VALU_DEP_2) | instskip(NEXT) | instid1(VALU_DEP_1)
	v_lshlrev_b32_e32 v74, v74, v61
	v_dual_cndmask_b32 v73, v75, v73 :: v_dual_and_b32 v74, 7, v74
	s_delay_alu instid0(VALU_DEP_1) | instskip(NEXT) | instid1(VALU_DEP_2)
	v_lshl_add_u32 v73, v73, 23, 0x3b800000
	v_cndmask_b32_e32 v72, v72, v74, vcc_lo
	v_and_b32_e32 v74, 0x80000000, v26
	s_delay_alu instid0(VALU_DEP_2) | instskip(NEXT) | instid1(VALU_DEP_1)
	v_lshlrev_b32_e32 v72, 20, v72
	v_or3_b32 v72, v74, v73, v72
.LBB6_1186:                             ;   in Loop: Header=BB6_394 Depth=4
	s_or_b32 exec_lo, exec_lo, s36
	s_delay_alu instid0(VALU_DEP_1) | instskip(SKIP_1) | instid1(VALU_DEP_1)
	v_dual_max_f32 v72, v72, v72 :: v_dual_max_f32 v63, v63, v63
	s_mov_b32 s13, 0
	v_max_f32_e32 v63, v63, v72
	s_branch .LBB6_1188
.LBB6_1187:                             ;   in Loop: Header=BB6_394 Depth=4
	s_mov_b32 s13, -1
                                        ; implicit-def: $vgpr63
.LBB6_1188:                             ;   in Loop: Header=BB6_394 Depth=4
	s_delay_alu instid0(SALU_CYCLE_1)
	s_and_b32 vcc_lo, exec_lo, s13
	s_cbranch_vccz .LBB6_1198
; %bb.1189:                             ;   in Loop: Header=BB6_394 Depth=4
	s_mov_b32 s13, 0
	s_mov_b32 s37, exec_lo
                                        ; implicit-def: $sgpr36
	v_cmpx_lt_i16_e32 0x7f, v62
	s_xor_b32 s37, exec_lo, s37
	s_cbranch_execnz .LBB6_2688
; %bb.1190:                             ;   in Loop: Header=BB6_394 Depth=4
	s_or_saveexec_b32 s37, s37
	v_mov_b32_e32 v63, s36
	s_xor_b32 exec_lo, exec_lo, s37
	s_cbranch_execnz .LBB6_2691
.LBB6_1191:                             ;   in Loop: Header=BB6_394 Depth=4
	s_or_b32 exec_lo, exec_lo, s37
	s_and_saveexec_b32 s36, s13
	s_cbranch_execz .LBB6_1193
.LBB6_1192:                             ;   in Loop: Header=BB6_394 Depth=4
	v_bfe_u32 v63, v34, 24, 3
	s_delay_alu instid0(VALU_DEP_1) | instskip(NEXT) | instid1(VALU_DEP_1)
	v_clz_i32_u32_e32 v72, v63
	v_min_u32_e32 v72, 32, v72
	s_delay_alu instid0(VALU_DEP_1) | instskip(SKIP_1) | instid1(VALU_DEP_2)
	v_subrev_nc_u32_e32 v73, 28, v72
	v_sub_nc_u32_e32 v72, 29, v72
	v_lshlrev_b32_e32 v62, v73, v62
	v_bfe_u32 v73, v34, 27, 4
	v_and_b32_e32 v34, 0x80000000, v34
	s_delay_alu instid0(VALU_DEP_3) | instskip(NEXT) | instid1(VALU_DEP_3)
	v_and_b32_e32 v62, 7, v62
	v_cmp_eq_u32_e32 vcc_lo, 0, v73
	v_cndmask_b32_e32 v72, v73, v72, vcc_lo
	s_delay_alu instid0(VALU_DEP_3) | instskip(NEXT) | instid1(VALU_DEP_2)
	v_cndmask_b32_e32 v62, v63, v62, vcc_lo
	v_lshl_add_u32 v63, v72, 23, 0x3b800000
	s_delay_alu instid0(VALU_DEP_2) | instskip(NEXT) | instid1(VALU_DEP_1)
	v_lshlrev_b32_e32 v62, 20, v62
	v_or3_b32 v63, v34, v63, v62
.LBB6_1193:                             ;   in Loop: Header=BB6_394 Depth=4
	s_or_b32 exec_lo, exec_lo, s36
	s_mov_b32 s13, 0
	s_mov_b32 s37, exec_lo
                                        ; implicit-def: $sgpr36
	v_cmpx_lt_i16_e32 0x7f, v61
	s_xor_b32 s37, exec_lo, s37
	s_cbranch_execnz .LBB6_2692
; %bb.1194:                             ;   in Loop: Header=BB6_394 Depth=4
	s_or_saveexec_b32 s37, s37
	v_mov_b32_e32 v34, s36
	s_xor_b32 exec_lo, exec_lo, s37
	s_cbranch_execnz .LBB6_2695
.LBB6_1195:                             ;   in Loop: Header=BB6_394 Depth=4
	s_or_b32 exec_lo, exec_lo, s37
	s_and_saveexec_b32 s36, s13
	s_cbranch_execz .LBB6_1197
.LBB6_1196:                             ;   in Loop: Header=BB6_394 Depth=4
	v_bfe_u32 v34, v26, 24, 3
	s_delay_alu instid0(VALU_DEP_1) | instskip(NEXT) | instid1(VALU_DEP_1)
	v_clz_i32_u32_e32 v62, v34
	v_min_u32_e32 v62, 32, v62
	s_delay_alu instid0(VALU_DEP_1) | instskip(SKIP_1) | instid1(VALU_DEP_2)
	v_subrev_nc_u32_e32 v72, 28, v62
	v_sub_nc_u32_e32 v62, 29, v62
	v_lshlrev_b32_e32 v61, v72, v61
	v_bfe_u32 v72, v26, 27, 4
	v_and_b32_e32 v26, 0x80000000, v26
	s_delay_alu instid0(VALU_DEP_2) | instskip(NEXT) | instid1(VALU_DEP_4)
	v_cmp_eq_u32_e32 vcc_lo, 0, v72
	v_dual_cndmask_b32 v62, v72, v62 :: v_dual_and_b32 v61, 7, v61
	s_delay_alu instid0(VALU_DEP_1) | instskip(NEXT) | instid1(VALU_DEP_2)
	v_cndmask_b32_e32 v34, v34, v61, vcc_lo
	v_lshl_add_u32 v61, v62, 23, 0x3b800000
	s_delay_alu instid0(VALU_DEP_2) | instskip(NEXT) | instid1(VALU_DEP_1)
	v_lshlrev_b32_e32 v34, 20, v34
	v_or3_b32 v34, v26, v61, v34
.LBB6_1197:                             ;   in Loop: Header=BB6_394 Depth=4
	s_or_b32 exec_lo, exec_lo, s36
	s_delay_alu instid0(VALU_DEP_1) | instskip(SKIP_1) | instid1(VALU_DEP_1)
	v_max_f32_e32 v26, v34, v34
	v_max_f32_e32 v34, v63, v63
	v_min_f32_e32 v63, v34, v26
.LBB6_1198:                             ;   in Loop: Header=BB6_394 Depth=4
	s_delay_alu instid0(VALU_DEP_1) | instskip(NEXT) | instid1(VALU_DEP_1)
	v_and_b32_e32 v26, 0x7f800000, v63
	v_cmp_ne_u32_e32 vcc_lo, 0x7f800000, v26
	v_mov_b32_e32 v26, 0x80
	s_and_saveexec_b32 s36, vcc_lo
	s_cbranch_execz .LBB6_1206
; %bb.1199:                             ;   in Loop: Header=BB6_394 Depth=4
	v_mov_b32_e32 v26, 0
	s_mov_b32 s37, exec_lo
	v_cmpx_ne_u32_e32 0, v63
	s_cbranch_execz .LBB6_1205
; %bb.1200:                             ;   in Loop: Header=BB6_394 Depth=4
	v_bfe_u32 v26, v63, 23, 8
	s_delay_alu instid0(VALU_DEP_1) | instskip(SKIP_1) | instid1(VALU_DEP_2)
	v_sub_nc_u32_e32 v61, 0x78, v26
	v_cmp_gt_u32_e32 vcc_lo, 0x79, v26
	v_dual_cndmask_b32 v61, 0, v61 :: v_dual_and_b32 v34, 0x7fffff, v63
	s_delay_alu instid0(VALU_DEP_1) | instskip(SKIP_2) | instid1(VALU_DEP_4)
	v_or_b32_e32 v62, 0x800000, v34
	v_cmp_eq_u32_e32 vcc_lo, 0, v26
	v_add_nc_u32_e32 v26, 0xffffff89, v26
	v_cndmask_b32_e64 v61, v61, 0x77, vcc_lo
	s_delay_alu instid0(VALU_DEP_4) | instskip(NEXT) | instid1(VALU_DEP_3)
	v_cndmask_b32_e32 v34, v62, v34, vcc_lo
	v_cndmask_b32_e64 v26, v26, 0xffffff8a, vcc_lo
	s_delay_alu instid0(VALU_DEP_3) | instskip(NEXT) | instid1(VALU_DEP_3)
	v_lshl_add_u32 v62, 0x100000, v61, -1
	v_lshrrev_b32_e32 v72, v61, v34
	v_lshlrev_b32_e64 v74, v61, 0x80000
	s_delay_alu instid0(VALU_DEP_4) | instskip(NEXT) | instid1(VALU_DEP_4)
	v_add_nc_u32_e32 v61, v61, v26
	v_and_b32_e32 v34, v62, v34
	s_delay_alu instid0(VALU_DEP_4) | instskip(NEXT) | instid1(VALU_DEP_2)
	v_bfe_u32 v73, v72, 20, 1
	v_cmp_eq_u32_e64 s13, v34, v74
	s_delay_alu instid0(VALU_DEP_2) | instskip(NEXT) | instid1(VALU_DEP_1)
	v_add_nc_u32_e32 v62, -1, v73
	v_cndmask_b32_e64 v34, 0, v62, s13
	v_lshrrev_b32_e32 v62, 23, v72
	s_mov_b32 s13, exec_lo
	s_delay_alu instid0(VALU_DEP_2) | instskip(NEXT) | instid1(VALU_DEP_2)
	v_add_nc_u32_e32 v34, v34, v72
	v_xor_b32_e32 v62, 1, v62
	s_delay_alu instid0(VALU_DEP_2) | instskip(NEXT) | instid1(VALU_DEP_1)
	v_and_b32_e32 v26, 0xfffff, v34
	v_add_nc_u32_e32 v34, v26, v72
                                        ; implicit-def: $vgpr26
	s_delay_alu instid0(VALU_DEP_3)
	v_cmpx_ne_u32_e64 v61, v62
	s_xor_b32 s13, exec_lo, s13
; %bb.1201:                             ;   in Loop: Header=BB6_394 Depth=4
	s_delay_alu instid0(VALU_DEP_2) | instskip(SKIP_2) | instid1(VALU_DEP_2)
	v_cmp_lt_u32_e32 vcc_lo, 0xffffff, v34
	v_sub_nc_u32_e32 v26, v61, v62
	v_cndmask_b32_e64 v61, 0, 1, vcc_lo
	v_add_co_ci_u32_e32 v26, vcc_lo, 0, v26, vcc_lo
	s_delay_alu instid0(VALU_DEP_2)
	v_lshrrev_b32_e32 v34, v61, v34
; %bb.1202:                             ;   in Loop: Header=BB6_394 Depth=4
	s_and_not1_saveexec_b32 s13, s13
; %bb.1203:                             ;   in Loop: Header=BB6_394 Depth=4
	s_delay_alu instid0(VALU_DEP_1)
	v_bfe_u32 v26, v34, 23, 1
; %bb.1204:                             ;   in Loop: Header=BB6_394 Depth=4
	s_or_b32 exec_lo, exec_lo, s13
	v_lshrrev_b32_e32 v34, 20, v34
	s_delay_alu instid0(VALU_DEP_2) | instskip(SKIP_2) | instid1(VALU_DEP_2)
	v_cmp_gt_i32_e32 vcc_lo, 16, v26
	v_lshrrev_b32_e32 v61, 24, v63
	v_min_i32_e32 v62, 15, v26
	v_dual_cndmask_b32 v34, 7, v34 :: v_dual_and_b32 v61, 0x80, v61
	s_delay_alu instid0(VALU_DEP_2) | instskip(NEXT) | instid1(VALU_DEP_2)
	v_lshlrev_b32_e32 v62, 3, v62
	v_and_b32_e32 v63, 7, v34
	v_or_b32_e32 v26, v26, v34
	s_delay_alu instid0(VALU_DEP_2) | instskip(NEXT) | instid1(VALU_DEP_2)
	v_or3_b32 v34, v62, v61, v63
	v_cmp_ne_u32_e32 vcc_lo, 0, v26
	s_delay_alu instid0(VALU_DEP_2)
	v_cndmask_b32_e32 v26, 0, v34, vcc_lo
.LBB6_1205:                             ;   in Loop: Header=BB6_394 Depth=4
	s_or_b32 exec_lo, exec_lo, s37
.LBB6_1206:                             ;   in Loop: Header=BB6_394 Depth=4
	s_delay_alu instid0(SALU_CYCLE_1) | instskip(SKIP_2) | instid1(VALU_DEP_1)
	s_or_b32 exec_lo, exec_lo, s36
	v_and_b32_e32 v34, 0xff, v35
	s_and_not1_b32 vcc_lo, exec_lo, s35
	v_cmp_lt_i16_e64 s13, 0x7f, v34
	s_cbranch_vccnz .LBB6_1216
; %bb.1207:                             ;   in Loop: Header=BB6_394 Depth=4
	s_mov_b32 s36, 0
                                        ; implicit-def: $sgpr37
	s_delay_alu instid0(VALU_DEP_1) | instskip(NEXT) | instid1(SALU_CYCLE_1)
	s_and_saveexec_b32 vcc_lo, s13
	s_xor_b32 s13, exec_lo, vcc_lo
	s_cbranch_execnz .LBB6_2696
; %bb.1208:                             ;   in Loop: Header=BB6_394 Depth=4
	s_or_saveexec_b32 s13, s13
	v_mov_b32_e32 v61, s37
	s_xor_b32 exec_lo, exec_lo, s13
	s_cbranch_execnz .LBB6_2699
.LBB6_1209:                             ;   in Loop: Header=BB6_394 Depth=4
	s_or_b32 exec_lo, exec_lo, s13
	s_and_saveexec_b32 s13, s36
	s_cbranch_execz .LBB6_1211
.LBB6_1210:                             ;   in Loop: Header=BB6_394 Depth=4
	v_bfe_u32 v72, v35, 3, 4
	v_lshlrev_b32_e32 v73, 24, v35
	s_delay_alu instid0(VALU_DEP_2) | instskip(SKIP_1) | instid1(VALU_DEP_1)
	v_cmp_eq_u32_e32 vcc_lo, 0, v72
	v_and_b32_e32 v61, 7, v35
	v_clz_i32_u32_e32 v62, v61
	s_delay_alu instid0(VALU_DEP_1) | instskip(NEXT) | instid1(VALU_DEP_1)
	v_min_u32_e32 v62, 32, v62
	v_subrev_nc_u32_e32 v63, 28, v62
	v_sub_nc_u32_e32 v62, 29, v62
	s_delay_alu instid0(VALU_DEP_1) | instskip(NEXT) | instid1(VALU_DEP_1)
	v_dual_cndmask_b32 v62, v72, v62 :: v_dual_lshlrev_b32 v63, v63, v35
	v_and_b32_e32 v63, 7, v63
	s_delay_alu instid0(VALU_DEP_2) | instskip(NEXT) | instid1(VALU_DEP_2)
	v_lshl_add_u32 v62, v62, 23, 0x3b800000
	v_cndmask_b32_e32 v61, v61, v63, vcc_lo
	v_and_b32_e32 v63, 0x80000000, v73
	s_delay_alu instid0(VALU_DEP_2) | instskip(NEXT) | instid1(VALU_DEP_1)
	v_lshlrev_b32_e32 v61, 20, v61
	v_or3_b32 v61, v63, v62, v61
.LBB6_1211:                             ;   in Loop: Header=BB6_394 Depth=4
	s_or_b32 exec_lo, exec_lo, s13
	v_and_b32_e32 v63, 0xff, v27
	s_mov_b32 s13, 0
	s_mov_b32 s37, exec_lo
                                        ; implicit-def: $sgpr36
	s_delay_alu instid0(VALU_DEP_1)
	v_cmpx_lt_i16_e32 0x7f, v63
	s_xor_b32 s37, exec_lo, s37
	s_cbranch_execnz .LBB6_2700
; %bb.1212:                             ;   in Loop: Header=BB6_394 Depth=4
	s_or_saveexec_b32 s37, s37
	v_mov_b32_e32 v62, s36
	s_xor_b32 exec_lo, exec_lo, s37
	s_cbranch_execnz .LBB6_2703
.LBB6_1213:                             ;   in Loop: Header=BB6_394 Depth=4
	s_or_b32 exec_lo, exec_lo, s37
	s_and_saveexec_b32 s36, s13
	s_cbranch_execz .LBB6_1215
.LBB6_1214:                             ;   in Loop: Header=BB6_394 Depth=4
	v_and_b32_e32 v62, 7, v27
	v_bfe_u32 v73, v27, 3, 4
	v_lshlrev_b32_e32 v74, 24, v27
	s_delay_alu instid0(VALU_DEP_3) | instskip(NEXT) | instid1(VALU_DEP_3)
	v_clz_i32_u32_e32 v63, v62
	v_cmp_eq_u32_e32 vcc_lo, 0, v73
	s_delay_alu instid0(VALU_DEP_2) | instskip(NEXT) | instid1(VALU_DEP_1)
	v_min_u32_e32 v63, 32, v63
	v_subrev_nc_u32_e32 v72, 28, v63
	v_sub_nc_u32_e32 v63, 29, v63
	s_delay_alu instid0(VALU_DEP_2) | instskip(NEXT) | instid1(VALU_DEP_1)
	v_lshlrev_b32_e32 v72, v72, v27
	v_dual_cndmask_b32 v63, v73, v63 :: v_dual_and_b32 v72, 7, v72
	s_delay_alu instid0(VALU_DEP_1) | instskip(NEXT) | instid1(VALU_DEP_2)
	v_lshl_add_u32 v63, v63, 23, 0x3b800000
	v_cndmask_b32_e32 v62, v62, v72, vcc_lo
	v_and_b32_e32 v72, 0x80000000, v74
	s_delay_alu instid0(VALU_DEP_2) | instskip(NEXT) | instid1(VALU_DEP_1)
	v_lshlrev_b32_e32 v62, 20, v62
	v_or3_b32 v62, v72, v63, v62
.LBB6_1215:                             ;   in Loop: Header=BB6_394 Depth=4
	s_or_b32 exec_lo, exec_lo, s36
	s_delay_alu instid0(VALU_DEP_1) | instskip(SKIP_1) | instid1(VALU_DEP_1)
	v_dual_max_f32 v62, v62, v62 :: v_dual_max_f32 v61, v61, v61
	s_mov_b32 s13, 0
	v_max_f32_e32 v61, v61, v62
	s_branch .LBB6_1217
.LBB6_1216:                             ;   in Loop: Header=BB6_394 Depth=4
	s_mov_b32 s13, -1
                                        ; implicit-def: $vgpr61
.LBB6_1217:                             ;   in Loop: Header=BB6_394 Depth=4
	s_delay_alu instid0(SALU_CYCLE_1)
	s_and_b32 vcc_lo, exec_lo, s13
	s_cbranch_vccz .LBB6_1227
; %bb.1218:                             ;   in Loop: Header=BB6_394 Depth=4
	s_mov_b32 s13, 0
	s_mov_b32 s37, exec_lo
                                        ; implicit-def: $sgpr36
	v_cmpx_lt_i16_e32 0x7f, v34
	s_xor_b32 s37, exec_lo, s37
	s_cbranch_execnz .LBB6_2704
; %bb.1219:                             ;   in Loop: Header=BB6_394 Depth=4
	s_or_saveexec_b32 s37, s37
	v_mov_b32_e32 v61, s36
	s_xor_b32 exec_lo, exec_lo, s37
	s_cbranch_execnz .LBB6_2707
.LBB6_1220:                             ;   in Loop: Header=BB6_394 Depth=4
	s_or_b32 exec_lo, exec_lo, s37
	s_and_saveexec_b32 s36, s13
	s_cbranch_execz .LBB6_1222
.LBB6_1221:                             ;   in Loop: Header=BB6_394 Depth=4
	v_bfe_u32 v63, v35, 3, 4
	v_lshlrev_b32_e32 v72, 24, v35
	s_delay_alu instid0(VALU_DEP_2) | instskip(SKIP_1) | instid1(VALU_DEP_1)
	v_cmp_eq_u32_e32 vcc_lo, 0, v63
	v_and_b32_e32 v34, 7, v35
	v_clz_i32_u32_e32 v61, v34
	s_delay_alu instid0(VALU_DEP_1) | instskip(NEXT) | instid1(VALU_DEP_1)
	v_min_u32_e32 v61, 32, v61
	v_subrev_nc_u32_e32 v62, 28, v61
	v_sub_nc_u32_e32 v61, 29, v61
	s_delay_alu instid0(VALU_DEP_1) | instskip(NEXT) | instid1(VALU_DEP_1)
	v_dual_cndmask_b32 v61, v63, v61 :: v_dual_lshlrev_b32 v62, v62, v35
	v_and_b32_e32 v62, 7, v62
	s_delay_alu instid0(VALU_DEP_2) | instskip(NEXT) | instid1(VALU_DEP_2)
	v_lshl_add_u32 v61, v61, 23, 0x3b800000
	v_cndmask_b32_e32 v34, v34, v62, vcc_lo
	v_and_b32_e32 v62, 0x80000000, v72
	s_delay_alu instid0(VALU_DEP_2) | instskip(NEXT) | instid1(VALU_DEP_1)
	v_lshlrev_b32_e32 v34, 20, v34
	v_or3_b32 v61, v62, v61, v34
.LBB6_1222:                             ;   in Loop: Header=BB6_394 Depth=4
	s_or_b32 exec_lo, exec_lo, s36
	v_and_b32_e32 v62, 0xff, v27
	s_mov_b32 s13, 0
	s_mov_b32 s37, exec_lo
                                        ; implicit-def: $sgpr36
	s_delay_alu instid0(VALU_DEP_1)
	v_cmpx_lt_i16_e32 0x7f, v62
	s_xor_b32 s37, exec_lo, s37
	s_cbranch_execnz .LBB6_2708
; %bb.1223:                             ;   in Loop: Header=BB6_394 Depth=4
	s_or_saveexec_b32 s37, s37
	v_mov_b32_e32 v34, s36
	s_xor_b32 exec_lo, exec_lo, s37
	s_cbranch_execnz .LBB6_2711
.LBB6_1224:                             ;   in Loop: Header=BB6_394 Depth=4
	s_or_b32 exec_lo, exec_lo, s37
	s_and_saveexec_b32 s36, s13
	s_cbranch_execz .LBB6_1226
.LBB6_1225:                             ;   in Loop: Header=BB6_394 Depth=4
	v_and_b32_e32 v34, 7, v27
	v_bfe_u32 v72, v27, 3, 4
	v_lshlrev_b32_e32 v73, 24, v27
	s_delay_alu instid0(VALU_DEP_3) | instskip(NEXT) | instid1(VALU_DEP_3)
	v_clz_i32_u32_e32 v62, v34
	v_cmp_eq_u32_e32 vcc_lo, 0, v72
	s_delay_alu instid0(VALU_DEP_2) | instskip(NEXT) | instid1(VALU_DEP_1)
	v_min_u32_e32 v62, 32, v62
	v_subrev_nc_u32_e32 v63, 28, v62
	v_sub_nc_u32_e32 v62, 29, v62
	s_delay_alu instid0(VALU_DEP_1) | instskip(NEXT) | instid1(VALU_DEP_1)
	v_dual_cndmask_b32 v62, v72, v62 :: v_dual_lshlrev_b32 v63, v63, v27
	v_and_b32_e32 v63, 7, v63
	s_delay_alu instid0(VALU_DEP_2) | instskip(NEXT) | instid1(VALU_DEP_2)
	v_lshl_add_u32 v62, v62, 23, 0x3b800000
	v_dual_cndmask_b32 v34, v34, v63 :: v_dual_and_b32 v63, 0x80000000, v73
	s_delay_alu instid0(VALU_DEP_1) | instskip(NEXT) | instid1(VALU_DEP_1)
	v_lshlrev_b32_e32 v34, 20, v34
	v_or3_b32 v34, v63, v62, v34
.LBB6_1226:                             ;   in Loop: Header=BB6_394 Depth=4
	s_or_b32 exec_lo, exec_lo, s36
	s_delay_alu instid0(VALU_DEP_1) | instskip(NEXT) | instid1(VALU_DEP_1)
	v_dual_max_f32 v34, v34, v34 :: v_dual_max_f32 v61, v61, v61
	v_min_f32_e32 v61, v61, v34
.LBB6_1227:                             ;   in Loop: Header=BB6_394 Depth=4
	s_delay_alu instid0(VALU_DEP_1) | instskip(NEXT) | instid1(VALU_DEP_1)
	v_and_b32_e32 v34, 0x7f800000, v61
	v_cmp_ne_u32_e32 vcc_lo, 0x7f800000, v34
	v_mov_b32_e32 v34, 0x80
	s_and_saveexec_b32 s36, vcc_lo
	s_cbranch_execz .LBB6_1235
; %bb.1228:                             ;   in Loop: Header=BB6_394 Depth=4
	v_mov_b32_e32 v34, 0
	s_mov_b32 s37, exec_lo
	v_cmpx_ne_u32_e32 0, v61
	s_cbranch_execz .LBB6_1234
; %bb.1229:                             ;   in Loop: Header=BB6_394 Depth=4
	v_bfe_u32 v34, v61, 23, 8
	s_delay_alu instid0(VALU_DEP_1) | instskip(SKIP_1) | instid1(VALU_DEP_2)
	v_sub_nc_u32_e32 v63, 0x78, v34
	v_cmp_gt_u32_e32 vcc_lo, 0x79, v34
	v_dual_cndmask_b32 v63, 0, v63 :: v_dual_and_b32 v62, 0x7fffff, v61
	s_delay_alu instid0(VALU_DEP_1) | instskip(SKIP_2) | instid1(VALU_DEP_4)
	v_or_b32_e32 v72, 0x800000, v62
	v_cmp_eq_u32_e32 vcc_lo, 0, v34
	v_add_nc_u32_e32 v34, 0xffffff89, v34
	v_cndmask_b32_e64 v63, v63, 0x77, vcc_lo
	s_delay_alu instid0(VALU_DEP_4) | instskip(NEXT) | instid1(VALU_DEP_3)
	v_cndmask_b32_e32 v62, v72, v62, vcc_lo
	v_cndmask_b32_e64 v34, v34, 0xffffff8a, vcc_lo
	s_delay_alu instid0(VALU_DEP_3) | instskip(NEXT) | instid1(VALU_DEP_3)
	v_lshl_add_u32 v72, 0x100000, v63, -1
	v_lshrrev_b32_e32 v73, v63, v62
	v_lshlrev_b32_e64 v75, v63, 0x80000
	s_delay_alu instid0(VALU_DEP_4) | instskip(NEXT) | instid1(VALU_DEP_4)
	v_add_nc_u32_e32 v63, v63, v34
	v_and_b32_e32 v62, v72, v62
	s_delay_alu instid0(VALU_DEP_4) | instskip(NEXT) | instid1(VALU_DEP_2)
	v_bfe_u32 v74, v73, 20, 1
	v_cmp_eq_u32_e64 s13, v62, v75
	s_delay_alu instid0(VALU_DEP_2) | instskip(NEXT) | instid1(VALU_DEP_1)
	v_add_nc_u32_e32 v72, -1, v74
	v_cndmask_b32_e64 v62, 0, v72, s13
	v_lshrrev_b32_e32 v72, 23, v73
	s_mov_b32 s13, exec_lo
	s_delay_alu instid0(VALU_DEP_2) | instskip(NEXT) | instid1(VALU_DEP_2)
	v_add_nc_u32_e32 v62, v62, v73
	v_xor_b32_e32 v72, 1, v72
	s_delay_alu instid0(VALU_DEP_2) | instskip(NEXT) | instid1(VALU_DEP_1)
	v_and_b32_e32 v34, 0xfffff, v62
	v_add_nc_u32_e32 v62, v34, v73
                                        ; implicit-def: $vgpr34
	s_delay_alu instid0(VALU_DEP_3)
	v_cmpx_ne_u32_e64 v63, v72
	s_xor_b32 s13, exec_lo, s13
; %bb.1230:                             ;   in Loop: Header=BB6_394 Depth=4
	s_delay_alu instid0(VALU_DEP_2) | instskip(SKIP_2) | instid1(VALU_DEP_2)
	v_cmp_lt_u32_e32 vcc_lo, 0xffffff, v62
	v_sub_nc_u32_e32 v34, v63, v72
	v_cndmask_b32_e64 v63, 0, 1, vcc_lo
	v_add_co_ci_u32_e32 v34, vcc_lo, 0, v34, vcc_lo
	s_delay_alu instid0(VALU_DEP_2)
	v_lshrrev_b32_e32 v62, v63, v62
; %bb.1231:                             ;   in Loop: Header=BB6_394 Depth=4
	s_and_not1_saveexec_b32 s13, s13
; %bb.1232:                             ;   in Loop: Header=BB6_394 Depth=4
	s_delay_alu instid0(VALU_DEP_1)
	v_bfe_u32 v34, v62, 23, 1
; %bb.1233:                             ;   in Loop: Header=BB6_394 Depth=4
	s_or_b32 exec_lo, exec_lo, s13
	v_lshrrev_b32_e32 v62, 20, v62
	s_delay_alu instid0(VALU_DEP_2) | instskip(SKIP_2) | instid1(VALU_DEP_2)
	v_cmp_gt_i32_e32 vcc_lo, 16, v34
	v_lshrrev_b32_e32 v61, 24, v61
	v_min_i32_e32 v63, 15, v34
	v_dual_cndmask_b32 v62, 7, v62 :: v_dual_and_b32 v61, 0x80, v61
	s_delay_alu instid0(VALU_DEP_1) | instskip(SKIP_1) | instid1(VALU_DEP_2)
	v_or_b32_e32 v34, v34, v62
	v_and_b32_e32 v72, 7, v62
	v_cmp_ne_u32_e32 vcc_lo, 0, v34
	v_lshlrev_b32_e32 v63, 3, v63
	s_delay_alu instid0(VALU_DEP_1) | instskip(NEXT) | instid1(VALU_DEP_1)
	v_or3_b32 v61, v63, v61, v72
	v_cndmask_b32_e32 v34, 0, v61, vcc_lo
.LBB6_1234:                             ;   in Loop: Header=BB6_394 Depth=4
	s_or_b32 exec_lo, exec_lo, s37
.LBB6_1235:                             ;   in Loop: Header=BB6_394 Depth=4
	s_delay_alu instid0(SALU_CYCLE_1) | instskip(SKIP_3) | instid1(VALU_DEP_2)
	s_or_b32 exec_lo, exec_lo, s36
	v_lshrrev_b16 v62, 8, v35
	v_lshrrev_b16 v61, 8, v27
	s_and_not1_b32 vcc_lo, exec_lo, s35
	v_cmp_lt_i16_e64 s13, 0x7f, v62
	s_cbranch_vccnz .LBB6_1245
; %bb.1236:                             ;   in Loop: Header=BB6_394 Depth=4
	s_mov_b32 s36, 0
                                        ; implicit-def: $sgpr37
	s_delay_alu instid0(VALU_DEP_1) | instskip(NEXT) | instid1(SALU_CYCLE_1)
	s_and_saveexec_b32 vcc_lo, s13
	s_xor_b32 s13, exec_lo, vcc_lo
	s_cbranch_execnz .LBB6_2712
; %bb.1237:                             ;   in Loop: Header=BB6_394 Depth=4
	s_or_saveexec_b32 s13, s13
	v_mov_b32_e32 v63, s37
	s_xor_b32 exec_lo, exec_lo, s13
	s_cbranch_execnz .LBB6_2715
.LBB6_1238:                             ;   in Loop: Header=BB6_394 Depth=4
	s_or_b32 exec_lo, exec_lo, s13
	s_and_saveexec_b32 s13, s36
	s_cbranch_execz .LBB6_1240
.LBB6_1239:                             ;   in Loop: Header=BB6_394 Depth=4
	v_and_b32_e32 v63, 0xffff, v62
	s_delay_alu instid0(VALU_DEP_1) | instskip(NEXT) | instid1(VALU_DEP_1)
	v_and_b32_e32 v72, 7, v63
	v_clz_i32_u32_e32 v73, v72
	s_delay_alu instid0(VALU_DEP_1) | instskip(NEXT) | instid1(VALU_DEP_1)
	v_min_u32_e32 v73, 32, v73
	v_subrev_nc_u32_e32 v74, 28, v73
	v_sub_nc_u32_e32 v73, 29, v73
	s_delay_alu instid0(VALU_DEP_2) | instskip(SKIP_1) | instid1(VALU_DEP_2)
	v_lshlrev_b32_e32 v74, v74, v63
	v_bfe_u32 v63, v63, 3, 4
	v_and_b32_e32 v74, 7, v74
	s_delay_alu instid0(VALU_DEP_2) | instskip(SKIP_1) | instid1(VALU_DEP_3)
	v_cmp_eq_u32_e32 vcc_lo, 0, v63
	v_cndmask_b32_e32 v63, v63, v73, vcc_lo
	v_dual_cndmask_b32 v72, v72, v74 :: v_dual_lshlrev_b32 v75, 16, v35
	s_delay_alu instid0(VALU_DEP_2) | instskip(NEXT) | instid1(VALU_DEP_2)
	v_lshl_add_u32 v63, v63, 23, 0x3b800000
	v_and_b32_e32 v73, 0x80000000, v75
	s_delay_alu instid0(VALU_DEP_3) | instskip(NEXT) | instid1(VALU_DEP_1)
	v_lshlrev_b32_e32 v72, 20, v72
	v_or3_b32 v63, v73, v63, v72
.LBB6_1240:                             ;   in Loop: Header=BB6_394 Depth=4
	s_or_b32 exec_lo, exec_lo, s13
	s_mov_b32 s13, 0
	s_mov_b32 s37, exec_lo
                                        ; implicit-def: $sgpr36
	v_cmpx_lt_i16_e32 0x7f, v61
	s_xor_b32 s37, exec_lo, s37
	s_cbranch_execnz .LBB6_2716
; %bb.1241:                             ;   in Loop: Header=BB6_394 Depth=4
	s_or_saveexec_b32 s37, s37
	v_mov_b32_e32 v72, s36
	s_xor_b32 exec_lo, exec_lo, s37
	s_cbranch_execnz .LBB6_2719
.LBB6_1242:                             ;   in Loop: Header=BB6_394 Depth=4
	s_or_b32 exec_lo, exec_lo, s37
	s_and_saveexec_b32 s36, s13
	s_cbranch_execz .LBB6_1244
.LBB6_1243:                             ;   in Loop: Header=BB6_394 Depth=4
	v_and_b32_e32 v72, 0xffff, v61
	v_lshlrev_b32_e32 v76, 16, v27
	s_delay_alu instid0(VALU_DEP_2) | instskip(NEXT) | instid1(VALU_DEP_1)
	v_and_b32_e32 v73, 7, v72
	v_clz_i32_u32_e32 v74, v73
	s_delay_alu instid0(VALU_DEP_1) | instskip(NEXT) | instid1(VALU_DEP_1)
	v_min_u32_e32 v74, 32, v74
	v_subrev_nc_u32_e32 v75, 28, v74
	v_sub_nc_u32_e32 v74, 29, v74
	s_delay_alu instid0(VALU_DEP_2) | instskip(SKIP_1) | instid1(VALU_DEP_2)
	v_lshlrev_b32_e32 v75, v75, v72
	v_bfe_u32 v72, v72, 3, 4
	v_and_b32_e32 v75, 7, v75
	s_delay_alu instid0(VALU_DEP_2) | instskip(NEXT) | instid1(VALU_DEP_2)
	v_cmp_eq_u32_e32 vcc_lo, 0, v72
	v_dual_cndmask_b32 v72, v72, v74 :: v_dual_cndmask_b32 v73, v73, v75
	v_and_b32_e32 v74, 0x80000000, v76
	s_delay_alu instid0(VALU_DEP_2) | instskip(NEXT) | instid1(VALU_DEP_3)
	v_lshl_add_u32 v72, v72, 23, 0x3b800000
	v_lshlrev_b32_e32 v73, 20, v73
	s_delay_alu instid0(VALU_DEP_1)
	v_or3_b32 v72, v74, v72, v73
.LBB6_1244:                             ;   in Loop: Header=BB6_394 Depth=4
	s_or_b32 exec_lo, exec_lo, s36
	s_delay_alu instid0(VALU_DEP_1) | instskip(SKIP_1) | instid1(VALU_DEP_1)
	v_dual_max_f32 v72, v72, v72 :: v_dual_max_f32 v63, v63, v63
	s_mov_b32 s13, 0
	v_max_f32_e32 v63, v63, v72
	s_branch .LBB6_1246
.LBB6_1245:                             ;   in Loop: Header=BB6_394 Depth=4
	s_mov_b32 s13, -1
                                        ; implicit-def: $vgpr63
.LBB6_1246:                             ;   in Loop: Header=BB6_394 Depth=4
	s_delay_alu instid0(SALU_CYCLE_1)
	s_and_b32 vcc_lo, exec_lo, s13
	s_cbranch_vccz .LBB6_1256
; %bb.1247:                             ;   in Loop: Header=BB6_394 Depth=4
	s_mov_b32 s13, 0
	s_mov_b32 s37, exec_lo
                                        ; implicit-def: $sgpr36
	v_cmpx_lt_i16_e32 0x7f, v62
	s_xor_b32 s37, exec_lo, s37
	s_cbranch_execnz .LBB6_2720
; %bb.1248:                             ;   in Loop: Header=BB6_394 Depth=4
	s_or_saveexec_b32 s37, s37
	v_mov_b32_e32 v63, s36
	s_xor_b32 exec_lo, exec_lo, s37
	s_cbranch_execnz .LBB6_2723
.LBB6_1249:                             ;   in Loop: Header=BB6_394 Depth=4
	s_or_b32 exec_lo, exec_lo, s37
	s_and_saveexec_b32 s36, s13
	s_cbranch_execz .LBB6_1251
.LBB6_1250:                             ;   in Loop: Header=BB6_394 Depth=4
	v_and_b32_e32 v62, 0xffff, v62
	v_lshlrev_b32_e32 v74, 16, v35
	s_delay_alu instid0(VALU_DEP_2) | instskip(NEXT) | instid1(VALU_DEP_1)
	v_and_b32_e32 v63, 7, v62
	v_clz_i32_u32_e32 v72, v63
	s_delay_alu instid0(VALU_DEP_1) | instskip(NEXT) | instid1(VALU_DEP_1)
	v_min_u32_e32 v72, 32, v72
	v_subrev_nc_u32_e32 v73, 28, v72
	v_sub_nc_u32_e32 v72, 29, v72
	s_delay_alu instid0(VALU_DEP_2) | instskip(SKIP_1) | instid1(VALU_DEP_2)
	v_lshlrev_b32_e32 v73, v73, v62
	v_bfe_u32 v62, v62, 3, 4
	v_and_b32_e32 v73, 7, v73
	s_delay_alu instid0(VALU_DEP_2) | instskip(NEXT) | instid1(VALU_DEP_2)
	v_cmp_eq_u32_e32 vcc_lo, 0, v62
	v_dual_cndmask_b32 v62, v62, v72 :: v_dual_cndmask_b32 v63, v63, v73
	v_and_b32_e32 v72, 0x80000000, v74
	s_delay_alu instid0(VALU_DEP_2) | instskip(NEXT) | instid1(VALU_DEP_3)
	v_lshl_add_u32 v62, v62, 23, 0x3b800000
	v_lshlrev_b32_e32 v63, 20, v63
	s_delay_alu instid0(VALU_DEP_1)
	v_or3_b32 v63, v72, v62, v63
.LBB6_1251:                             ;   in Loop: Header=BB6_394 Depth=4
	s_or_b32 exec_lo, exec_lo, s36
	s_mov_b32 s13, 0
	s_mov_b32 s37, exec_lo
                                        ; implicit-def: $sgpr36
	v_cmpx_lt_i16_e32 0x7f, v61
	s_xor_b32 s37, exec_lo, s37
	s_cbranch_execnz .LBB6_2724
; %bb.1252:                             ;   in Loop: Header=BB6_394 Depth=4
	s_or_saveexec_b32 s37, s37
	v_mov_b32_e32 v62, s36
	s_xor_b32 exec_lo, exec_lo, s37
	s_cbranch_execnz .LBB6_2727
.LBB6_1253:                             ;   in Loop: Header=BB6_394 Depth=4
	s_or_b32 exec_lo, exec_lo, s37
	s_and_saveexec_b32 s36, s13
	s_cbranch_execz .LBB6_1255
.LBB6_1254:                             ;   in Loop: Header=BB6_394 Depth=4
	v_and_b32_e32 v61, 0xffff, v61
	v_lshlrev_b32_e32 v74, 16, v27
	s_delay_alu instid0(VALU_DEP_2) | instskip(NEXT) | instid1(VALU_DEP_1)
	v_and_b32_e32 v62, 7, v61
	v_clz_i32_u32_e32 v72, v62
	s_delay_alu instid0(VALU_DEP_1) | instskip(NEXT) | instid1(VALU_DEP_1)
	v_min_u32_e32 v72, 32, v72
	v_subrev_nc_u32_e32 v73, 28, v72
	v_sub_nc_u32_e32 v72, 29, v72
	s_delay_alu instid0(VALU_DEP_2) | instskip(SKIP_1) | instid1(VALU_DEP_2)
	v_lshlrev_b32_e32 v73, v73, v61
	v_bfe_u32 v61, v61, 3, 4
	v_and_b32_e32 v73, 7, v73
	s_delay_alu instid0(VALU_DEP_2) | instskip(NEXT) | instid1(VALU_DEP_2)
	v_cmp_eq_u32_e32 vcc_lo, 0, v61
	v_dual_cndmask_b32 v61, v61, v72 :: v_dual_cndmask_b32 v62, v62, v73
	v_and_b32_e32 v72, 0x80000000, v74
	s_delay_alu instid0(VALU_DEP_2) | instskip(NEXT) | instid1(VALU_DEP_3)
	v_lshl_add_u32 v61, v61, 23, 0x3b800000
	v_lshlrev_b32_e32 v62, 20, v62
	s_delay_alu instid0(VALU_DEP_1)
	v_or3_b32 v62, v72, v61, v62
.LBB6_1255:                             ;   in Loop: Header=BB6_394 Depth=4
	s_or_b32 exec_lo, exec_lo, s36
	s_delay_alu instid0(VALU_DEP_1) | instskip(NEXT) | instid1(VALU_DEP_1)
	v_dual_max_f32 v61, v62, v62 :: v_dual_max_f32 v62, v63, v63
	v_min_f32_e32 v63, v62, v61
.LBB6_1256:                             ;   in Loop: Header=BB6_394 Depth=4
	s_delay_alu instid0(VALU_DEP_1) | instskip(NEXT) | instid1(VALU_DEP_1)
	v_and_b32_e32 v61, 0x7f800000, v63
	v_cmp_ne_u32_e32 vcc_lo, 0x7f800000, v61
	v_mov_b32_e32 v61, 0x80
	s_and_saveexec_b32 s36, vcc_lo
	s_cbranch_execz .LBB6_1264
; %bb.1257:                             ;   in Loop: Header=BB6_394 Depth=4
	v_mov_b32_e32 v61, 0
	s_mov_b32 s37, exec_lo
	v_cmpx_ne_u32_e32 0, v63
	s_cbranch_execz .LBB6_1263
; %bb.1258:                             ;   in Loop: Header=BB6_394 Depth=4
	v_bfe_u32 v61, v63, 23, 8
	v_and_b32_e32 v62, 0x7fffff, v63
	s_delay_alu instid0(VALU_DEP_2) | instskip(SKIP_1) | instid1(VALU_DEP_3)
	v_sub_nc_u32_e32 v72, 0x78, v61
	v_cmp_gt_u32_e32 vcc_lo, 0x79, v61
	v_or_b32_e32 v73, 0x800000, v62
	s_delay_alu instid0(VALU_DEP_3) | instskip(SKIP_2) | instid1(VALU_DEP_3)
	v_cndmask_b32_e32 v72, 0, v72, vcc_lo
	v_cmp_eq_u32_e32 vcc_lo, 0, v61
	v_add_nc_u32_e32 v61, 0xffffff89, v61
	v_cndmask_b32_e64 v72, v72, 0x77, vcc_lo
	v_cndmask_b32_e32 v62, v73, v62, vcc_lo
	s_delay_alu instid0(VALU_DEP_3) | instskip(NEXT) | instid1(VALU_DEP_3)
	v_cndmask_b32_e64 v61, v61, 0xffffff8a, vcc_lo
	v_lshl_add_u32 v73, 0x100000, v72, -1
	s_delay_alu instid0(VALU_DEP_3) | instskip(SKIP_1) | instid1(VALU_DEP_4)
	v_lshrrev_b32_e32 v74, v72, v62
	v_lshlrev_b32_e64 v76, v72, 0x80000
	v_add_nc_u32_e32 v72, v72, v61
	s_delay_alu instid0(VALU_DEP_4) | instskip(NEXT) | instid1(VALU_DEP_4)
	v_and_b32_e32 v62, v73, v62
	v_bfe_u32 v75, v74, 20, 1
	s_delay_alu instid0(VALU_DEP_2) | instskip(NEXT) | instid1(VALU_DEP_2)
	v_cmp_eq_u32_e64 s13, v62, v76
	v_add_nc_u32_e32 v73, -1, v75
	s_delay_alu instid0(VALU_DEP_1) | instskip(SKIP_2) | instid1(VALU_DEP_2)
	v_cndmask_b32_e64 v62, 0, v73, s13
	v_lshrrev_b32_e32 v73, 23, v74
	s_mov_b32 s13, exec_lo
	v_add_nc_u32_e32 v62, v62, v74
	s_delay_alu instid0(VALU_DEP_2) | instskip(NEXT) | instid1(VALU_DEP_2)
	v_xor_b32_e32 v73, 1, v73
	v_and_b32_e32 v61, 0xfffff, v62
	s_delay_alu instid0(VALU_DEP_1) | instskip(NEXT) | instid1(VALU_DEP_3)
	v_add_nc_u32_e32 v62, v61, v74
                                        ; implicit-def: $vgpr61
	v_cmpx_ne_u32_e64 v72, v73
	s_xor_b32 s13, exec_lo, s13
; %bb.1259:                             ;   in Loop: Header=BB6_394 Depth=4
	s_delay_alu instid0(VALU_DEP_2) | instskip(SKIP_2) | instid1(VALU_DEP_2)
	v_cmp_lt_u32_e32 vcc_lo, 0xffffff, v62
	v_sub_nc_u32_e32 v61, v72, v73
	v_cndmask_b32_e64 v72, 0, 1, vcc_lo
	v_add_co_ci_u32_e32 v61, vcc_lo, 0, v61, vcc_lo
	s_delay_alu instid0(VALU_DEP_2)
	v_lshrrev_b32_e32 v62, v72, v62
; %bb.1260:                             ;   in Loop: Header=BB6_394 Depth=4
	s_and_not1_saveexec_b32 s13, s13
; %bb.1261:                             ;   in Loop: Header=BB6_394 Depth=4
	s_delay_alu instid0(VALU_DEP_1)
	v_bfe_u32 v61, v62, 23, 1
; %bb.1262:                             ;   in Loop: Header=BB6_394 Depth=4
	s_or_b32 exec_lo, exec_lo, s13
	v_lshrrev_b32_e32 v62, 20, v62
	s_delay_alu instid0(VALU_DEP_2) | instskip(SKIP_2) | instid1(VALU_DEP_2)
	v_cmp_gt_i32_e32 vcc_lo, 16, v61
	v_lshrrev_b32_e32 v63, 24, v63
	v_min_i32_e32 v72, 15, v61
	v_dual_cndmask_b32 v62, 7, v62 :: v_dual_and_b32 v63, 0x80, v63
	s_delay_alu instid0(VALU_DEP_1) | instskip(SKIP_1) | instid1(VALU_DEP_2)
	v_or_b32_e32 v61, v61, v62
	v_and_b32_e32 v73, 7, v62
	v_cmp_ne_u32_e32 vcc_lo, 0, v61
	v_lshlrev_b32_e32 v72, 3, v72
	s_delay_alu instid0(VALU_DEP_1) | instskip(NEXT) | instid1(VALU_DEP_1)
	v_or3_b32 v62, v72, v63, v73
	v_cndmask_b32_e32 v61, 0, v62, vcc_lo
.LBB6_1263:                             ;   in Loop: Header=BB6_394 Depth=4
	s_or_b32 exec_lo, exec_lo, s37
.LBB6_1264:                             ;   in Loop: Header=BB6_394 Depth=4
	s_delay_alu instid0(SALU_CYCLE_1) | instskip(SKIP_3) | instid1(VALU_DEP_2)
	s_or_b32 exec_lo, exec_lo, s36
	v_lshrrev_b32_e32 v63, 16, v35
	v_lshrrev_b32_e32 v62, 16, v27
	s_and_not1_b32 vcc_lo, exec_lo, s35
	v_and_b32_e32 v72, 0xff, v63
	s_delay_alu instid0(VALU_DEP_1)
	v_cmp_lt_i16_e64 s13, 0x7f, v72
	s_cbranch_vccnz .LBB6_1274
; %bb.1265:                             ;   in Loop: Header=BB6_394 Depth=4
	s_mov_b32 s36, 0
                                        ; implicit-def: $sgpr37
	s_delay_alu instid0(VALU_DEP_1) | instskip(NEXT) | instid1(SALU_CYCLE_1)
	s_and_saveexec_b32 vcc_lo, s13
	s_xor_b32 s13, exec_lo, vcc_lo
	s_cbranch_execnz .LBB6_2728
; %bb.1266:                             ;   in Loop: Header=BB6_394 Depth=4
	s_or_saveexec_b32 s13, s13
	v_mov_b32_e32 v73, s37
	s_xor_b32 exec_lo, exec_lo, s13
	s_cbranch_execnz .LBB6_2731
.LBB6_1267:                             ;   in Loop: Header=BB6_394 Depth=4
	s_or_b32 exec_lo, exec_lo, s13
	s_and_saveexec_b32 s13, s36
	s_cbranch_execz .LBB6_1269
.LBB6_1268:                             ;   in Loop: Header=BB6_394 Depth=4
	v_bfe_u32 v73, v35, 16, 3
	v_bfe_u32 v76, v35, 19, 4
	v_lshlrev_b32_e32 v77, 24, v63
	s_delay_alu instid0(VALU_DEP_3) | instskip(NEXT) | instid1(VALU_DEP_3)
	v_clz_i32_u32_e32 v74, v73
	v_cmp_eq_u32_e32 vcc_lo, 0, v76
	s_delay_alu instid0(VALU_DEP_2) | instskip(NEXT) | instid1(VALU_DEP_1)
	v_min_u32_e32 v74, 32, v74
	v_subrev_nc_u32_e32 v75, 28, v74
	v_sub_nc_u32_e32 v74, 29, v74
	s_delay_alu instid0(VALU_DEP_1) | instskip(NEXT) | instid1(VALU_DEP_1)
	v_dual_cndmask_b32 v74, v76, v74 :: v_dual_lshlrev_b32 v75, v75, v63
	v_and_b32_e32 v75, 7, v75
	s_delay_alu instid0(VALU_DEP_2) | instskip(NEXT) | instid1(VALU_DEP_2)
	v_lshl_add_u32 v74, v74, 23, 0x3b800000
	v_cndmask_b32_e32 v73, v73, v75, vcc_lo
	v_and_b32_e32 v75, 0x80000000, v77
	s_delay_alu instid0(VALU_DEP_2) | instskip(NEXT) | instid1(VALU_DEP_1)
	v_lshlrev_b32_e32 v73, 20, v73
	v_or3_b32 v73, v75, v74, v73
.LBB6_1269:                             ;   in Loop: Header=BB6_394 Depth=4
	s_or_b32 exec_lo, exec_lo, s13
	v_and_b32_e32 v75, 0xff, v62
	s_mov_b32 s13, 0
	s_mov_b32 s37, exec_lo
                                        ; implicit-def: $sgpr36
	s_delay_alu instid0(VALU_DEP_1)
	v_cmpx_lt_i16_e32 0x7f, v75
	s_xor_b32 s37, exec_lo, s37
	s_cbranch_execnz .LBB6_2732
; %bb.1270:                             ;   in Loop: Header=BB6_394 Depth=4
	s_or_saveexec_b32 s37, s37
	v_mov_b32_e32 v74, s36
	s_xor_b32 exec_lo, exec_lo, s37
	s_cbranch_execnz .LBB6_2735
.LBB6_1271:                             ;   in Loop: Header=BB6_394 Depth=4
	s_or_b32 exec_lo, exec_lo, s37
	s_and_saveexec_b32 s36, s13
	s_cbranch_execz .LBB6_1273
.LBB6_1272:                             ;   in Loop: Header=BB6_394 Depth=4
	v_bfe_u32 v74, v27, 16, 3
	v_bfe_u32 v77, v27, 19, 4
	v_lshlrev_b32_e32 v78, 24, v62
	s_delay_alu instid0(VALU_DEP_3) | instskip(NEXT) | instid1(VALU_DEP_3)
	v_clz_i32_u32_e32 v75, v74
	v_cmp_eq_u32_e32 vcc_lo, 0, v77
	s_delay_alu instid0(VALU_DEP_2) | instskip(NEXT) | instid1(VALU_DEP_1)
	v_min_u32_e32 v75, 32, v75
	v_subrev_nc_u32_e32 v76, 28, v75
	v_sub_nc_u32_e32 v75, 29, v75
	s_delay_alu instid0(VALU_DEP_1) | instskip(NEXT) | instid1(VALU_DEP_1)
	v_dual_cndmask_b32 v75, v77, v75 :: v_dual_lshlrev_b32 v76, v76, v62
	v_and_b32_e32 v76, 7, v76
	s_delay_alu instid0(VALU_DEP_2) | instskip(NEXT) | instid1(VALU_DEP_2)
	v_lshl_add_u32 v75, v75, 23, 0x3b800000
	v_cndmask_b32_e32 v74, v74, v76, vcc_lo
	v_and_b32_e32 v76, 0x80000000, v78
	s_delay_alu instid0(VALU_DEP_2) | instskip(NEXT) | instid1(VALU_DEP_1)
	v_lshlrev_b32_e32 v74, 20, v74
	v_or3_b32 v74, v76, v75, v74
.LBB6_1273:                             ;   in Loop: Header=BB6_394 Depth=4
	s_or_b32 exec_lo, exec_lo, s36
	s_delay_alu instid0(VALU_DEP_1) | instskip(SKIP_1) | instid1(VALU_DEP_1)
	v_dual_max_f32 v74, v74, v74 :: v_dual_max_f32 v73, v73, v73
	s_mov_b32 s13, 0
	v_max_f32_e32 v73, v73, v74
	s_branch .LBB6_1275
.LBB6_1274:                             ;   in Loop: Header=BB6_394 Depth=4
	s_mov_b32 s13, -1
                                        ; implicit-def: $vgpr73
.LBB6_1275:                             ;   in Loop: Header=BB6_394 Depth=4
	s_delay_alu instid0(SALU_CYCLE_1)
	s_and_b32 vcc_lo, exec_lo, s13
	s_cbranch_vccz .LBB6_1285
; %bb.1276:                             ;   in Loop: Header=BB6_394 Depth=4
	s_mov_b32 s13, 0
	s_mov_b32 s37, exec_lo
                                        ; implicit-def: $sgpr36
	v_cmpx_lt_i16_e32 0x7f, v72
	s_xor_b32 s37, exec_lo, s37
	s_cbranch_execnz .LBB6_2736
; %bb.1277:                             ;   in Loop: Header=BB6_394 Depth=4
	s_or_saveexec_b32 s37, s37
	v_mov_b32_e32 v73, s36
	s_xor_b32 exec_lo, exec_lo, s37
	s_cbranch_execnz .LBB6_2739
.LBB6_1278:                             ;   in Loop: Header=BB6_394 Depth=4
	s_or_b32 exec_lo, exec_lo, s37
	s_and_saveexec_b32 s36, s13
	s_cbranch_execz .LBB6_1280
.LBB6_1279:                             ;   in Loop: Header=BB6_394 Depth=4
	v_bfe_u32 v72, v35, 16, 3
	v_bfe_u32 v75, v35, 19, 4
	s_delay_alu instid0(VALU_DEP_2) | instskip(NEXT) | instid1(VALU_DEP_2)
	v_clz_i32_u32_e32 v73, v72
	v_cmp_eq_u32_e32 vcc_lo, 0, v75
	s_delay_alu instid0(VALU_DEP_2) | instskip(NEXT) | instid1(VALU_DEP_1)
	v_min_u32_e32 v73, 32, v73
	v_subrev_nc_u32_e32 v74, 28, v73
	v_sub_nc_u32_e32 v73, 29, v73
	s_delay_alu instid0(VALU_DEP_1) | instskip(NEXT) | instid1(VALU_DEP_1)
	v_dual_cndmask_b32 v73, v75, v73 :: v_dual_lshlrev_b32 v74, v74, v63
	v_and_b32_e32 v74, 7, v74
	v_lshlrev_b32_e32 v63, 24, v63
	s_delay_alu instid0(VALU_DEP_3) | instskip(NEXT) | instid1(VALU_DEP_2)
	v_lshl_add_u32 v73, v73, 23, 0x3b800000
	v_dual_cndmask_b32 v72, v72, v74 :: v_dual_and_b32 v63, 0x80000000, v63
	s_delay_alu instid0(VALU_DEP_1) | instskip(NEXT) | instid1(VALU_DEP_1)
	v_lshlrev_b32_e32 v72, 20, v72
	v_or3_b32 v73, v63, v73, v72
.LBB6_1280:                             ;   in Loop: Header=BB6_394 Depth=4
	s_or_b32 exec_lo, exec_lo, s36
	v_and_b32_e32 v72, 0xff, v62
	s_mov_b32 s13, 0
	s_mov_b32 s37, exec_lo
                                        ; implicit-def: $sgpr36
	s_delay_alu instid0(VALU_DEP_1)
	v_cmpx_lt_i16_e32 0x7f, v72
	s_xor_b32 s37, exec_lo, s37
	s_cbranch_execnz .LBB6_2740
; %bb.1281:                             ;   in Loop: Header=BB6_394 Depth=4
	s_or_saveexec_b32 s37, s37
	v_mov_b32_e32 v63, s36
	s_xor_b32 exec_lo, exec_lo, s37
	s_cbranch_execnz .LBB6_2743
.LBB6_1282:                             ;   in Loop: Header=BB6_394 Depth=4
	s_or_b32 exec_lo, exec_lo, s37
	s_and_saveexec_b32 s36, s13
	s_cbranch_execz .LBB6_1284
.LBB6_1283:                             ;   in Loop: Header=BB6_394 Depth=4
	v_bfe_u32 v63, v27, 16, 3
	v_bfe_u32 v75, v27, 19, 4
	s_delay_alu instid0(VALU_DEP_2) | instskip(NEXT) | instid1(VALU_DEP_2)
	v_clz_i32_u32_e32 v72, v63
	v_cmp_eq_u32_e32 vcc_lo, 0, v75
	s_delay_alu instid0(VALU_DEP_2) | instskip(NEXT) | instid1(VALU_DEP_1)
	v_min_u32_e32 v72, 32, v72
	v_subrev_nc_u32_e32 v74, 28, v72
	v_sub_nc_u32_e32 v72, 29, v72
	s_delay_alu instid0(VALU_DEP_2) | instskip(SKIP_1) | instid1(VALU_DEP_2)
	v_lshlrev_b32_e32 v74, v74, v62
	v_lshlrev_b32_e32 v62, 24, v62
	v_and_b32_e32 v74, 7, v74
	s_delay_alu instid0(VALU_DEP_2) | instskip(NEXT) | instid1(VALU_DEP_2)
	v_and_b32_e32 v62, 0x80000000, v62
	v_cndmask_b32_e32 v63, v63, v74, vcc_lo
	s_delay_alu instid0(VALU_DEP_1) | instskip(NEXT) | instid1(VALU_DEP_1)
	v_dual_cndmask_b32 v72, v75, v72 :: v_dual_lshlrev_b32 v63, 20, v63
	v_lshl_add_u32 v72, v72, 23, 0x3b800000
	s_delay_alu instid0(VALU_DEP_1)
	v_or3_b32 v63, v62, v72, v63
.LBB6_1284:                             ;   in Loop: Header=BB6_394 Depth=4
	s_or_b32 exec_lo, exec_lo, s36
	s_delay_alu instid0(VALU_DEP_1) | instskip(NEXT) | instid1(VALU_DEP_1)
	v_dual_max_f32 v62, v63, v63 :: v_dual_max_f32 v63, v73, v73
	v_min_f32_e32 v73, v63, v62
.LBB6_1285:                             ;   in Loop: Header=BB6_394 Depth=4
	s_delay_alu instid0(VALU_DEP_1) | instskip(NEXT) | instid1(VALU_DEP_1)
	v_and_b32_e32 v62, 0x7f800000, v73
	v_cmp_ne_u32_e32 vcc_lo, 0x7f800000, v62
	v_mov_b32_e32 v62, 0x80
	s_and_saveexec_b32 s36, vcc_lo
	s_cbranch_execz .LBB6_1293
; %bb.1286:                             ;   in Loop: Header=BB6_394 Depth=4
	v_mov_b32_e32 v62, 0
	s_mov_b32 s37, exec_lo
	v_cmpx_ne_u32_e32 0, v73
	s_cbranch_execz .LBB6_1292
; %bb.1287:                             ;   in Loop: Header=BB6_394 Depth=4
	v_bfe_u32 v62, v73, 23, 8
	s_delay_alu instid0(VALU_DEP_1) | instskip(SKIP_1) | instid1(VALU_DEP_2)
	v_sub_nc_u32_e32 v72, 0x78, v62
	v_cmp_gt_u32_e32 vcc_lo, 0x79, v62
	v_dual_cndmask_b32 v72, 0, v72 :: v_dual_and_b32 v63, 0x7fffff, v73
	s_delay_alu instid0(VALU_DEP_1) | instskip(SKIP_2) | instid1(VALU_DEP_4)
	v_or_b32_e32 v74, 0x800000, v63
	v_cmp_eq_u32_e32 vcc_lo, 0, v62
	v_add_nc_u32_e32 v62, 0xffffff89, v62
	v_cndmask_b32_e64 v72, v72, 0x77, vcc_lo
	s_delay_alu instid0(VALU_DEP_4) | instskip(NEXT) | instid1(VALU_DEP_3)
	v_cndmask_b32_e32 v63, v74, v63, vcc_lo
	v_cndmask_b32_e64 v62, v62, 0xffffff8a, vcc_lo
	s_delay_alu instid0(VALU_DEP_3) | instskip(NEXT) | instid1(VALU_DEP_3)
	v_lshl_add_u32 v74, 0x100000, v72, -1
	v_lshrrev_b32_e32 v75, v72, v63
	v_lshlrev_b32_e64 v77, v72, 0x80000
	s_delay_alu instid0(VALU_DEP_4) | instskip(NEXT) | instid1(VALU_DEP_4)
	v_add_nc_u32_e32 v72, v72, v62
	v_and_b32_e32 v63, v74, v63
	s_delay_alu instid0(VALU_DEP_4) | instskip(NEXT) | instid1(VALU_DEP_2)
	v_bfe_u32 v76, v75, 20, 1
	v_cmp_eq_u32_e64 s13, v63, v77
	s_delay_alu instid0(VALU_DEP_2) | instskip(NEXT) | instid1(VALU_DEP_1)
	v_add_nc_u32_e32 v74, -1, v76
	v_cndmask_b32_e64 v63, 0, v74, s13
	v_lshrrev_b32_e32 v74, 23, v75
	s_mov_b32 s13, exec_lo
	s_delay_alu instid0(VALU_DEP_2) | instskip(NEXT) | instid1(VALU_DEP_2)
	v_add_nc_u32_e32 v63, v63, v75
	v_xor_b32_e32 v74, 1, v74
	s_delay_alu instid0(VALU_DEP_2) | instskip(NEXT) | instid1(VALU_DEP_1)
	v_and_b32_e32 v62, 0xfffff, v63
	v_add_nc_u32_e32 v63, v62, v75
                                        ; implicit-def: $vgpr62
	s_delay_alu instid0(VALU_DEP_3)
	v_cmpx_ne_u32_e64 v72, v74
	s_xor_b32 s13, exec_lo, s13
; %bb.1288:                             ;   in Loop: Header=BB6_394 Depth=4
	s_delay_alu instid0(VALU_DEP_2) | instskip(SKIP_2) | instid1(VALU_DEP_2)
	v_cmp_lt_u32_e32 vcc_lo, 0xffffff, v63
	v_sub_nc_u32_e32 v62, v72, v74
	v_cndmask_b32_e64 v72, 0, 1, vcc_lo
	v_add_co_ci_u32_e32 v62, vcc_lo, 0, v62, vcc_lo
	s_delay_alu instid0(VALU_DEP_2)
	v_lshrrev_b32_e32 v63, v72, v63
; %bb.1289:                             ;   in Loop: Header=BB6_394 Depth=4
	s_and_not1_saveexec_b32 s13, s13
; %bb.1290:                             ;   in Loop: Header=BB6_394 Depth=4
	s_delay_alu instid0(VALU_DEP_1)
	v_bfe_u32 v62, v63, 23, 1
; %bb.1291:                             ;   in Loop: Header=BB6_394 Depth=4
	s_or_b32 exec_lo, exec_lo, s13
	v_lshrrev_b32_e32 v63, 20, v63
	s_delay_alu instid0(VALU_DEP_2) | instskip(SKIP_2) | instid1(VALU_DEP_2)
	v_cmp_gt_i32_e32 vcc_lo, 16, v62
	v_min_i32_e32 v72, 15, v62
	v_lshrrev_b32_e32 v73, 24, v73
	v_dual_cndmask_b32 v63, 7, v63 :: v_dual_lshlrev_b32 v72, 3, v72
	s_delay_alu instid0(VALU_DEP_1) | instskip(SKIP_1) | instid1(VALU_DEP_3)
	v_or_b32_e32 v62, v62, v63
	v_and_b32_e32 v74, 7, v63
	v_and_b32_e32 v72, 0xf8, v72
	s_delay_alu instid0(VALU_DEP_3) | instskip(SKIP_1) | instid1(VALU_DEP_1)
	v_cmp_ne_u32_e32 vcc_lo, 0, v62
	v_and_b32_e32 v73, 0x80, v73
	v_or3_b32 v63, v72, v73, v74
	s_delay_alu instid0(VALU_DEP_1)
	v_cndmask_b32_e32 v62, 0, v63, vcc_lo
.LBB6_1292:                             ;   in Loop: Header=BB6_394 Depth=4
	s_or_b32 exec_lo, exec_lo, s37
.LBB6_1293:                             ;   in Loop: Header=BB6_394 Depth=4
	s_delay_alu instid0(SALU_CYCLE_1) | instskip(SKIP_3) | instid1(VALU_DEP_2)
	s_or_b32 exec_lo, exec_lo, s36
	v_lshrrev_b32_e32 v72, 24, v35
	v_lshrrev_b32_e32 v63, 24, v27
	s_and_not1_b32 vcc_lo, exec_lo, s35
	v_cmp_lt_i16_e64 s13, 0x7f, v72
	s_cbranch_vccnz .LBB6_1303
; %bb.1294:                             ;   in Loop: Header=BB6_394 Depth=4
	s_mov_b32 s36, 0
                                        ; implicit-def: $sgpr37
	s_delay_alu instid0(VALU_DEP_1) | instskip(NEXT) | instid1(SALU_CYCLE_1)
	s_and_saveexec_b32 vcc_lo, s13
	s_xor_b32 s13, exec_lo, vcc_lo
	s_cbranch_execnz .LBB6_2744
; %bb.1295:                             ;   in Loop: Header=BB6_394 Depth=4
	s_or_saveexec_b32 s13, s13
	v_mov_b32_e32 v73, s37
	s_xor_b32 exec_lo, exec_lo, s13
	s_cbranch_execnz .LBB6_2747
.LBB6_1296:                             ;   in Loop: Header=BB6_394 Depth=4
	s_or_b32 exec_lo, exec_lo, s13
	s_and_saveexec_b32 s13, s36
	s_cbranch_execz .LBB6_1298
.LBB6_1297:                             ;   in Loop: Header=BB6_394 Depth=4
	v_bfe_u32 v73, v35, 24, 3
	v_bfe_u32 v76, v35, 27, 4
	s_delay_alu instid0(VALU_DEP_2) | instskip(NEXT) | instid1(VALU_DEP_2)
	v_clz_i32_u32_e32 v74, v73
	v_cmp_eq_u32_e32 vcc_lo, 0, v76
	s_delay_alu instid0(VALU_DEP_2) | instskip(NEXT) | instid1(VALU_DEP_1)
	v_min_u32_e32 v74, 32, v74
	v_subrev_nc_u32_e32 v75, 28, v74
	v_sub_nc_u32_e32 v74, 29, v74
	s_delay_alu instid0(VALU_DEP_1) | instskip(NEXT) | instid1(VALU_DEP_1)
	v_dual_cndmask_b32 v74, v76, v74 :: v_dual_lshlrev_b32 v75, v75, v72
	v_and_b32_e32 v75, 7, v75
	s_delay_alu instid0(VALU_DEP_2) | instskip(NEXT) | instid1(VALU_DEP_2)
	v_lshl_add_u32 v74, v74, 23, 0x3b800000
	v_cndmask_b32_e32 v73, v73, v75, vcc_lo
	v_and_b32_e32 v75, 0x80000000, v35
	s_delay_alu instid0(VALU_DEP_2) | instskip(NEXT) | instid1(VALU_DEP_1)
	v_lshlrev_b32_e32 v73, 20, v73
	v_or3_b32 v73, v75, v74, v73
.LBB6_1298:                             ;   in Loop: Header=BB6_394 Depth=4
	s_or_b32 exec_lo, exec_lo, s13
	s_mov_b32 s13, 0
	s_mov_b32 s37, exec_lo
                                        ; implicit-def: $sgpr36
	v_cmpx_lt_i16_e32 0x7f, v63
	s_xor_b32 s37, exec_lo, s37
	s_cbranch_execnz .LBB6_2748
; %bb.1299:                             ;   in Loop: Header=BB6_394 Depth=4
	s_or_saveexec_b32 s37, s37
	v_mov_b32_e32 v74, s36
	s_xor_b32 exec_lo, exec_lo, s37
	s_cbranch_execnz .LBB6_2751
.LBB6_1300:                             ;   in Loop: Header=BB6_394 Depth=4
	s_or_b32 exec_lo, exec_lo, s37
	s_and_saveexec_b32 s36, s13
	s_cbranch_execz .LBB6_1302
.LBB6_1301:                             ;   in Loop: Header=BB6_394 Depth=4
	v_bfe_u32 v74, v27, 24, 3
	v_bfe_u32 v77, v27, 27, 4
	s_delay_alu instid0(VALU_DEP_2) | instskip(NEXT) | instid1(VALU_DEP_2)
	v_clz_i32_u32_e32 v75, v74
	v_cmp_eq_u32_e32 vcc_lo, 0, v77
	s_delay_alu instid0(VALU_DEP_2) | instskip(NEXT) | instid1(VALU_DEP_1)
	v_min_u32_e32 v75, 32, v75
	v_subrev_nc_u32_e32 v76, 28, v75
	v_sub_nc_u32_e32 v75, 29, v75
	s_delay_alu instid0(VALU_DEP_2) | instskip(NEXT) | instid1(VALU_DEP_1)
	v_lshlrev_b32_e32 v76, v76, v63
	v_dual_cndmask_b32 v75, v77, v75 :: v_dual_and_b32 v76, 7, v76
	s_delay_alu instid0(VALU_DEP_1) | instskip(NEXT) | instid1(VALU_DEP_2)
	v_lshl_add_u32 v75, v75, 23, 0x3b800000
	v_cndmask_b32_e32 v74, v74, v76, vcc_lo
	v_and_b32_e32 v76, 0x80000000, v27
	s_delay_alu instid0(VALU_DEP_2) | instskip(NEXT) | instid1(VALU_DEP_1)
	v_lshlrev_b32_e32 v74, 20, v74
	v_or3_b32 v74, v76, v75, v74
.LBB6_1302:                             ;   in Loop: Header=BB6_394 Depth=4
	s_or_b32 exec_lo, exec_lo, s36
	s_delay_alu instid0(VALU_DEP_1) | instskip(SKIP_1) | instid1(VALU_DEP_1)
	v_dual_max_f32 v74, v74, v74 :: v_dual_max_f32 v73, v73, v73
	s_mov_b32 s13, 0
	v_max_f32_e32 v73, v73, v74
	s_branch .LBB6_1304
.LBB6_1303:                             ;   in Loop: Header=BB6_394 Depth=4
	s_mov_b32 s13, -1
                                        ; implicit-def: $vgpr73
.LBB6_1304:                             ;   in Loop: Header=BB6_394 Depth=4
	s_delay_alu instid0(SALU_CYCLE_1)
	s_and_b32 vcc_lo, exec_lo, s13
	s_cbranch_vccz .LBB6_1314
; %bb.1305:                             ;   in Loop: Header=BB6_394 Depth=4
	s_mov_b32 s13, 0
	s_mov_b32 s37, exec_lo
                                        ; implicit-def: $sgpr36
	v_cmpx_lt_i16_e32 0x7f, v72
	s_xor_b32 s37, exec_lo, s37
	s_cbranch_execnz .LBB6_2752
; %bb.1306:                             ;   in Loop: Header=BB6_394 Depth=4
	s_or_saveexec_b32 s37, s37
	v_mov_b32_e32 v73, s36
	s_xor_b32 exec_lo, exec_lo, s37
	s_cbranch_execnz .LBB6_2755
.LBB6_1307:                             ;   in Loop: Header=BB6_394 Depth=4
	s_or_b32 exec_lo, exec_lo, s37
	s_and_saveexec_b32 s36, s13
	s_cbranch_execz .LBB6_1309
.LBB6_1308:                             ;   in Loop: Header=BB6_394 Depth=4
	v_bfe_u32 v73, v35, 24, 3
	s_delay_alu instid0(VALU_DEP_1) | instskip(NEXT) | instid1(VALU_DEP_1)
	v_clz_i32_u32_e32 v74, v73
	v_min_u32_e32 v74, 32, v74
	s_delay_alu instid0(VALU_DEP_1) | instskip(SKIP_1) | instid1(VALU_DEP_2)
	v_subrev_nc_u32_e32 v75, 28, v74
	v_sub_nc_u32_e32 v74, 29, v74
	v_lshlrev_b32_e32 v72, v75, v72
	v_bfe_u32 v75, v35, 27, 4
	v_and_b32_e32 v35, 0x80000000, v35
	s_delay_alu instid0(VALU_DEP_3) | instskip(NEXT) | instid1(VALU_DEP_3)
	v_and_b32_e32 v72, 7, v72
	v_cmp_eq_u32_e32 vcc_lo, 0, v75
	v_cndmask_b32_e32 v74, v75, v74, vcc_lo
	s_delay_alu instid0(VALU_DEP_3) | instskip(NEXT) | instid1(VALU_DEP_2)
	v_cndmask_b32_e32 v72, v73, v72, vcc_lo
	v_lshl_add_u32 v73, v74, 23, 0x3b800000
	s_delay_alu instid0(VALU_DEP_2) | instskip(NEXT) | instid1(VALU_DEP_1)
	v_lshlrev_b32_e32 v72, 20, v72
	v_or3_b32 v73, v35, v73, v72
.LBB6_1309:                             ;   in Loop: Header=BB6_394 Depth=4
	s_or_b32 exec_lo, exec_lo, s36
	s_mov_b32 s13, 0
	s_mov_b32 s37, exec_lo
                                        ; implicit-def: $sgpr36
	v_cmpx_lt_i16_e32 0x7f, v63
	s_xor_b32 s37, exec_lo, s37
	s_cbranch_execnz .LBB6_2756
; %bb.1310:                             ;   in Loop: Header=BB6_394 Depth=4
	s_or_saveexec_b32 s37, s37
	v_mov_b32_e32 v35, s36
	s_xor_b32 exec_lo, exec_lo, s37
	s_cbranch_execnz .LBB6_2759
.LBB6_1311:                             ;   in Loop: Header=BB6_394 Depth=4
	s_or_b32 exec_lo, exec_lo, s37
	s_and_saveexec_b32 s36, s13
	s_cbranch_execz .LBB6_1313
.LBB6_1312:                             ;   in Loop: Header=BB6_394 Depth=4
	v_bfe_u32 v35, v27, 24, 3
	s_delay_alu instid0(VALU_DEP_1) | instskip(NEXT) | instid1(VALU_DEP_1)
	v_clz_i32_u32_e32 v72, v35
	v_min_u32_e32 v72, 32, v72
	s_delay_alu instid0(VALU_DEP_1) | instskip(SKIP_1) | instid1(VALU_DEP_2)
	v_subrev_nc_u32_e32 v74, 28, v72
	v_sub_nc_u32_e32 v72, 29, v72
	v_lshlrev_b32_e32 v63, v74, v63
	v_bfe_u32 v74, v27, 27, 4
	v_and_b32_e32 v27, 0x80000000, v27
	s_delay_alu instid0(VALU_DEP_2) | instskip(NEXT) | instid1(VALU_DEP_4)
	v_cmp_eq_u32_e32 vcc_lo, 0, v74
	v_dual_cndmask_b32 v72, v74, v72 :: v_dual_and_b32 v63, 7, v63
	s_delay_alu instid0(VALU_DEP_1) | instskip(NEXT) | instid1(VALU_DEP_2)
	v_cndmask_b32_e32 v35, v35, v63, vcc_lo
	v_lshl_add_u32 v63, v72, 23, 0x3b800000
	s_delay_alu instid0(VALU_DEP_2) | instskip(NEXT) | instid1(VALU_DEP_1)
	v_lshlrev_b32_e32 v35, 20, v35
	v_or3_b32 v35, v27, v63, v35
.LBB6_1313:                             ;   in Loop: Header=BB6_394 Depth=4
	s_or_b32 exec_lo, exec_lo, s36
	s_delay_alu instid0(VALU_DEP_1) | instskip(SKIP_1) | instid1(VALU_DEP_1)
	v_max_f32_e32 v27, v35, v35
	v_max_f32_e32 v35, v73, v73
	v_min_f32_e32 v73, v35, v27
.LBB6_1314:                             ;   in Loop: Header=BB6_394 Depth=4
	s_delay_alu instid0(VALU_DEP_1) | instskip(NEXT) | instid1(VALU_DEP_1)
	v_and_b32_e32 v27, 0x7f800000, v73
	v_cmp_ne_u32_e32 vcc_lo, 0x7f800000, v27
	v_mov_b32_e32 v27, 0x8000
	s_and_saveexec_b32 s36, vcc_lo
	s_cbranch_execz .LBB6_1322
; %bb.1315:                             ;   in Loop: Header=BB6_394 Depth=4
	v_mov_b32_e32 v27, 0
	s_mov_b32 s37, exec_lo
	v_cmpx_ne_u32_e32 0, v73
	s_cbranch_execz .LBB6_1321
; %bb.1316:                             ;   in Loop: Header=BB6_394 Depth=4
	v_bfe_u32 v27, v73, 23, 8
	v_and_b32_e32 v35, 0x7fffff, v73
	s_delay_alu instid0(VALU_DEP_2) | instskip(SKIP_1) | instid1(VALU_DEP_3)
	v_sub_nc_u32_e32 v63, 0x78, v27
	v_cmp_gt_u32_e32 vcc_lo, 0x79, v27
	v_or_b32_e32 v72, 0x800000, v35
	s_delay_alu instid0(VALU_DEP_3) | instskip(SKIP_2) | instid1(VALU_DEP_3)
	v_cndmask_b32_e32 v63, 0, v63, vcc_lo
	v_cmp_eq_u32_e32 vcc_lo, 0, v27
	v_add_nc_u32_e32 v27, 0xffffff89, v27
	v_cndmask_b32_e64 v63, v63, 0x77, vcc_lo
	v_cndmask_b32_e32 v35, v72, v35, vcc_lo
	s_delay_alu instid0(VALU_DEP_3) | instskip(NEXT) | instid1(VALU_DEP_3)
	v_cndmask_b32_e64 v27, v27, 0xffffff8a, vcc_lo
	v_lshl_add_u32 v72, 0x100000, v63, -1
	s_delay_alu instid0(VALU_DEP_3) | instskip(SKIP_1) | instid1(VALU_DEP_4)
	v_lshrrev_b32_e32 v74, v63, v35
	v_lshlrev_b32_e64 v76, v63, 0x80000
	v_add_nc_u32_e32 v63, v63, v27
	s_delay_alu instid0(VALU_DEP_4) | instskip(NEXT) | instid1(VALU_DEP_4)
	v_and_b32_e32 v35, v72, v35
	v_bfe_u32 v75, v74, 20, 1
	s_delay_alu instid0(VALU_DEP_2) | instskip(NEXT) | instid1(VALU_DEP_2)
	v_cmp_eq_u32_e64 s13, v35, v76
	v_add_nc_u32_e32 v72, -1, v75
	s_delay_alu instid0(VALU_DEP_1) | instskip(SKIP_2) | instid1(VALU_DEP_2)
	v_cndmask_b32_e64 v35, 0, v72, s13
	v_lshrrev_b32_e32 v72, 23, v74
	s_mov_b32 s13, exec_lo
	v_add_nc_u32_e32 v35, v35, v74
	s_delay_alu instid0(VALU_DEP_2) | instskip(NEXT) | instid1(VALU_DEP_2)
	v_xor_b32_e32 v72, 1, v72
	v_and_b32_e32 v27, 0xfffff, v35
	s_delay_alu instid0(VALU_DEP_1) | instskip(NEXT) | instid1(VALU_DEP_3)
	v_add_nc_u32_e32 v35, v27, v74
                                        ; implicit-def: $vgpr27
	v_cmpx_ne_u32_e64 v63, v72
	s_xor_b32 s13, exec_lo, s13
; %bb.1317:                             ;   in Loop: Header=BB6_394 Depth=4
	s_delay_alu instid0(VALU_DEP_2) | instskip(SKIP_2) | instid1(VALU_DEP_2)
	v_cmp_lt_u32_e32 vcc_lo, 0xffffff, v35
	v_sub_nc_u32_e32 v27, v63, v72
	v_cndmask_b32_e64 v63, 0, 1, vcc_lo
	v_add_co_ci_u32_e32 v27, vcc_lo, 0, v27, vcc_lo
	s_delay_alu instid0(VALU_DEP_2)
	v_lshrrev_b32_e32 v35, v63, v35
; %bb.1318:                             ;   in Loop: Header=BB6_394 Depth=4
	s_and_not1_saveexec_b32 s13, s13
; %bb.1319:                             ;   in Loop: Header=BB6_394 Depth=4
	s_delay_alu instid0(VALU_DEP_1)
	v_bfe_u32 v27, v35, 23, 1
; %bb.1320:                             ;   in Loop: Header=BB6_394 Depth=4
	s_or_b32 exec_lo, exec_lo, s13
	v_lshrrev_b32_e32 v35, 20, v35
	s_delay_alu instid0(VALU_DEP_2) | instskip(SKIP_2) | instid1(VALU_DEP_3)
	v_min_i32_e32 v63, 15, v27
	v_cmp_gt_i32_e32 vcc_lo, 16, v27
	v_lshrrev_b32_e32 v72, 24, v73
	v_lshlrev_b32_e32 v63, 3, v63
	s_delay_alu instid0(VALU_DEP_2) | instskip(NEXT) | instid1(VALU_DEP_2)
	v_dual_cndmask_b32 v35, 7, v35 :: v_dual_and_b32 v72, 0x80, v72
	v_and_b32_e32 v63, 0xf8, v63
	s_delay_alu instid0(VALU_DEP_2) | instskip(SKIP_1) | instid1(VALU_DEP_2)
	v_and_b32_e32 v73, 7, v35
	v_or_b32_e32 v27, v27, v35
	v_or3_b32 v63, v72, v63, v73
	s_delay_alu instid0(VALU_DEP_2) | instskip(NEXT) | instid1(VALU_DEP_2)
	v_cmp_ne_u32_e32 vcc_lo, 0, v27
	v_lshlrev_b32_e32 v35, 8, v63
	s_delay_alu instid0(VALU_DEP_1)
	v_cndmask_b32_e32 v27, 0, v35, vcc_lo
.LBB6_1321:                             ;   in Loop: Header=BB6_394 Depth=4
	s_or_b32 exec_lo, exec_lo, s37
.LBB6_1322:                             ;   in Loop: Header=BB6_394 Depth=4
	s_delay_alu instid0(SALU_CYCLE_1) | instskip(SKIP_2) | instid1(VALU_DEP_1)
	s_or_b32 exec_lo, exec_lo, s36
	v_and_b32_e32 v35, 0xff, v20
	s_and_not1_b32 vcc_lo, exec_lo, s35
	v_cmp_lt_i16_e64 s13, 0x7f, v35
	s_cbranch_vccnz .LBB6_1332
; %bb.1323:                             ;   in Loop: Header=BB6_394 Depth=4
	s_mov_b32 s36, 0
                                        ; implicit-def: $sgpr37
	s_delay_alu instid0(VALU_DEP_1) | instskip(NEXT) | instid1(SALU_CYCLE_1)
	s_and_saveexec_b32 vcc_lo, s13
	s_xor_b32 s13, exec_lo, vcc_lo
	s_cbranch_execnz .LBB6_2760
; %bb.1324:                             ;   in Loop: Header=BB6_394 Depth=4
	s_or_saveexec_b32 s13, s13
	v_mov_b32_e32 v63, s37
	s_xor_b32 exec_lo, exec_lo, s13
	s_cbranch_execnz .LBB6_2763
.LBB6_1325:                             ;   in Loop: Header=BB6_394 Depth=4
	s_or_b32 exec_lo, exec_lo, s13
	s_and_saveexec_b32 s13, s36
	s_cbranch_execz .LBB6_1327
.LBB6_1326:                             ;   in Loop: Header=BB6_394 Depth=4
	v_and_b32_e32 v63, 7, v20
	v_bfe_u32 v74, v20, 3, 4
	v_lshlrev_b32_e32 v75, 24, v20
	s_delay_alu instid0(VALU_DEP_3) | instskip(NEXT) | instid1(VALU_DEP_3)
	v_clz_i32_u32_e32 v72, v63
	v_cmp_eq_u32_e32 vcc_lo, 0, v74
	s_delay_alu instid0(VALU_DEP_2) | instskip(NEXT) | instid1(VALU_DEP_1)
	v_min_u32_e32 v72, 32, v72
	v_subrev_nc_u32_e32 v73, 28, v72
	v_sub_nc_u32_e32 v72, 29, v72
	s_delay_alu instid0(VALU_DEP_2) | instskip(NEXT) | instid1(VALU_DEP_1)
	v_lshlrev_b32_e32 v73, v73, v20
	v_dual_cndmask_b32 v72, v74, v72 :: v_dual_and_b32 v73, 7, v73
	s_delay_alu instid0(VALU_DEP_1) | instskip(NEXT) | instid1(VALU_DEP_2)
	v_lshl_add_u32 v72, v72, 23, 0x3b800000
	v_cndmask_b32_e32 v63, v63, v73, vcc_lo
	v_and_b32_e32 v73, 0x80000000, v75
	s_delay_alu instid0(VALU_DEP_2) | instskip(NEXT) | instid1(VALU_DEP_1)
	v_lshlrev_b32_e32 v63, 20, v63
	v_or3_b32 v63, v73, v72, v63
.LBB6_1327:                             ;   in Loop: Header=BB6_394 Depth=4
	s_or_b32 exec_lo, exec_lo, s13
	s_waitcnt vmcnt(1)
	v_and_b32_e32 v73, 0xff, v16
	s_mov_b32 s13, 0
	s_mov_b32 s37, exec_lo
                                        ; implicit-def: $sgpr36
	s_delay_alu instid0(VALU_DEP_1)
	v_cmpx_lt_i16_e32 0x7f, v73
	s_xor_b32 s37, exec_lo, s37
	s_cbranch_execnz .LBB6_2764
; %bb.1328:                             ;   in Loop: Header=BB6_394 Depth=4
	s_or_saveexec_b32 s37, s37
	v_mov_b32_e32 v72, s36
	s_xor_b32 exec_lo, exec_lo, s37
	s_cbranch_execnz .LBB6_2767
.LBB6_1329:                             ;   in Loop: Header=BB6_394 Depth=4
	s_or_b32 exec_lo, exec_lo, s37
	s_and_saveexec_b32 s36, s13
	s_cbranch_execz .LBB6_1331
.LBB6_1330:                             ;   in Loop: Header=BB6_394 Depth=4
	v_bfe_u32 v75, v16, 3, 4
	v_lshlrev_b32_e32 v76, 24, v16
	s_delay_alu instid0(VALU_DEP_2) | instskip(SKIP_1) | instid1(VALU_DEP_1)
	v_cmp_eq_u32_e32 vcc_lo, 0, v75
	v_and_b32_e32 v72, 7, v16
	v_clz_i32_u32_e32 v73, v72
	s_delay_alu instid0(VALU_DEP_1) | instskip(NEXT) | instid1(VALU_DEP_1)
	v_min_u32_e32 v73, 32, v73
	v_subrev_nc_u32_e32 v74, 28, v73
	v_sub_nc_u32_e32 v73, 29, v73
	s_delay_alu instid0(VALU_DEP_1) | instskip(NEXT) | instid1(VALU_DEP_1)
	v_dual_cndmask_b32 v73, v75, v73 :: v_dual_lshlrev_b32 v74, v74, v16
	v_and_b32_e32 v74, 7, v74
	s_delay_alu instid0(VALU_DEP_2) | instskip(NEXT) | instid1(VALU_DEP_2)
	v_lshl_add_u32 v73, v73, 23, 0x3b800000
	v_cndmask_b32_e32 v72, v72, v74, vcc_lo
	v_and_b32_e32 v74, 0x80000000, v76
	s_delay_alu instid0(VALU_DEP_2) | instskip(NEXT) | instid1(VALU_DEP_1)
	v_lshlrev_b32_e32 v72, 20, v72
	v_or3_b32 v72, v74, v73, v72
.LBB6_1331:                             ;   in Loop: Header=BB6_394 Depth=4
	s_or_b32 exec_lo, exec_lo, s36
	s_delay_alu instid0(VALU_DEP_1) | instskip(SKIP_1) | instid1(VALU_DEP_1)
	v_dual_max_f32 v72, v72, v72 :: v_dual_max_f32 v63, v63, v63
	s_mov_b32 s13, 0
	v_max_f32_e32 v63, v63, v72
	s_branch .LBB6_1333
.LBB6_1332:                             ;   in Loop: Header=BB6_394 Depth=4
	s_mov_b32 s13, -1
                                        ; implicit-def: $vgpr63
.LBB6_1333:                             ;   in Loop: Header=BB6_394 Depth=4
	s_delay_alu instid0(SALU_CYCLE_1)
	s_and_b32 vcc_lo, exec_lo, s13
	s_cbranch_vccz .LBB6_1343
; %bb.1334:                             ;   in Loop: Header=BB6_394 Depth=4
	s_mov_b32 s13, 0
	s_mov_b32 s37, exec_lo
                                        ; implicit-def: $sgpr36
	v_cmpx_lt_i16_e32 0x7f, v35
	s_xor_b32 s37, exec_lo, s37
	s_cbranch_execnz .LBB6_2768
; %bb.1335:                             ;   in Loop: Header=BB6_394 Depth=4
	s_or_saveexec_b32 s37, s37
	v_mov_b32_e32 v63, s36
	s_xor_b32 exec_lo, exec_lo, s37
	s_cbranch_execnz .LBB6_2771
.LBB6_1336:                             ;   in Loop: Header=BB6_394 Depth=4
	s_or_b32 exec_lo, exec_lo, s37
	s_and_saveexec_b32 s36, s13
	s_cbranch_execz .LBB6_1338
.LBB6_1337:                             ;   in Loop: Header=BB6_394 Depth=4
	v_and_b32_e32 v35, 7, v20
	v_bfe_u32 v73, v20, 3, 4
	v_lshlrev_b32_e32 v74, 24, v20
	s_delay_alu instid0(VALU_DEP_3) | instskip(NEXT) | instid1(VALU_DEP_3)
	v_clz_i32_u32_e32 v63, v35
	v_cmp_eq_u32_e32 vcc_lo, 0, v73
	s_delay_alu instid0(VALU_DEP_2) | instskip(NEXT) | instid1(VALU_DEP_1)
	v_min_u32_e32 v63, 32, v63
	v_subrev_nc_u32_e32 v72, 28, v63
	v_sub_nc_u32_e32 v63, 29, v63
	s_delay_alu instid0(VALU_DEP_1) | instskip(NEXT) | instid1(VALU_DEP_1)
	v_dual_cndmask_b32 v63, v73, v63 :: v_dual_lshlrev_b32 v72, v72, v20
	v_and_b32_e32 v72, 7, v72
	s_delay_alu instid0(VALU_DEP_2) | instskip(NEXT) | instid1(VALU_DEP_2)
	v_lshl_add_u32 v63, v63, 23, 0x3b800000
	v_dual_cndmask_b32 v35, v35, v72 :: v_dual_and_b32 v72, 0x80000000, v74
	s_delay_alu instid0(VALU_DEP_1) | instskip(NEXT) | instid1(VALU_DEP_1)
	v_lshlrev_b32_e32 v35, 20, v35
	v_or3_b32 v63, v72, v63, v35
.LBB6_1338:                             ;   in Loop: Header=BB6_394 Depth=4
	s_or_b32 exec_lo, exec_lo, s36
	s_waitcnt vmcnt(1)
	v_and_b32_e32 v72, 0xff, v16
	s_mov_b32 s13, 0
	s_mov_b32 s37, exec_lo
                                        ; implicit-def: $sgpr36
	s_delay_alu instid0(VALU_DEP_1)
	v_cmpx_lt_i16_e32 0x7f, v72
	s_xor_b32 s37, exec_lo, s37
	s_cbranch_execnz .LBB6_2772
; %bb.1339:                             ;   in Loop: Header=BB6_394 Depth=4
	s_or_saveexec_b32 s37, s37
	v_mov_b32_e32 v35, s36
	s_xor_b32 exec_lo, exec_lo, s37
	s_cbranch_execnz .LBB6_2775
.LBB6_1340:                             ;   in Loop: Header=BB6_394 Depth=4
	s_or_b32 exec_lo, exec_lo, s37
	s_and_saveexec_b32 s36, s13
	s_cbranch_execz .LBB6_1342
.LBB6_1341:                             ;   in Loop: Header=BB6_394 Depth=4
	v_and_b32_e32 v35, 7, v16
	v_bfe_u32 v74, v16, 3, 4
	v_lshlrev_b32_e32 v75, 24, v16
	s_delay_alu instid0(VALU_DEP_3) | instskip(NEXT) | instid1(VALU_DEP_3)
	v_clz_i32_u32_e32 v72, v35
	v_cmp_eq_u32_e32 vcc_lo, 0, v74
	s_delay_alu instid0(VALU_DEP_2) | instskip(NEXT) | instid1(VALU_DEP_1)
	v_min_u32_e32 v72, 32, v72
	v_subrev_nc_u32_e32 v73, 28, v72
	v_sub_nc_u32_e32 v72, 29, v72
	s_delay_alu instid0(VALU_DEP_2) | instskip(NEXT) | instid1(VALU_DEP_1)
	v_lshlrev_b32_e32 v73, v73, v16
	v_dual_cndmask_b32 v72, v74, v72 :: v_dual_and_b32 v73, 7, v73
	s_delay_alu instid0(VALU_DEP_1) | instskip(NEXT) | instid1(VALU_DEP_2)
	v_lshl_add_u32 v72, v72, 23, 0x3b800000
	v_cndmask_b32_e32 v35, v35, v73, vcc_lo
	v_and_b32_e32 v73, 0x80000000, v75
	s_delay_alu instid0(VALU_DEP_2) | instskip(NEXT) | instid1(VALU_DEP_1)
	v_lshlrev_b32_e32 v35, 20, v35
	v_or3_b32 v35, v73, v72, v35
.LBB6_1342:                             ;   in Loop: Header=BB6_394 Depth=4
	s_or_b32 exec_lo, exec_lo, s36
	s_delay_alu instid0(VALU_DEP_1) | instskip(SKIP_1) | instid1(VALU_DEP_1)
	v_max_f32_e32 v35, v35, v35
	v_max_f32_e32 v63, v63, v63
	v_min_f32_e32 v63, v63, v35
.LBB6_1343:                             ;   in Loop: Header=BB6_394 Depth=4
	s_delay_alu instid0(VALU_DEP_1) | instskip(NEXT) | instid1(VALU_DEP_1)
	v_and_b32_e32 v35, 0x7f800000, v63
	v_cmp_ne_u32_e32 vcc_lo, 0x7f800000, v35
	v_mov_b32_e32 v35, 0x80
	s_and_saveexec_b32 s36, vcc_lo
	s_cbranch_execz .LBB6_1351
; %bb.1344:                             ;   in Loop: Header=BB6_394 Depth=4
	v_mov_b32_e32 v35, 0
	s_mov_b32 s37, exec_lo
	v_cmpx_ne_u32_e32 0, v63
	s_cbranch_execz .LBB6_1350
; %bb.1345:                             ;   in Loop: Header=BB6_394 Depth=4
	v_bfe_u32 v35, v63, 23, 8
	s_delay_alu instid0(VALU_DEP_1) | instskip(SKIP_1) | instid1(VALU_DEP_2)
	v_sub_nc_u32_e32 v73, 0x78, v35
	v_cmp_gt_u32_e32 vcc_lo, 0x79, v35
	v_dual_cndmask_b32 v73, 0, v73 :: v_dual_and_b32 v72, 0x7fffff, v63
	s_delay_alu instid0(VALU_DEP_1) | instskip(SKIP_2) | instid1(VALU_DEP_4)
	v_or_b32_e32 v74, 0x800000, v72
	v_cmp_eq_u32_e32 vcc_lo, 0, v35
	v_add_nc_u32_e32 v35, 0xffffff89, v35
	v_cndmask_b32_e64 v73, v73, 0x77, vcc_lo
	s_delay_alu instid0(VALU_DEP_4) | instskip(NEXT) | instid1(VALU_DEP_3)
	v_cndmask_b32_e32 v72, v74, v72, vcc_lo
	v_cndmask_b32_e64 v35, v35, 0xffffff8a, vcc_lo
	s_delay_alu instid0(VALU_DEP_3) | instskip(NEXT) | instid1(VALU_DEP_3)
	v_lshl_add_u32 v74, 0x100000, v73, -1
	v_lshrrev_b32_e32 v75, v73, v72
	v_lshlrev_b32_e64 v77, v73, 0x80000
	s_delay_alu instid0(VALU_DEP_4) | instskip(NEXT) | instid1(VALU_DEP_4)
	v_add_nc_u32_e32 v73, v73, v35
	v_and_b32_e32 v72, v74, v72
	s_delay_alu instid0(VALU_DEP_4) | instskip(NEXT) | instid1(VALU_DEP_2)
	v_bfe_u32 v76, v75, 20, 1
	v_cmp_eq_u32_e64 s13, v72, v77
	s_delay_alu instid0(VALU_DEP_2) | instskip(NEXT) | instid1(VALU_DEP_1)
	v_add_nc_u32_e32 v74, -1, v76
	v_cndmask_b32_e64 v72, 0, v74, s13
	v_lshrrev_b32_e32 v74, 23, v75
	s_mov_b32 s13, exec_lo
	s_delay_alu instid0(VALU_DEP_2) | instskip(NEXT) | instid1(VALU_DEP_2)
	v_add_nc_u32_e32 v72, v72, v75
	v_xor_b32_e32 v74, 1, v74
	s_delay_alu instid0(VALU_DEP_2) | instskip(NEXT) | instid1(VALU_DEP_1)
	v_and_b32_e32 v35, 0xfffff, v72
	v_add_nc_u32_e32 v72, v35, v75
                                        ; implicit-def: $vgpr35
	s_delay_alu instid0(VALU_DEP_3)
	v_cmpx_ne_u32_e64 v73, v74
	s_xor_b32 s13, exec_lo, s13
; %bb.1346:                             ;   in Loop: Header=BB6_394 Depth=4
	s_delay_alu instid0(VALU_DEP_2) | instskip(SKIP_2) | instid1(VALU_DEP_2)
	v_cmp_lt_u32_e32 vcc_lo, 0xffffff, v72
	v_sub_nc_u32_e32 v35, v73, v74
	v_cndmask_b32_e64 v73, 0, 1, vcc_lo
	v_add_co_ci_u32_e32 v35, vcc_lo, 0, v35, vcc_lo
	s_delay_alu instid0(VALU_DEP_2)
	v_lshrrev_b32_e32 v72, v73, v72
; %bb.1347:                             ;   in Loop: Header=BB6_394 Depth=4
	s_and_not1_saveexec_b32 s13, s13
; %bb.1348:                             ;   in Loop: Header=BB6_394 Depth=4
	s_delay_alu instid0(VALU_DEP_1)
	v_bfe_u32 v35, v72, 23, 1
; %bb.1349:                             ;   in Loop: Header=BB6_394 Depth=4
	s_or_b32 exec_lo, exec_lo, s13
	v_lshrrev_b32_e32 v72, 20, v72
	s_delay_alu instid0(VALU_DEP_2) | instskip(SKIP_2) | instid1(VALU_DEP_2)
	v_cmp_gt_i32_e32 vcc_lo, 16, v35
	v_lshrrev_b32_e32 v63, 24, v63
	v_min_i32_e32 v73, 15, v35
	v_dual_cndmask_b32 v72, 7, v72 :: v_dual_and_b32 v63, 0x80, v63
	s_delay_alu instid0(VALU_DEP_2) | instskip(NEXT) | instid1(VALU_DEP_2)
	v_lshlrev_b32_e32 v73, 3, v73
	v_or_b32_e32 v35, v35, v72
	s_delay_alu instid0(VALU_DEP_1) | instskip(SKIP_1) | instid1(VALU_DEP_1)
	v_cmp_ne_u32_e32 vcc_lo, 0, v35
	v_and_b32_e32 v74, 7, v72
	v_or3_b32 v63, v73, v63, v74
	s_delay_alu instid0(VALU_DEP_1)
	v_cndmask_b32_e32 v35, 0, v63, vcc_lo
.LBB6_1350:                             ;   in Loop: Header=BB6_394 Depth=4
	s_or_b32 exec_lo, exec_lo, s37
.LBB6_1351:                             ;   in Loop: Header=BB6_394 Depth=4
	s_delay_alu instid0(SALU_CYCLE_1) | instskip(SKIP_4) | instid1(VALU_DEP_2)
	s_or_b32 exec_lo, exec_lo, s36
	v_lshrrev_b16 v72, 8, v20
	s_waitcnt vmcnt(1)
	v_lshrrev_b16 v63, 8, v16
	s_and_not1_b32 vcc_lo, exec_lo, s35
	v_cmp_lt_i16_e64 s13, 0x7f, v72
	s_cbranch_vccnz .LBB6_1361
; %bb.1352:                             ;   in Loop: Header=BB6_394 Depth=4
	s_mov_b32 s36, 0
                                        ; implicit-def: $sgpr37
	s_delay_alu instid0(VALU_DEP_1) | instskip(NEXT) | instid1(SALU_CYCLE_1)
	s_and_saveexec_b32 vcc_lo, s13
	s_xor_b32 s13, exec_lo, vcc_lo
	s_cbranch_execnz .LBB6_2776
; %bb.1353:                             ;   in Loop: Header=BB6_394 Depth=4
	s_or_saveexec_b32 s13, s13
	v_mov_b32_e32 v73, s37
	s_xor_b32 exec_lo, exec_lo, s13
	s_cbranch_execnz .LBB6_2779
.LBB6_1354:                             ;   in Loop: Header=BB6_394 Depth=4
	s_or_b32 exec_lo, exec_lo, s13
	s_and_saveexec_b32 s13, s36
	s_cbranch_execz .LBB6_1356
.LBB6_1355:                             ;   in Loop: Header=BB6_394 Depth=4
	v_and_b32_e32 v73, 0xffff, v72
	v_lshlrev_b32_e32 v77, 16, v20
	s_delay_alu instid0(VALU_DEP_2) | instskip(NEXT) | instid1(VALU_DEP_1)
	v_and_b32_e32 v74, 7, v73
	v_clz_i32_u32_e32 v75, v74
	s_delay_alu instid0(VALU_DEP_1) | instskip(NEXT) | instid1(VALU_DEP_1)
	v_min_u32_e32 v75, 32, v75
	v_subrev_nc_u32_e32 v76, 28, v75
	v_sub_nc_u32_e32 v75, 29, v75
	s_delay_alu instid0(VALU_DEP_2) | instskip(SKIP_1) | instid1(VALU_DEP_2)
	v_lshlrev_b32_e32 v76, v76, v73
	v_bfe_u32 v73, v73, 3, 4
	v_and_b32_e32 v76, 7, v76
	s_delay_alu instid0(VALU_DEP_2) | instskip(NEXT) | instid1(VALU_DEP_2)
	v_cmp_eq_u32_e32 vcc_lo, 0, v73
	v_dual_cndmask_b32 v73, v73, v75 :: v_dual_cndmask_b32 v74, v74, v76
	v_and_b32_e32 v75, 0x80000000, v77
	s_delay_alu instid0(VALU_DEP_2) | instskip(NEXT) | instid1(VALU_DEP_3)
	v_lshl_add_u32 v73, v73, 23, 0x3b800000
	v_lshlrev_b32_e32 v74, 20, v74
	s_delay_alu instid0(VALU_DEP_1)
	v_or3_b32 v73, v75, v73, v74
.LBB6_1356:                             ;   in Loop: Header=BB6_394 Depth=4
	s_or_b32 exec_lo, exec_lo, s13
	s_mov_b32 s13, 0
	s_mov_b32 s37, exec_lo
                                        ; implicit-def: $sgpr36
	v_cmpx_lt_i16_e32 0x7f, v63
	s_xor_b32 s37, exec_lo, s37
	s_cbranch_execnz .LBB6_2780
; %bb.1357:                             ;   in Loop: Header=BB6_394 Depth=4
	s_or_saveexec_b32 s37, s37
	v_mov_b32_e32 v74, s36
	s_xor_b32 exec_lo, exec_lo, s37
	s_cbranch_execnz .LBB6_2783
.LBB6_1358:                             ;   in Loop: Header=BB6_394 Depth=4
	s_or_b32 exec_lo, exec_lo, s37
	s_and_saveexec_b32 s36, s13
	s_cbranch_execz .LBB6_1360
.LBB6_1359:                             ;   in Loop: Header=BB6_394 Depth=4
	v_and_b32_e32 v74, 0xffff, v63
	v_lshlrev_b32_e32 v78, 16, v16
	s_delay_alu instid0(VALU_DEP_2) | instskip(NEXT) | instid1(VALU_DEP_1)
	v_and_b32_e32 v75, 7, v74
	v_clz_i32_u32_e32 v76, v75
	s_delay_alu instid0(VALU_DEP_1) | instskip(NEXT) | instid1(VALU_DEP_1)
	v_min_u32_e32 v76, 32, v76
	v_subrev_nc_u32_e32 v77, 28, v76
	v_sub_nc_u32_e32 v76, 29, v76
	s_delay_alu instid0(VALU_DEP_2) | instskip(SKIP_1) | instid1(VALU_DEP_2)
	v_lshlrev_b32_e32 v77, v77, v74
	v_bfe_u32 v74, v74, 3, 4
	v_and_b32_e32 v77, 7, v77
	s_delay_alu instid0(VALU_DEP_2) | instskip(NEXT) | instid1(VALU_DEP_2)
	v_cmp_eq_u32_e32 vcc_lo, 0, v74
	v_dual_cndmask_b32 v74, v74, v76 :: v_dual_cndmask_b32 v75, v75, v77
	v_and_b32_e32 v76, 0x80000000, v78
	s_delay_alu instid0(VALU_DEP_2) | instskip(NEXT) | instid1(VALU_DEP_3)
	v_lshl_add_u32 v74, v74, 23, 0x3b800000
	v_lshlrev_b32_e32 v75, 20, v75
	s_delay_alu instid0(VALU_DEP_1)
	v_or3_b32 v74, v76, v74, v75
.LBB6_1360:                             ;   in Loop: Header=BB6_394 Depth=4
	s_or_b32 exec_lo, exec_lo, s36
	s_delay_alu instid0(VALU_DEP_1) | instskip(SKIP_1) | instid1(VALU_DEP_1)
	v_dual_max_f32 v74, v74, v74 :: v_dual_max_f32 v73, v73, v73
	s_mov_b32 s13, 0
	v_max_f32_e32 v73, v73, v74
	s_branch .LBB6_1362
.LBB6_1361:                             ;   in Loop: Header=BB6_394 Depth=4
	s_mov_b32 s13, -1
                                        ; implicit-def: $vgpr73
.LBB6_1362:                             ;   in Loop: Header=BB6_394 Depth=4
	s_delay_alu instid0(SALU_CYCLE_1)
	s_and_b32 vcc_lo, exec_lo, s13
	s_cbranch_vccz .LBB6_1372
; %bb.1363:                             ;   in Loop: Header=BB6_394 Depth=4
	s_mov_b32 s13, 0
	s_mov_b32 s37, exec_lo
                                        ; implicit-def: $sgpr36
	v_cmpx_lt_i16_e32 0x7f, v72
	s_xor_b32 s37, exec_lo, s37
	s_cbranch_execnz .LBB6_2784
; %bb.1364:                             ;   in Loop: Header=BB6_394 Depth=4
	s_or_saveexec_b32 s37, s37
	v_mov_b32_e32 v73, s36
	s_xor_b32 exec_lo, exec_lo, s37
	s_cbranch_execnz .LBB6_2787
.LBB6_1365:                             ;   in Loop: Header=BB6_394 Depth=4
	s_or_b32 exec_lo, exec_lo, s37
	s_and_saveexec_b32 s36, s13
	s_cbranch_execz .LBB6_1367
.LBB6_1366:                             ;   in Loop: Header=BB6_394 Depth=4
	v_and_b32_e32 v72, 0xffff, v72
	v_lshlrev_b32_e32 v76, 16, v20
	s_delay_alu instid0(VALU_DEP_2) | instskip(NEXT) | instid1(VALU_DEP_1)
	v_and_b32_e32 v73, 7, v72
	v_clz_i32_u32_e32 v74, v73
	s_delay_alu instid0(VALU_DEP_1) | instskip(NEXT) | instid1(VALU_DEP_1)
	v_min_u32_e32 v74, 32, v74
	v_subrev_nc_u32_e32 v75, 28, v74
	v_sub_nc_u32_e32 v74, 29, v74
	s_delay_alu instid0(VALU_DEP_2) | instskip(SKIP_1) | instid1(VALU_DEP_2)
	v_lshlrev_b32_e32 v75, v75, v72
	v_bfe_u32 v72, v72, 3, 4
	v_and_b32_e32 v75, 7, v75
	s_delay_alu instid0(VALU_DEP_2) | instskip(NEXT) | instid1(VALU_DEP_2)
	v_cmp_eq_u32_e32 vcc_lo, 0, v72
	v_dual_cndmask_b32 v72, v72, v74 :: v_dual_cndmask_b32 v73, v73, v75
	v_and_b32_e32 v74, 0x80000000, v76
	s_delay_alu instid0(VALU_DEP_2) | instskip(NEXT) | instid1(VALU_DEP_3)
	v_lshl_add_u32 v72, v72, 23, 0x3b800000
	v_lshlrev_b32_e32 v73, 20, v73
	s_delay_alu instid0(VALU_DEP_1)
	v_or3_b32 v73, v74, v72, v73
.LBB6_1367:                             ;   in Loop: Header=BB6_394 Depth=4
	s_or_b32 exec_lo, exec_lo, s36
	s_mov_b32 s13, 0
	s_mov_b32 s37, exec_lo
                                        ; implicit-def: $sgpr36
	v_cmpx_lt_i16_e32 0x7f, v63
	s_xor_b32 s37, exec_lo, s37
	s_cbranch_execnz .LBB6_2788
; %bb.1368:                             ;   in Loop: Header=BB6_394 Depth=4
	s_or_saveexec_b32 s37, s37
	v_mov_b32_e32 v72, s36
	s_xor_b32 exec_lo, exec_lo, s37
	s_cbranch_execnz .LBB6_2791
.LBB6_1369:                             ;   in Loop: Header=BB6_394 Depth=4
	s_or_b32 exec_lo, exec_lo, s37
	s_and_saveexec_b32 s36, s13
	s_cbranch_execz .LBB6_1371
.LBB6_1370:                             ;   in Loop: Header=BB6_394 Depth=4
	v_and_b32_e32 v63, 0xffff, v63
	v_lshlrev_b32_e32 v76, 16, v16
	s_delay_alu instid0(VALU_DEP_2) | instskip(NEXT) | instid1(VALU_DEP_1)
	v_and_b32_e32 v72, 7, v63
	v_clz_i32_u32_e32 v74, v72
	s_delay_alu instid0(VALU_DEP_1) | instskip(NEXT) | instid1(VALU_DEP_1)
	v_min_u32_e32 v74, 32, v74
	v_subrev_nc_u32_e32 v75, 28, v74
	v_sub_nc_u32_e32 v74, 29, v74
	s_delay_alu instid0(VALU_DEP_2) | instskip(SKIP_1) | instid1(VALU_DEP_2)
	v_lshlrev_b32_e32 v75, v75, v63
	v_bfe_u32 v63, v63, 3, 4
	v_and_b32_e32 v75, 7, v75
	s_delay_alu instid0(VALU_DEP_2) | instskip(NEXT) | instid1(VALU_DEP_2)
	v_cmp_eq_u32_e32 vcc_lo, 0, v63
	v_dual_cndmask_b32 v63, v63, v74 :: v_dual_cndmask_b32 v72, v72, v75
	v_and_b32_e32 v74, 0x80000000, v76
	s_delay_alu instid0(VALU_DEP_2) | instskip(NEXT) | instid1(VALU_DEP_3)
	v_lshl_add_u32 v63, v63, 23, 0x3b800000
	v_lshlrev_b32_e32 v72, 20, v72
	s_delay_alu instid0(VALU_DEP_1)
	v_or3_b32 v72, v74, v63, v72
.LBB6_1371:                             ;   in Loop: Header=BB6_394 Depth=4
	s_or_b32 exec_lo, exec_lo, s36
	s_delay_alu instid0(VALU_DEP_1) | instskip(NEXT) | instid1(VALU_DEP_1)
	v_dual_max_f32 v63, v72, v72 :: v_dual_max_f32 v72, v73, v73
	v_min_f32_e32 v73, v72, v63
.LBB6_1372:                             ;   in Loop: Header=BB6_394 Depth=4
	s_delay_alu instid0(VALU_DEP_1) | instskip(NEXT) | instid1(VALU_DEP_1)
	v_and_b32_e32 v63, 0x7f800000, v73
	v_cmp_ne_u32_e32 vcc_lo, 0x7f800000, v63
	v_mov_b32_e32 v63, 0x80
	s_and_saveexec_b32 s36, vcc_lo
	s_cbranch_execz .LBB6_1380
; %bb.1373:                             ;   in Loop: Header=BB6_394 Depth=4
	v_mov_b32_e32 v63, 0
	s_mov_b32 s37, exec_lo
	v_cmpx_ne_u32_e32 0, v73
	s_cbranch_execz .LBB6_1379
; %bb.1374:                             ;   in Loop: Header=BB6_394 Depth=4
	v_bfe_u32 v63, v73, 23, 8
	v_and_b32_e32 v72, 0x7fffff, v73
	s_delay_alu instid0(VALU_DEP_2) | instskip(SKIP_1) | instid1(VALU_DEP_3)
	v_sub_nc_u32_e32 v74, 0x78, v63
	v_cmp_gt_u32_e32 vcc_lo, 0x79, v63
	v_or_b32_e32 v75, 0x800000, v72
	s_delay_alu instid0(VALU_DEP_3) | instskip(SKIP_2) | instid1(VALU_DEP_3)
	v_cndmask_b32_e32 v74, 0, v74, vcc_lo
	v_cmp_eq_u32_e32 vcc_lo, 0, v63
	v_add_nc_u32_e32 v63, 0xffffff89, v63
	v_cndmask_b32_e64 v74, v74, 0x77, vcc_lo
	v_cndmask_b32_e32 v72, v75, v72, vcc_lo
	s_delay_alu instid0(VALU_DEP_3) | instskip(NEXT) | instid1(VALU_DEP_3)
	v_cndmask_b32_e64 v63, v63, 0xffffff8a, vcc_lo
	v_lshl_add_u32 v75, 0x100000, v74, -1
	s_delay_alu instid0(VALU_DEP_3) | instskip(SKIP_1) | instid1(VALU_DEP_4)
	v_lshrrev_b32_e32 v76, v74, v72
	v_lshlrev_b32_e64 v78, v74, 0x80000
	v_add_nc_u32_e32 v74, v74, v63
	s_delay_alu instid0(VALU_DEP_4) | instskip(NEXT) | instid1(VALU_DEP_4)
	v_and_b32_e32 v72, v75, v72
	v_bfe_u32 v77, v76, 20, 1
	s_delay_alu instid0(VALU_DEP_2) | instskip(NEXT) | instid1(VALU_DEP_2)
	v_cmp_eq_u32_e64 s13, v72, v78
	v_add_nc_u32_e32 v75, -1, v77
	s_delay_alu instid0(VALU_DEP_1) | instskip(SKIP_2) | instid1(VALU_DEP_2)
	v_cndmask_b32_e64 v72, 0, v75, s13
	v_lshrrev_b32_e32 v75, 23, v76
	s_mov_b32 s13, exec_lo
	v_add_nc_u32_e32 v72, v72, v76
	s_delay_alu instid0(VALU_DEP_2) | instskip(NEXT) | instid1(VALU_DEP_2)
	v_xor_b32_e32 v75, 1, v75
	v_and_b32_e32 v63, 0xfffff, v72
	s_delay_alu instid0(VALU_DEP_1) | instskip(NEXT) | instid1(VALU_DEP_3)
	v_add_nc_u32_e32 v72, v63, v76
                                        ; implicit-def: $vgpr63
	v_cmpx_ne_u32_e64 v74, v75
	s_xor_b32 s13, exec_lo, s13
; %bb.1375:                             ;   in Loop: Header=BB6_394 Depth=4
	s_delay_alu instid0(VALU_DEP_2) | instskip(SKIP_2) | instid1(VALU_DEP_2)
	v_cmp_lt_u32_e32 vcc_lo, 0xffffff, v72
	v_sub_nc_u32_e32 v63, v74, v75
	v_cndmask_b32_e64 v74, 0, 1, vcc_lo
	v_add_co_ci_u32_e32 v63, vcc_lo, 0, v63, vcc_lo
	s_delay_alu instid0(VALU_DEP_2)
	v_lshrrev_b32_e32 v72, v74, v72
; %bb.1376:                             ;   in Loop: Header=BB6_394 Depth=4
	s_and_not1_saveexec_b32 s13, s13
; %bb.1377:                             ;   in Loop: Header=BB6_394 Depth=4
	s_delay_alu instid0(VALU_DEP_1)
	v_bfe_u32 v63, v72, 23, 1
; %bb.1378:                             ;   in Loop: Header=BB6_394 Depth=4
	s_or_b32 exec_lo, exec_lo, s13
	v_lshrrev_b32_e32 v72, 20, v72
	s_delay_alu instid0(VALU_DEP_2) | instskip(SKIP_2) | instid1(VALU_DEP_2)
	v_cmp_gt_i32_e32 vcc_lo, 16, v63
	v_lshrrev_b32_e32 v73, 24, v73
	v_min_i32_e32 v74, 15, v63
	v_dual_cndmask_b32 v72, 7, v72 :: v_dual_and_b32 v73, 0x80, v73
	s_delay_alu instid0(VALU_DEP_1) | instskip(SKIP_1) | instid1(VALU_DEP_2)
	v_or_b32_e32 v63, v63, v72
	v_and_b32_e32 v75, 7, v72
	v_cmp_ne_u32_e32 vcc_lo, 0, v63
	v_lshlrev_b32_e32 v74, 3, v74
	s_delay_alu instid0(VALU_DEP_1) | instskip(NEXT) | instid1(VALU_DEP_1)
	v_or3_b32 v72, v74, v73, v75
	v_cndmask_b32_e32 v63, 0, v72, vcc_lo
.LBB6_1379:                             ;   in Loop: Header=BB6_394 Depth=4
	s_or_b32 exec_lo, exec_lo, s37
.LBB6_1380:                             ;   in Loop: Header=BB6_394 Depth=4
	s_delay_alu instid0(SALU_CYCLE_1) | instskip(SKIP_3) | instid1(VALU_DEP_2)
	s_or_b32 exec_lo, exec_lo, s36
	v_lshrrev_b32_e32 v73, 16, v20
	v_lshrrev_b32_e32 v72, 16, v16
	s_and_not1_b32 vcc_lo, exec_lo, s35
	v_and_b32_e32 v74, 0xff, v73
	s_delay_alu instid0(VALU_DEP_1)
	v_cmp_lt_i16_e64 s13, 0x7f, v74
	s_cbranch_vccnz .LBB6_1390
; %bb.1381:                             ;   in Loop: Header=BB6_394 Depth=4
	s_mov_b32 s36, 0
                                        ; implicit-def: $sgpr37
	s_delay_alu instid0(VALU_DEP_1) | instskip(NEXT) | instid1(SALU_CYCLE_1)
	s_and_saveexec_b32 vcc_lo, s13
	s_xor_b32 s13, exec_lo, vcc_lo
	s_cbranch_execnz .LBB6_2792
; %bb.1382:                             ;   in Loop: Header=BB6_394 Depth=4
	s_or_saveexec_b32 s13, s13
	v_mov_b32_e32 v75, s37
	s_xor_b32 exec_lo, exec_lo, s13
	s_cbranch_execnz .LBB6_2795
.LBB6_1383:                             ;   in Loop: Header=BB6_394 Depth=4
	s_or_b32 exec_lo, exec_lo, s13
	s_and_saveexec_b32 s13, s36
	s_cbranch_execz .LBB6_1385
.LBB6_1384:                             ;   in Loop: Header=BB6_394 Depth=4
	v_bfe_u32 v75, v20, 16, 3
	v_bfe_u32 v78, v20, 19, 4
	v_lshlrev_b32_e32 v79, 24, v73
	s_delay_alu instid0(VALU_DEP_3) | instskip(NEXT) | instid1(VALU_DEP_3)
	v_clz_i32_u32_e32 v76, v75
	v_cmp_eq_u32_e32 vcc_lo, 0, v78
	s_delay_alu instid0(VALU_DEP_2) | instskip(NEXT) | instid1(VALU_DEP_1)
	v_min_u32_e32 v76, 32, v76
	v_subrev_nc_u32_e32 v77, 28, v76
	v_sub_nc_u32_e32 v76, 29, v76
	s_delay_alu instid0(VALU_DEP_1) | instskip(NEXT) | instid1(VALU_DEP_1)
	v_dual_cndmask_b32 v76, v78, v76 :: v_dual_lshlrev_b32 v77, v77, v73
	v_and_b32_e32 v77, 7, v77
	s_delay_alu instid0(VALU_DEP_2) | instskip(NEXT) | instid1(VALU_DEP_2)
	v_lshl_add_u32 v76, v76, 23, 0x3b800000
	v_cndmask_b32_e32 v75, v75, v77, vcc_lo
	v_and_b32_e32 v77, 0x80000000, v79
	s_delay_alu instid0(VALU_DEP_2) | instskip(NEXT) | instid1(VALU_DEP_1)
	v_lshlrev_b32_e32 v75, 20, v75
	v_or3_b32 v75, v77, v76, v75
.LBB6_1385:                             ;   in Loop: Header=BB6_394 Depth=4
	s_or_b32 exec_lo, exec_lo, s13
	v_and_b32_e32 v77, 0xff, v72
	s_mov_b32 s13, 0
	s_mov_b32 s37, exec_lo
                                        ; implicit-def: $sgpr36
	s_delay_alu instid0(VALU_DEP_1)
	v_cmpx_lt_i16_e32 0x7f, v77
	s_xor_b32 s37, exec_lo, s37
	s_cbranch_execnz .LBB6_2796
; %bb.1386:                             ;   in Loop: Header=BB6_394 Depth=4
	s_or_saveexec_b32 s37, s37
	v_mov_b32_e32 v76, s36
	s_xor_b32 exec_lo, exec_lo, s37
	s_cbranch_execnz .LBB6_2799
.LBB6_1387:                             ;   in Loop: Header=BB6_394 Depth=4
	s_or_b32 exec_lo, exec_lo, s37
	s_and_saveexec_b32 s36, s13
	s_cbranch_execz .LBB6_1389
.LBB6_1388:                             ;   in Loop: Header=BB6_394 Depth=4
	v_bfe_u32 v76, v16, 16, 3
	v_bfe_u32 v79, v16, 19, 4
	v_lshlrev_b32_e32 v88, 24, v72
	s_delay_alu instid0(VALU_DEP_3) | instskip(NEXT) | instid1(VALU_DEP_3)
	v_clz_i32_u32_e32 v77, v76
	v_cmp_eq_u32_e32 vcc_lo, 0, v79
	s_delay_alu instid0(VALU_DEP_2) | instskip(NEXT) | instid1(VALU_DEP_1)
	v_min_u32_e32 v77, 32, v77
	v_subrev_nc_u32_e32 v78, 28, v77
	v_sub_nc_u32_e32 v77, 29, v77
	s_delay_alu instid0(VALU_DEP_1) | instskip(NEXT) | instid1(VALU_DEP_1)
	v_dual_cndmask_b32 v77, v79, v77 :: v_dual_lshlrev_b32 v78, v78, v72
	v_and_b32_e32 v78, 7, v78
	s_delay_alu instid0(VALU_DEP_2) | instskip(NEXT) | instid1(VALU_DEP_2)
	v_lshl_add_u32 v77, v77, 23, 0x3b800000
	v_cndmask_b32_e32 v76, v76, v78, vcc_lo
	v_and_b32_e32 v78, 0x80000000, v88
	s_delay_alu instid0(VALU_DEP_2) | instskip(NEXT) | instid1(VALU_DEP_1)
	v_lshlrev_b32_e32 v76, 20, v76
	v_or3_b32 v76, v78, v77, v76
.LBB6_1389:                             ;   in Loop: Header=BB6_394 Depth=4
	s_or_b32 exec_lo, exec_lo, s36
	s_delay_alu instid0(VALU_DEP_1) | instskip(SKIP_1) | instid1(VALU_DEP_1)
	v_dual_max_f32 v76, v76, v76 :: v_dual_max_f32 v75, v75, v75
	s_mov_b32 s13, 0
	v_max_f32_e32 v75, v75, v76
	s_branch .LBB6_1391
.LBB6_1390:                             ;   in Loop: Header=BB6_394 Depth=4
	s_mov_b32 s13, -1
                                        ; implicit-def: $vgpr75
.LBB6_1391:                             ;   in Loop: Header=BB6_394 Depth=4
	s_delay_alu instid0(SALU_CYCLE_1)
	s_and_b32 vcc_lo, exec_lo, s13
	s_cbranch_vccz .LBB6_1401
; %bb.1392:                             ;   in Loop: Header=BB6_394 Depth=4
	s_mov_b32 s13, 0
	s_mov_b32 s37, exec_lo
                                        ; implicit-def: $sgpr36
	v_cmpx_lt_i16_e32 0x7f, v74
	s_xor_b32 s37, exec_lo, s37
	s_cbranch_execnz .LBB6_2800
; %bb.1393:                             ;   in Loop: Header=BB6_394 Depth=4
	s_or_saveexec_b32 s37, s37
	v_mov_b32_e32 v75, s36
	s_xor_b32 exec_lo, exec_lo, s37
	s_cbranch_execnz .LBB6_2803
.LBB6_1394:                             ;   in Loop: Header=BB6_394 Depth=4
	s_or_b32 exec_lo, exec_lo, s37
	s_and_saveexec_b32 s36, s13
	s_cbranch_execz .LBB6_1396
.LBB6_1395:                             ;   in Loop: Header=BB6_394 Depth=4
	v_bfe_u32 v74, v20, 16, 3
	v_bfe_u32 v77, v20, 19, 4
	s_delay_alu instid0(VALU_DEP_2) | instskip(NEXT) | instid1(VALU_DEP_2)
	v_clz_i32_u32_e32 v75, v74
	v_cmp_eq_u32_e32 vcc_lo, 0, v77
	s_delay_alu instid0(VALU_DEP_2) | instskip(NEXT) | instid1(VALU_DEP_1)
	v_min_u32_e32 v75, 32, v75
	v_subrev_nc_u32_e32 v76, 28, v75
	v_sub_nc_u32_e32 v75, 29, v75
	s_delay_alu instid0(VALU_DEP_1) | instskip(NEXT) | instid1(VALU_DEP_1)
	v_dual_cndmask_b32 v75, v77, v75 :: v_dual_lshlrev_b32 v76, v76, v73
	v_and_b32_e32 v76, 7, v76
	v_lshlrev_b32_e32 v73, 24, v73
	s_delay_alu instid0(VALU_DEP_3) | instskip(NEXT) | instid1(VALU_DEP_2)
	v_lshl_add_u32 v75, v75, 23, 0x3b800000
	v_dual_cndmask_b32 v74, v74, v76 :: v_dual_and_b32 v73, 0x80000000, v73
	s_delay_alu instid0(VALU_DEP_1) | instskip(NEXT) | instid1(VALU_DEP_1)
	v_lshlrev_b32_e32 v74, 20, v74
	v_or3_b32 v75, v73, v75, v74
.LBB6_1396:                             ;   in Loop: Header=BB6_394 Depth=4
	s_or_b32 exec_lo, exec_lo, s36
	v_and_b32_e32 v74, 0xff, v72
	s_mov_b32 s13, 0
	s_mov_b32 s37, exec_lo
                                        ; implicit-def: $sgpr36
	s_delay_alu instid0(VALU_DEP_1)
	v_cmpx_lt_i16_e32 0x7f, v74
	s_xor_b32 s37, exec_lo, s37
	s_cbranch_execnz .LBB6_2804
; %bb.1397:                             ;   in Loop: Header=BB6_394 Depth=4
	s_or_saveexec_b32 s37, s37
	v_mov_b32_e32 v73, s36
	s_xor_b32 exec_lo, exec_lo, s37
	s_cbranch_execnz .LBB6_2807
.LBB6_1398:                             ;   in Loop: Header=BB6_394 Depth=4
	s_or_b32 exec_lo, exec_lo, s37
	s_and_saveexec_b32 s36, s13
	s_cbranch_execz .LBB6_1400
.LBB6_1399:                             ;   in Loop: Header=BB6_394 Depth=4
	v_bfe_u32 v73, v16, 16, 3
	v_bfe_u32 v77, v16, 19, 4
	s_delay_alu instid0(VALU_DEP_2) | instskip(NEXT) | instid1(VALU_DEP_2)
	v_clz_i32_u32_e32 v74, v73
	v_cmp_eq_u32_e32 vcc_lo, 0, v77
	s_delay_alu instid0(VALU_DEP_2) | instskip(NEXT) | instid1(VALU_DEP_1)
	v_min_u32_e32 v74, 32, v74
	v_subrev_nc_u32_e32 v76, 28, v74
	v_sub_nc_u32_e32 v74, 29, v74
	s_delay_alu instid0(VALU_DEP_2) | instskip(SKIP_1) | instid1(VALU_DEP_2)
	v_lshlrev_b32_e32 v76, v76, v72
	v_lshlrev_b32_e32 v72, 24, v72
	v_and_b32_e32 v76, 7, v76
	s_delay_alu instid0(VALU_DEP_2) | instskip(NEXT) | instid1(VALU_DEP_2)
	v_and_b32_e32 v72, 0x80000000, v72
	v_cndmask_b32_e32 v73, v73, v76, vcc_lo
	s_delay_alu instid0(VALU_DEP_1) | instskip(NEXT) | instid1(VALU_DEP_1)
	v_dual_cndmask_b32 v74, v77, v74 :: v_dual_lshlrev_b32 v73, 20, v73
	v_lshl_add_u32 v74, v74, 23, 0x3b800000
	s_delay_alu instid0(VALU_DEP_1)
	v_or3_b32 v73, v72, v74, v73
.LBB6_1400:                             ;   in Loop: Header=BB6_394 Depth=4
	s_or_b32 exec_lo, exec_lo, s36
	s_delay_alu instid0(VALU_DEP_1) | instskip(NEXT) | instid1(VALU_DEP_1)
	v_dual_max_f32 v72, v73, v73 :: v_dual_max_f32 v73, v75, v75
	v_min_f32_e32 v75, v73, v72
.LBB6_1401:                             ;   in Loop: Header=BB6_394 Depth=4
	s_delay_alu instid0(VALU_DEP_1) | instskip(NEXT) | instid1(VALU_DEP_1)
	v_and_b32_e32 v72, 0x7f800000, v75
	v_cmp_ne_u32_e32 vcc_lo, 0x7f800000, v72
	v_mov_b32_e32 v72, 0x80
	s_and_saveexec_b32 s36, vcc_lo
	s_cbranch_execz .LBB6_1409
; %bb.1402:                             ;   in Loop: Header=BB6_394 Depth=4
	v_mov_b32_e32 v72, 0
	s_mov_b32 s37, exec_lo
	v_cmpx_ne_u32_e32 0, v75
	s_cbranch_execz .LBB6_1408
; %bb.1403:                             ;   in Loop: Header=BB6_394 Depth=4
	v_bfe_u32 v72, v75, 23, 8
	s_delay_alu instid0(VALU_DEP_1) | instskip(SKIP_1) | instid1(VALU_DEP_2)
	v_sub_nc_u32_e32 v74, 0x78, v72
	v_cmp_gt_u32_e32 vcc_lo, 0x79, v72
	v_dual_cndmask_b32 v74, 0, v74 :: v_dual_and_b32 v73, 0x7fffff, v75
	s_delay_alu instid0(VALU_DEP_1) | instskip(SKIP_2) | instid1(VALU_DEP_4)
	v_or_b32_e32 v76, 0x800000, v73
	v_cmp_eq_u32_e32 vcc_lo, 0, v72
	v_add_nc_u32_e32 v72, 0xffffff89, v72
	v_cndmask_b32_e64 v74, v74, 0x77, vcc_lo
	s_delay_alu instid0(VALU_DEP_4) | instskip(NEXT) | instid1(VALU_DEP_3)
	v_cndmask_b32_e32 v73, v76, v73, vcc_lo
	v_cndmask_b32_e64 v72, v72, 0xffffff8a, vcc_lo
	s_delay_alu instid0(VALU_DEP_3) | instskip(NEXT) | instid1(VALU_DEP_3)
	v_lshl_add_u32 v76, 0x100000, v74, -1
	v_lshrrev_b32_e32 v77, v74, v73
	v_lshlrev_b32_e64 v79, v74, 0x80000
	s_delay_alu instid0(VALU_DEP_4) | instskip(NEXT) | instid1(VALU_DEP_4)
	v_add_nc_u32_e32 v74, v74, v72
	v_and_b32_e32 v73, v76, v73
	s_delay_alu instid0(VALU_DEP_4) | instskip(NEXT) | instid1(VALU_DEP_2)
	v_bfe_u32 v78, v77, 20, 1
	v_cmp_eq_u32_e64 s13, v73, v79
	s_delay_alu instid0(VALU_DEP_2) | instskip(NEXT) | instid1(VALU_DEP_1)
	v_add_nc_u32_e32 v76, -1, v78
	v_cndmask_b32_e64 v73, 0, v76, s13
	v_lshrrev_b32_e32 v76, 23, v77
	s_mov_b32 s13, exec_lo
	s_delay_alu instid0(VALU_DEP_2) | instskip(NEXT) | instid1(VALU_DEP_2)
	v_add_nc_u32_e32 v73, v73, v77
	v_xor_b32_e32 v76, 1, v76
	s_delay_alu instid0(VALU_DEP_2) | instskip(NEXT) | instid1(VALU_DEP_1)
	v_and_b32_e32 v72, 0xfffff, v73
	v_add_nc_u32_e32 v73, v72, v77
                                        ; implicit-def: $vgpr72
	s_delay_alu instid0(VALU_DEP_3)
	v_cmpx_ne_u32_e64 v74, v76
	s_xor_b32 s13, exec_lo, s13
; %bb.1404:                             ;   in Loop: Header=BB6_394 Depth=4
	s_delay_alu instid0(VALU_DEP_2) | instskip(SKIP_2) | instid1(VALU_DEP_2)
	v_cmp_lt_u32_e32 vcc_lo, 0xffffff, v73
	v_sub_nc_u32_e32 v72, v74, v76
	v_cndmask_b32_e64 v74, 0, 1, vcc_lo
	v_add_co_ci_u32_e32 v72, vcc_lo, 0, v72, vcc_lo
	s_delay_alu instid0(VALU_DEP_2)
	v_lshrrev_b32_e32 v73, v74, v73
; %bb.1405:                             ;   in Loop: Header=BB6_394 Depth=4
	s_and_not1_saveexec_b32 s13, s13
; %bb.1406:                             ;   in Loop: Header=BB6_394 Depth=4
	s_delay_alu instid0(VALU_DEP_1)
	v_bfe_u32 v72, v73, 23, 1
; %bb.1407:                             ;   in Loop: Header=BB6_394 Depth=4
	s_or_b32 exec_lo, exec_lo, s13
	v_lshrrev_b32_e32 v73, 20, v73
	s_delay_alu instid0(VALU_DEP_2) | instskip(SKIP_2) | instid1(VALU_DEP_2)
	v_cmp_gt_i32_e32 vcc_lo, 16, v72
	v_lshrrev_b32_e32 v74, 24, v75
	v_min_i32_e32 v75, 15, v72
	v_dual_cndmask_b32 v73, 7, v73 :: v_dual_and_b32 v74, 0x80, v74
	s_delay_alu instid0(VALU_DEP_1) | instskip(SKIP_1) | instid1(VALU_DEP_2)
	v_or_b32_e32 v72, v72, v73
	v_and_b32_e32 v76, 7, v73
	v_cmp_ne_u32_e32 vcc_lo, 0, v72
	v_lshlrev_b32_e32 v75, 3, v75
	s_delay_alu instid0(VALU_DEP_1) | instskip(NEXT) | instid1(VALU_DEP_1)
	v_or3_b32 v73, v75, v74, v76
	v_cndmask_b32_e32 v72, 0, v73, vcc_lo
.LBB6_1408:                             ;   in Loop: Header=BB6_394 Depth=4
	s_or_b32 exec_lo, exec_lo, s37
.LBB6_1409:                             ;   in Loop: Header=BB6_394 Depth=4
	s_delay_alu instid0(SALU_CYCLE_1) | instskip(SKIP_3) | instid1(VALU_DEP_2)
	s_or_b32 exec_lo, exec_lo, s36
	v_lshrrev_b32_e32 v74, 24, v20
	v_lshrrev_b32_e32 v73, 24, v16
	s_and_not1_b32 vcc_lo, exec_lo, s35
	v_cmp_lt_i16_e64 s13, 0x7f, v74
	s_cbranch_vccnz .LBB6_1419
; %bb.1410:                             ;   in Loop: Header=BB6_394 Depth=4
	s_mov_b32 s36, 0
                                        ; implicit-def: $sgpr37
	s_delay_alu instid0(VALU_DEP_1) | instskip(NEXT) | instid1(SALU_CYCLE_1)
	s_and_saveexec_b32 vcc_lo, s13
	s_xor_b32 s13, exec_lo, vcc_lo
	s_cbranch_execnz .LBB6_2808
; %bb.1411:                             ;   in Loop: Header=BB6_394 Depth=4
	s_or_saveexec_b32 s13, s13
	v_mov_b32_e32 v75, s37
	s_xor_b32 exec_lo, exec_lo, s13
	s_cbranch_execnz .LBB6_2811
.LBB6_1412:                             ;   in Loop: Header=BB6_394 Depth=4
	s_or_b32 exec_lo, exec_lo, s13
	s_and_saveexec_b32 s13, s36
	s_cbranch_execz .LBB6_1414
.LBB6_1413:                             ;   in Loop: Header=BB6_394 Depth=4
	v_bfe_u32 v75, v20, 24, 3
	v_bfe_u32 v78, v20, 27, 4
	s_delay_alu instid0(VALU_DEP_2) | instskip(NEXT) | instid1(VALU_DEP_2)
	v_clz_i32_u32_e32 v76, v75
	v_cmp_eq_u32_e32 vcc_lo, 0, v78
	s_delay_alu instid0(VALU_DEP_2) | instskip(NEXT) | instid1(VALU_DEP_1)
	v_min_u32_e32 v76, 32, v76
	v_subrev_nc_u32_e32 v77, 28, v76
	v_sub_nc_u32_e32 v76, 29, v76
	s_delay_alu instid0(VALU_DEP_1) | instskip(NEXT) | instid1(VALU_DEP_1)
	v_dual_cndmask_b32 v76, v78, v76 :: v_dual_lshlrev_b32 v77, v77, v74
	v_and_b32_e32 v77, 7, v77
	s_delay_alu instid0(VALU_DEP_2) | instskip(NEXT) | instid1(VALU_DEP_2)
	v_lshl_add_u32 v76, v76, 23, 0x3b800000
	v_cndmask_b32_e32 v75, v75, v77, vcc_lo
	v_and_b32_e32 v77, 0x80000000, v20
	s_delay_alu instid0(VALU_DEP_2) | instskip(NEXT) | instid1(VALU_DEP_1)
	v_lshlrev_b32_e32 v75, 20, v75
	v_or3_b32 v75, v77, v76, v75
.LBB6_1414:                             ;   in Loop: Header=BB6_394 Depth=4
	s_or_b32 exec_lo, exec_lo, s13
	s_mov_b32 s13, 0
	s_mov_b32 s37, exec_lo
                                        ; implicit-def: $sgpr36
	v_cmpx_lt_i16_e32 0x7f, v73
	s_xor_b32 s37, exec_lo, s37
	s_cbranch_execnz .LBB6_2812
; %bb.1415:                             ;   in Loop: Header=BB6_394 Depth=4
	s_or_saveexec_b32 s37, s37
	v_mov_b32_e32 v76, s36
	s_xor_b32 exec_lo, exec_lo, s37
	s_cbranch_execnz .LBB6_2815
.LBB6_1416:                             ;   in Loop: Header=BB6_394 Depth=4
	s_or_b32 exec_lo, exec_lo, s37
	s_and_saveexec_b32 s36, s13
	s_cbranch_execz .LBB6_1418
.LBB6_1417:                             ;   in Loop: Header=BB6_394 Depth=4
	v_bfe_u32 v76, v16, 24, 3
	v_bfe_u32 v79, v16, 27, 4
	s_delay_alu instid0(VALU_DEP_2) | instskip(NEXT) | instid1(VALU_DEP_2)
	v_clz_i32_u32_e32 v77, v76
	v_cmp_eq_u32_e32 vcc_lo, 0, v79
	s_delay_alu instid0(VALU_DEP_2) | instskip(NEXT) | instid1(VALU_DEP_1)
	v_min_u32_e32 v77, 32, v77
	v_subrev_nc_u32_e32 v78, 28, v77
	v_sub_nc_u32_e32 v77, 29, v77
	s_delay_alu instid0(VALU_DEP_2) | instskip(NEXT) | instid1(VALU_DEP_1)
	v_lshlrev_b32_e32 v78, v78, v73
	v_dual_cndmask_b32 v77, v79, v77 :: v_dual_and_b32 v78, 7, v78
	s_delay_alu instid0(VALU_DEP_1) | instskip(NEXT) | instid1(VALU_DEP_2)
	v_lshl_add_u32 v77, v77, 23, 0x3b800000
	v_cndmask_b32_e32 v76, v76, v78, vcc_lo
	v_and_b32_e32 v78, 0x80000000, v16
	s_delay_alu instid0(VALU_DEP_2) | instskip(NEXT) | instid1(VALU_DEP_1)
	v_lshlrev_b32_e32 v76, 20, v76
	v_or3_b32 v76, v78, v77, v76
.LBB6_1418:                             ;   in Loop: Header=BB6_394 Depth=4
	s_or_b32 exec_lo, exec_lo, s36
	s_delay_alu instid0(VALU_DEP_1) | instskip(SKIP_1) | instid1(VALU_DEP_1)
	v_dual_max_f32 v76, v76, v76 :: v_dual_max_f32 v75, v75, v75
	s_mov_b32 s13, 0
	v_max_f32_e32 v75, v75, v76
	s_branch .LBB6_1420
.LBB6_1419:                             ;   in Loop: Header=BB6_394 Depth=4
	s_mov_b32 s13, -1
                                        ; implicit-def: $vgpr75
.LBB6_1420:                             ;   in Loop: Header=BB6_394 Depth=4
	s_delay_alu instid0(SALU_CYCLE_1)
	s_and_b32 vcc_lo, exec_lo, s13
	s_cbranch_vccz .LBB6_1430
; %bb.1421:                             ;   in Loop: Header=BB6_394 Depth=4
	s_mov_b32 s13, 0
	s_mov_b32 s37, exec_lo
                                        ; implicit-def: $sgpr36
	v_cmpx_lt_i16_e32 0x7f, v74
	s_xor_b32 s37, exec_lo, s37
	s_cbranch_execnz .LBB6_2816
; %bb.1422:                             ;   in Loop: Header=BB6_394 Depth=4
	s_or_saveexec_b32 s37, s37
	v_mov_b32_e32 v75, s36
	s_xor_b32 exec_lo, exec_lo, s37
	s_cbranch_execnz .LBB6_2819
.LBB6_1423:                             ;   in Loop: Header=BB6_394 Depth=4
	s_or_b32 exec_lo, exec_lo, s37
	s_and_saveexec_b32 s36, s13
	s_cbranch_execz .LBB6_1425
.LBB6_1424:                             ;   in Loop: Header=BB6_394 Depth=4
	v_bfe_u32 v75, v20, 24, 3
	s_delay_alu instid0(VALU_DEP_1) | instskip(NEXT) | instid1(VALU_DEP_1)
	v_clz_i32_u32_e32 v76, v75
	v_min_u32_e32 v76, 32, v76
	s_delay_alu instid0(VALU_DEP_1) | instskip(SKIP_1) | instid1(VALU_DEP_2)
	v_subrev_nc_u32_e32 v77, 28, v76
	v_sub_nc_u32_e32 v76, 29, v76
	v_lshlrev_b32_e32 v74, v77, v74
	v_bfe_u32 v77, v20, 27, 4
	v_and_b32_e32 v20, 0x80000000, v20
	s_delay_alu instid0(VALU_DEP_3) | instskip(NEXT) | instid1(VALU_DEP_3)
	v_and_b32_e32 v74, 7, v74
	v_cmp_eq_u32_e32 vcc_lo, 0, v77
	v_cndmask_b32_e32 v76, v77, v76, vcc_lo
	s_delay_alu instid0(VALU_DEP_3) | instskip(NEXT) | instid1(VALU_DEP_2)
	v_cndmask_b32_e32 v74, v75, v74, vcc_lo
	v_lshl_add_u32 v75, v76, 23, 0x3b800000
	s_delay_alu instid0(VALU_DEP_2) | instskip(NEXT) | instid1(VALU_DEP_1)
	v_lshlrev_b32_e32 v74, 20, v74
	v_or3_b32 v75, v20, v75, v74
.LBB6_1425:                             ;   in Loop: Header=BB6_394 Depth=4
	s_or_b32 exec_lo, exec_lo, s36
	s_mov_b32 s13, 0
	s_mov_b32 s37, exec_lo
                                        ; implicit-def: $sgpr36
	v_cmpx_lt_i16_e32 0x7f, v73
	s_xor_b32 s37, exec_lo, s37
	s_cbranch_execnz .LBB6_2820
; %bb.1426:                             ;   in Loop: Header=BB6_394 Depth=4
	s_or_saveexec_b32 s37, s37
	v_mov_b32_e32 v20, s36
	s_xor_b32 exec_lo, exec_lo, s37
	s_cbranch_execnz .LBB6_2823
.LBB6_1427:                             ;   in Loop: Header=BB6_394 Depth=4
	s_or_b32 exec_lo, exec_lo, s37
	s_and_saveexec_b32 s36, s13
	s_cbranch_execz .LBB6_1429
.LBB6_1428:                             ;   in Loop: Header=BB6_394 Depth=4
	v_bfe_u32 v20, v16, 24, 3
	s_delay_alu instid0(VALU_DEP_1) | instskip(NEXT) | instid1(VALU_DEP_1)
	v_clz_i32_u32_e32 v74, v20
	v_min_u32_e32 v74, 32, v74
	s_delay_alu instid0(VALU_DEP_1) | instskip(SKIP_1) | instid1(VALU_DEP_2)
	v_subrev_nc_u32_e32 v76, 28, v74
	v_sub_nc_u32_e32 v74, 29, v74
	v_lshlrev_b32_e32 v73, v76, v73
	v_bfe_u32 v76, v16, 27, 4
	v_and_b32_e32 v16, 0x80000000, v16
	s_delay_alu instid0(VALU_DEP_2) | instskip(NEXT) | instid1(VALU_DEP_4)
	v_cmp_eq_u32_e32 vcc_lo, 0, v76
	v_dual_cndmask_b32 v74, v76, v74 :: v_dual_and_b32 v73, 7, v73
	s_delay_alu instid0(VALU_DEP_1) | instskip(NEXT) | instid1(VALU_DEP_2)
	v_cndmask_b32_e32 v20, v20, v73, vcc_lo
	v_lshl_add_u32 v73, v74, 23, 0x3b800000
	s_delay_alu instid0(VALU_DEP_2) | instskip(NEXT) | instid1(VALU_DEP_1)
	v_lshlrev_b32_e32 v20, 20, v20
	v_or3_b32 v20, v16, v73, v20
.LBB6_1429:                             ;   in Loop: Header=BB6_394 Depth=4
	s_or_b32 exec_lo, exec_lo, s36
	s_delay_alu instid0(VALU_DEP_1) | instskip(SKIP_1) | instid1(VALU_DEP_1)
	v_max_f32_e32 v16, v20, v20
	v_max_f32_e32 v20, v75, v75
	v_min_f32_e32 v75, v20, v16
.LBB6_1430:                             ;   in Loop: Header=BB6_394 Depth=4
	s_delay_alu instid0(VALU_DEP_1) | instskip(NEXT) | instid1(VALU_DEP_1)
	v_and_b32_e32 v16, 0x7f800000, v75
	v_cmp_ne_u32_e32 vcc_lo, 0x7f800000, v16
	v_mov_b32_e32 v16, 0x80
	s_and_saveexec_b32 s36, vcc_lo
	s_cbranch_execz .LBB6_1438
; %bb.1431:                             ;   in Loop: Header=BB6_394 Depth=4
	v_mov_b32_e32 v16, 0
	s_mov_b32 s37, exec_lo
	v_cmpx_ne_u32_e32 0, v75
	s_cbranch_execz .LBB6_1437
; %bb.1432:                             ;   in Loop: Header=BB6_394 Depth=4
	v_bfe_u32 v16, v75, 23, 8
	s_delay_alu instid0(VALU_DEP_1) | instskip(SKIP_1) | instid1(VALU_DEP_2)
	v_sub_nc_u32_e32 v73, 0x78, v16
	v_cmp_gt_u32_e32 vcc_lo, 0x79, v16
	v_dual_cndmask_b32 v73, 0, v73 :: v_dual_and_b32 v20, 0x7fffff, v75
	s_delay_alu instid0(VALU_DEP_1) | instskip(SKIP_2) | instid1(VALU_DEP_4)
	v_or_b32_e32 v74, 0x800000, v20
	v_cmp_eq_u32_e32 vcc_lo, 0, v16
	v_add_nc_u32_e32 v16, 0xffffff89, v16
	v_cndmask_b32_e64 v73, v73, 0x77, vcc_lo
	s_delay_alu instid0(VALU_DEP_4) | instskip(NEXT) | instid1(VALU_DEP_3)
	v_cndmask_b32_e32 v20, v74, v20, vcc_lo
	v_cndmask_b32_e64 v16, v16, 0xffffff8a, vcc_lo
	s_delay_alu instid0(VALU_DEP_3) | instskip(NEXT) | instid1(VALU_DEP_3)
	v_lshl_add_u32 v74, 0x100000, v73, -1
	v_lshrrev_b32_e32 v76, v73, v20
	v_lshlrev_b32_e64 v78, v73, 0x80000
	s_delay_alu instid0(VALU_DEP_4) | instskip(NEXT) | instid1(VALU_DEP_4)
	v_add_nc_u32_e32 v73, v73, v16
	v_and_b32_e32 v20, v74, v20
	s_delay_alu instid0(VALU_DEP_4) | instskip(NEXT) | instid1(VALU_DEP_2)
	v_bfe_u32 v77, v76, 20, 1
	v_cmp_eq_u32_e64 s13, v20, v78
	s_delay_alu instid0(VALU_DEP_2) | instskip(NEXT) | instid1(VALU_DEP_1)
	v_add_nc_u32_e32 v74, -1, v77
	v_cndmask_b32_e64 v20, 0, v74, s13
	v_lshrrev_b32_e32 v74, 23, v76
	s_mov_b32 s13, exec_lo
	s_delay_alu instid0(VALU_DEP_2) | instskip(NEXT) | instid1(VALU_DEP_2)
	v_add_nc_u32_e32 v20, v20, v76
	v_xor_b32_e32 v74, 1, v74
	s_delay_alu instid0(VALU_DEP_2) | instskip(NEXT) | instid1(VALU_DEP_1)
	v_and_b32_e32 v16, 0xfffff, v20
	v_add_nc_u32_e32 v20, v16, v76
                                        ; implicit-def: $vgpr16
	s_delay_alu instid0(VALU_DEP_3)
	v_cmpx_ne_u32_e64 v73, v74
	s_xor_b32 s13, exec_lo, s13
; %bb.1433:                             ;   in Loop: Header=BB6_394 Depth=4
	s_delay_alu instid0(VALU_DEP_2) | instskip(SKIP_2) | instid1(VALU_DEP_2)
	v_cmp_lt_u32_e32 vcc_lo, 0xffffff, v20
	v_sub_nc_u32_e32 v16, v73, v74
	v_cndmask_b32_e64 v73, 0, 1, vcc_lo
	v_add_co_ci_u32_e32 v16, vcc_lo, 0, v16, vcc_lo
	s_delay_alu instid0(VALU_DEP_2)
	v_lshrrev_b32_e32 v20, v73, v20
; %bb.1434:                             ;   in Loop: Header=BB6_394 Depth=4
	s_and_not1_saveexec_b32 s13, s13
; %bb.1435:                             ;   in Loop: Header=BB6_394 Depth=4
	s_delay_alu instid0(VALU_DEP_1)
	v_bfe_u32 v16, v20, 23, 1
; %bb.1436:                             ;   in Loop: Header=BB6_394 Depth=4
	s_or_b32 exec_lo, exec_lo, s13
	v_lshrrev_b32_e32 v20, 20, v20
	s_delay_alu instid0(VALU_DEP_2) | instskip(SKIP_2) | instid1(VALU_DEP_2)
	v_cmp_gt_i32_e32 vcc_lo, 16, v16
	v_lshrrev_b32_e32 v73, 24, v75
	v_min_i32_e32 v74, 15, v16
	v_dual_cndmask_b32 v20, 7, v20 :: v_dual_and_b32 v73, 0x80, v73
	s_delay_alu instid0(VALU_DEP_2) | instskip(NEXT) | instid1(VALU_DEP_2)
	v_lshlrev_b32_e32 v74, 3, v74
	v_and_b32_e32 v75, 7, v20
	v_or_b32_e32 v16, v16, v20
	s_delay_alu instid0(VALU_DEP_2) | instskip(NEXT) | instid1(VALU_DEP_2)
	v_or3_b32 v20, v74, v73, v75
	v_cmp_ne_u32_e32 vcc_lo, 0, v16
	s_delay_alu instid0(VALU_DEP_2)
	v_cndmask_b32_e32 v16, 0, v20, vcc_lo
.LBB6_1437:                             ;   in Loop: Header=BB6_394 Depth=4
	s_or_b32 exec_lo, exec_lo, s37
.LBB6_1438:                             ;   in Loop: Header=BB6_394 Depth=4
	s_delay_alu instid0(SALU_CYCLE_1) | instskip(SKIP_2) | instid1(VALU_DEP_1)
	s_or_b32 exec_lo, exec_lo, s36
	v_and_b32_e32 v20, 0xff, v21
	s_and_not1_b32 vcc_lo, exec_lo, s35
	v_cmp_lt_i16_e64 s13, 0x7f, v20
	s_cbranch_vccnz .LBB6_1448
; %bb.1439:                             ;   in Loop: Header=BB6_394 Depth=4
	s_mov_b32 s36, 0
                                        ; implicit-def: $sgpr37
	s_delay_alu instid0(VALU_DEP_1) | instskip(NEXT) | instid1(SALU_CYCLE_1)
	s_and_saveexec_b32 vcc_lo, s13
	s_xor_b32 s13, exec_lo, vcc_lo
	s_cbranch_execnz .LBB6_2824
; %bb.1440:                             ;   in Loop: Header=BB6_394 Depth=4
	s_or_saveexec_b32 s13, s13
	v_mov_b32_e32 v73, s37
	s_xor_b32 exec_lo, exec_lo, s13
	s_cbranch_execnz .LBB6_2827
.LBB6_1441:                             ;   in Loop: Header=BB6_394 Depth=4
	s_or_b32 exec_lo, exec_lo, s13
	s_and_saveexec_b32 s13, s36
	s_cbranch_execz .LBB6_1443
.LBB6_1442:                             ;   in Loop: Header=BB6_394 Depth=4
	v_bfe_u32 v76, v21, 3, 4
	v_lshlrev_b32_e32 v77, 24, v21
	s_delay_alu instid0(VALU_DEP_2) | instskip(SKIP_1) | instid1(VALU_DEP_1)
	v_cmp_eq_u32_e32 vcc_lo, 0, v76
	v_and_b32_e32 v73, 7, v21
	v_clz_i32_u32_e32 v74, v73
	s_delay_alu instid0(VALU_DEP_1) | instskip(NEXT) | instid1(VALU_DEP_1)
	v_min_u32_e32 v74, 32, v74
	v_subrev_nc_u32_e32 v75, 28, v74
	v_sub_nc_u32_e32 v74, 29, v74
	s_delay_alu instid0(VALU_DEP_1) | instskip(NEXT) | instid1(VALU_DEP_1)
	v_dual_cndmask_b32 v74, v76, v74 :: v_dual_lshlrev_b32 v75, v75, v21
	v_and_b32_e32 v75, 7, v75
	s_delay_alu instid0(VALU_DEP_2) | instskip(NEXT) | instid1(VALU_DEP_2)
	v_lshl_add_u32 v74, v74, 23, 0x3b800000
	v_cndmask_b32_e32 v73, v73, v75, vcc_lo
	v_and_b32_e32 v75, 0x80000000, v77
	s_delay_alu instid0(VALU_DEP_2) | instskip(NEXT) | instid1(VALU_DEP_1)
	v_lshlrev_b32_e32 v73, 20, v73
	v_or3_b32 v73, v75, v74, v73
.LBB6_1443:                             ;   in Loop: Header=BB6_394 Depth=4
	s_or_b32 exec_lo, exec_lo, s13
	v_and_b32_e32 v75, 0xff, v17
	s_mov_b32 s13, 0
	s_mov_b32 s37, exec_lo
                                        ; implicit-def: $sgpr36
	s_delay_alu instid0(VALU_DEP_1)
	v_cmpx_lt_i16_e32 0x7f, v75
	s_xor_b32 s37, exec_lo, s37
	s_cbranch_execnz .LBB6_2828
; %bb.1444:                             ;   in Loop: Header=BB6_394 Depth=4
	s_or_saveexec_b32 s37, s37
	v_mov_b32_e32 v74, s36
	s_xor_b32 exec_lo, exec_lo, s37
	s_cbranch_execnz .LBB6_2831
.LBB6_1445:                             ;   in Loop: Header=BB6_394 Depth=4
	s_or_b32 exec_lo, exec_lo, s37
	s_and_saveexec_b32 s36, s13
	s_cbranch_execz .LBB6_1447
.LBB6_1446:                             ;   in Loop: Header=BB6_394 Depth=4
	v_bfe_u32 v77, v17, 3, 4
	v_lshlrev_b32_e32 v78, 24, v17
	s_delay_alu instid0(VALU_DEP_2) | instskip(SKIP_1) | instid1(VALU_DEP_1)
	v_cmp_eq_u32_e32 vcc_lo, 0, v77
	v_and_b32_e32 v74, 7, v17
	v_clz_i32_u32_e32 v75, v74
	s_delay_alu instid0(VALU_DEP_1) | instskip(NEXT) | instid1(VALU_DEP_1)
	v_min_u32_e32 v75, 32, v75
	v_subrev_nc_u32_e32 v76, 28, v75
	v_sub_nc_u32_e32 v75, 29, v75
	s_delay_alu instid0(VALU_DEP_1) | instskip(NEXT) | instid1(VALU_DEP_1)
	v_dual_cndmask_b32 v75, v77, v75 :: v_dual_lshlrev_b32 v76, v76, v17
	v_and_b32_e32 v76, 7, v76
	s_delay_alu instid0(VALU_DEP_2) | instskip(NEXT) | instid1(VALU_DEP_2)
	v_lshl_add_u32 v75, v75, 23, 0x3b800000
	v_cndmask_b32_e32 v74, v74, v76, vcc_lo
	v_and_b32_e32 v76, 0x80000000, v78
	s_delay_alu instid0(VALU_DEP_2) | instskip(NEXT) | instid1(VALU_DEP_1)
	v_lshlrev_b32_e32 v74, 20, v74
	v_or3_b32 v74, v76, v75, v74
.LBB6_1447:                             ;   in Loop: Header=BB6_394 Depth=4
	s_or_b32 exec_lo, exec_lo, s36
	s_delay_alu instid0(VALU_DEP_1) | instskip(SKIP_1) | instid1(VALU_DEP_1)
	v_dual_max_f32 v74, v74, v74 :: v_dual_max_f32 v73, v73, v73
	s_mov_b32 s13, 0
	v_max_f32_e32 v73, v73, v74
	s_branch .LBB6_1449
.LBB6_1448:                             ;   in Loop: Header=BB6_394 Depth=4
	s_mov_b32 s13, -1
                                        ; implicit-def: $vgpr73
.LBB6_1449:                             ;   in Loop: Header=BB6_394 Depth=4
	s_delay_alu instid0(SALU_CYCLE_1)
	s_and_b32 vcc_lo, exec_lo, s13
	s_cbranch_vccz .LBB6_1459
; %bb.1450:                             ;   in Loop: Header=BB6_394 Depth=4
	s_mov_b32 s13, 0
	s_mov_b32 s37, exec_lo
                                        ; implicit-def: $sgpr36
	v_cmpx_lt_i16_e32 0x7f, v20
	s_xor_b32 s37, exec_lo, s37
	s_cbranch_execnz .LBB6_2832
; %bb.1451:                             ;   in Loop: Header=BB6_394 Depth=4
	s_or_saveexec_b32 s37, s37
	v_mov_b32_e32 v73, s36
	s_xor_b32 exec_lo, exec_lo, s37
	s_cbranch_execnz .LBB6_2835
.LBB6_1452:                             ;   in Loop: Header=BB6_394 Depth=4
	s_or_b32 exec_lo, exec_lo, s37
	s_and_saveexec_b32 s36, s13
	s_cbranch_execz .LBB6_1454
.LBB6_1453:                             ;   in Loop: Header=BB6_394 Depth=4
	v_and_b32_e32 v20, 7, v21
	v_bfe_u32 v75, v21, 3, 4
	v_lshlrev_b32_e32 v76, 24, v21
	s_delay_alu instid0(VALU_DEP_3) | instskip(NEXT) | instid1(VALU_DEP_3)
	v_clz_i32_u32_e32 v73, v20
	v_cmp_eq_u32_e32 vcc_lo, 0, v75
	s_delay_alu instid0(VALU_DEP_2) | instskip(NEXT) | instid1(VALU_DEP_1)
	v_min_u32_e32 v73, 32, v73
	v_subrev_nc_u32_e32 v74, 28, v73
	v_sub_nc_u32_e32 v73, 29, v73
	s_delay_alu instid0(VALU_DEP_2) | instskip(NEXT) | instid1(VALU_DEP_1)
	v_lshlrev_b32_e32 v74, v74, v21
	v_dual_cndmask_b32 v73, v75, v73 :: v_dual_and_b32 v74, 7, v74
	s_delay_alu instid0(VALU_DEP_1) | instskip(NEXT) | instid1(VALU_DEP_2)
	v_lshl_add_u32 v73, v73, 23, 0x3b800000
	v_cndmask_b32_e32 v20, v20, v74, vcc_lo
	v_and_b32_e32 v74, 0x80000000, v76
	s_delay_alu instid0(VALU_DEP_2) | instskip(NEXT) | instid1(VALU_DEP_1)
	v_lshlrev_b32_e32 v20, 20, v20
	v_or3_b32 v73, v74, v73, v20
.LBB6_1454:                             ;   in Loop: Header=BB6_394 Depth=4
	s_or_b32 exec_lo, exec_lo, s36
	v_and_b32_e32 v74, 0xff, v17
	s_mov_b32 s13, 0
	s_mov_b32 s37, exec_lo
                                        ; implicit-def: $sgpr36
	s_delay_alu instid0(VALU_DEP_1)
	v_cmpx_lt_i16_e32 0x7f, v74
	s_xor_b32 s37, exec_lo, s37
	s_cbranch_execnz .LBB6_2836
; %bb.1455:                             ;   in Loop: Header=BB6_394 Depth=4
	s_or_saveexec_b32 s37, s37
	v_mov_b32_e32 v20, s36
	s_xor_b32 exec_lo, exec_lo, s37
	s_cbranch_execnz .LBB6_2839
.LBB6_1456:                             ;   in Loop: Header=BB6_394 Depth=4
	s_or_b32 exec_lo, exec_lo, s37
	s_and_saveexec_b32 s36, s13
	s_cbranch_execz .LBB6_1458
.LBB6_1457:                             ;   in Loop: Header=BB6_394 Depth=4
	v_and_b32_e32 v20, 7, v17
	v_bfe_u32 v76, v17, 3, 4
	s_delay_alu instid0(VALU_DEP_2) | instskip(NEXT) | instid1(VALU_DEP_2)
	v_clz_i32_u32_e32 v74, v20
	v_cmp_eq_u32_e32 vcc_lo, 0, v76
	s_delay_alu instid0(VALU_DEP_2) | instskip(NEXT) | instid1(VALU_DEP_1)
	v_min_u32_e32 v74, 32, v74
	v_subrev_nc_u32_e32 v75, 28, v74
	v_sub_nc_u32_e32 v74, 29, v74
	s_delay_alu instid0(VALU_DEP_1) | instskip(NEXT) | instid1(VALU_DEP_1)
	v_dual_cndmask_b32 v74, v76, v74 :: v_dual_lshlrev_b32 v75, v75, v17
	v_and_b32_e32 v75, 7, v75
	v_lshlrev_b32_e32 v77, 24, v17
	s_delay_alu instid0(VALU_DEP_3) | instskip(NEXT) | instid1(VALU_DEP_2)
	v_lshl_add_u32 v74, v74, 23, 0x3b800000
	v_dual_cndmask_b32 v20, v20, v75 :: v_dual_and_b32 v75, 0x80000000, v77
	s_delay_alu instid0(VALU_DEP_1) | instskip(NEXT) | instid1(VALU_DEP_1)
	v_lshlrev_b32_e32 v20, 20, v20
	v_or3_b32 v20, v75, v74, v20
.LBB6_1458:                             ;   in Loop: Header=BB6_394 Depth=4
	s_or_b32 exec_lo, exec_lo, s36
	s_delay_alu instid0(VALU_DEP_1) | instskip(NEXT) | instid1(VALU_DEP_1)
	v_dual_max_f32 v20, v20, v20 :: v_dual_max_f32 v73, v73, v73
	v_min_f32_e32 v73, v73, v20
.LBB6_1459:                             ;   in Loop: Header=BB6_394 Depth=4
	s_delay_alu instid0(VALU_DEP_1) | instskip(NEXT) | instid1(VALU_DEP_1)
	v_and_b32_e32 v20, 0x7f800000, v73
	v_cmp_ne_u32_e32 vcc_lo, 0x7f800000, v20
	v_mov_b32_e32 v20, 0x80
	s_and_saveexec_b32 s36, vcc_lo
	s_cbranch_execz .LBB6_1467
; %bb.1460:                             ;   in Loop: Header=BB6_394 Depth=4
	v_mov_b32_e32 v20, 0
	s_mov_b32 s37, exec_lo
	v_cmpx_ne_u32_e32 0, v73
	s_cbranch_execz .LBB6_1466
; %bb.1461:                             ;   in Loop: Header=BB6_394 Depth=4
	v_bfe_u32 v20, v73, 23, 8
	s_delay_alu instid0(VALU_DEP_1) | instskip(SKIP_1) | instid1(VALU_DEP_2)
	v_sub_nc_u32_e32 v75, 0x78, v20
	v_cmp_gt_u32_e32 vcc_lo, 0x79, v20
	v_dual_cndmask_b32 v75, 0, v75 :: v_dual_and_b32 v74, 0x7fffff, v73
	s_delay_alu instid0(VALU_DEP_1) | instskip(SKIP_2) | instid1(VALU_DEP_4)
	v_or_b32_e32 v76, 0x800000, v74
	v_cmp_eq_u32_e32 vcc_lo, 0, v20
	v_add_nc_u32_e32 v20, 0xffffff89, v20
	v_cndmask_b32_e64 v75, v75, 0x77, vcc_lo
	s_delay_alu instid0(VALU_DEP_2) | instskip(SKIP_1) | instid1(VALU_DEP_3)
	v_cndmask_b32_e64 v20, v20, 0xffffff8a, vcc_lo
	v_cndmask_b32_e32 v74, v76, v74, vcc_lo
	v_lshl_add_u32 v76, 0x100000, v75, -1
	v_lshlrev_b32_e64 v79, v75, 0x80000
	s_delay_alu instid0(VALU_DEP_3) | instskip(SKIP_1) | instid1(VALU_DEP_4)
	v_lshrrev_b32_e32 v77, v75, v74
	v_add_nc_u32_e32 v75, v75, v20
	v_and_b32_e32 v74, v76, v74
	s_delay_alu instid0(VALU_DEP_3) | instskip(NEXT) | instid1(VALU_DEP_2)
	v_bfe_u32 v78, v77, 20, 1
	v_cmp_eq_u32_e64 s13, v74, v79
	s_delay_alu instid0(VALU_DEP_2) | instskip(NEXT) | instid1(VALU_DEP_1)
	v_add_nc_u32_e32 v76, -1, v78
	v_cndmask_b32_e64 v74, 0, v76, s13
	v_lshrrev_b32_e32 v76, 23, v77
	s_mov_b32 s13, exec_lo
	s_delay_alu instid0(VALU_DEP_2) | instskip(NEXT) | instid1(VALU_DEP_2)
	v_add_nc_u32_e32 v74, v74, v77
	v_xor_b32_e32 v76, 1, v76
	s_delay_alu instid0(VALU_DEP_2) | instskip(NEXT) | instid1(VALU_DEP_1)
	v_and_b32_e32 v20, 0xfffff, v74
	v_add_nc_u32_e32 v74, v20, v77
                                        ; implicit-def: $vgpr20
	s_delay_alu instid0(VALU_DEP_3)
	v_cmpx_ne_u32_e64 v75, v76
	s_xor_b32 s13, exec_lo, s13
; %bb.1462:                             ;   in Loop: Header=BB6_394 Depth=4
	s_delay_alu instid0(VALU_DEP_2) | instskip(SKIP_2) | instid1(VALU_DEP_2)
	v_cmp_lt_u32_e32 vcc_lo, 0xffffff, v74
	v_sub_nc_u32_e32 v20, v75, v76
	v_cndmask_b32_e64 v75, 0, 1, vcc_lo
	v_add_co_ci_u32_e32 v20, vcc_lo, 0, v20, vcc_lo
	s_delay_alu instid0(VALU_DEP_2)
	v_lshrrev_b32_e32 v74, v75, v74
; %bb.1463:                             ;   in Loop: Header=BB6_394 Depth=4
	s_and_not1_saveexec_b32 s13, s13
; %bb.1464:                             ;   in Loop: Header=BB6_394 Depth=4
	s_delay_alu instid0(VALU_DEP_1)
	v_bfe_u32 v20, v74, 23, 1
; %bb.1465:                             ;   in Loop: Header=BB6_394 Depth=4
	s_or_b32 exec_lo, exec_lo, s13
	v_lshrrev_b32_e32 v74, 20, v74
	s_delay_alu instid0(VALU_DEP_2) | instskip(SKIP_2) | instid1(VALU_DEP_2)
	v_cmp_gt_i32_e32 vcc_lo, 16, v20
	v_lshrrev_b32_e32 v73, 24, v73
	v_min_i32_e32 v75, 15, v20
	v_dual_cndmask_b32 v74, 7, v74 :: v_dual_and_b32 v73, 0x80, v73
	s_delay_alu instid0(VALU_DEP_1) | instskip(SKIP_1) | instid1(VALU_DEP_2)
	v_or_b32_e32 v20, v20, v74
	v_and_b32_e32 v76, 7, v74
	v_cmp_ne_u32_e32 vcc_lo, 0, v20
	v_lshlrev_b32_e32 v75, 3, v75
	s_delay_alu instid0(VALU_DEP_1) | instskip(NEXT) | instid1(VALU_DEP_1)
	v_or3_b32 v73, v75, v73, v76
	v_cndmask_b32_e32 v20, 0, v73, vcc_lo
.LBB6_1466:                             ;   in Loop: Header=BB6_394 Depth=4
	s_or_b32 exec_lo, exec_lo, s37
.LBB6_1467:                             ;   in Loop: Header=BB6_394 Depth=4
	s_delay_alu instid0(SALU_CYCLE_1) | instskip(SKIP_3) | instid1(VALU_DEP_2)
	s_or_b32 exec_lo, exec_lo, s36
	v_lshrrev_b16 v74, 8, v21
	v_lshrrev_b16 v73, 8, v17
	s_and_not1_b32 vcc_lo, exec_lo, s35
	v_cmp_lt_i16_e64 s13, 0x7f, v74
	s_cbranch_vccnz .LBB6_1477
; %bb.1468:                             ;   in Loop: Header=BB6_394 Depth=4
	s_mov_b32 s36, 0
                                        ; implicit-def: $sgpr37
	s_delay_alu instid0(VALU_DEP_1) | instskip(NEXT) | instid1(SALU_CYCLE_1)
	s_and_saveexec_b32 vcc_lo, s13
	s_xor_b32 s13, exec_lo, vcc_lo
	s_cbranch_execnz .LBB6_2840
; %bb.1469:                             ;   in Loop: Header=BB6_394 Depth=4
	s_or_saveexec_b32 s13, s13
	v_mov_b32_e32 v75, s37
	s_xor_b32 exec_lo, exec_lo, s13
	s_cbranch_execnz .LBB6_2843
.LBB6_1470:                             ;   in Loop: Header=BB6_394 Depth=4
	s_or_b32 exec_lo, exec_lo, s13
	s_and_saveexec_b32 s13, s36
	s_cbranch_execz .LBB6_1472
.LBB6_1471:                             ;   in Loop: Header=BB6_394 Depth=4
	v_and_b32_e32 v75, 0xffff, v74
	s_delay_alu instid0(VALU_DEP_1) | instskip(NEXT) | instid1(VALU_DEP_1)
	v_and_b32_e32 v76, 7, v75
	v_clz_i32_u32_e32 v77, v76
	s_delay_alu instid0(VALU_DEP_1) | instskip(NEXT) | instid1(VALU_DEP_1)
	v_min_u32_e32 v77, 32, v77
	v_subrev_nc_u32_e32 v78, 28, v77
	v_sub_nc_u32_e32 v77, 29, v77
	s_delay_alu instid0(VALU_DEP_2) | instskip(SKIP_1) | instid1(VALU_DEP_2)
	v_lshlrev_b32_e32 v78, v78, v75
	v_bfe_u32 v75, v75, 3, 4
	v_and_b32_e32 v78, 7, v78
	s_delay_alu instid0(VALU_DEP_2) | instskip(SKIP_1) | instid1(VALU_DEP_3)
	v_cmp_eq_u32_e32 vcc_lo, 0, v75
	v_cndmask_b32_e32 v75, v75, v77, vcc_lo
	v_dual_cndmask_b32 v76, v76, v78 :: v_dual_lshlrev_b32 v79, 16, v21
	s_delay_alu instid0(VALU_DEP_2) | instskip(NEXT) | instid1(VALU_DEP_2)
	v_lshl_add_u32 v75, v75, 23, 0x3b800000
	v_and_b32_e32 v77, 0x80000000, v79
	s_delay_alu instid0(VALU_DEP_3) | instskip(NEXT) | instid1(VALU_DEP_1)
	v_lshlrev_b32_e32 v76, 20, v76
	v_or3_b32 v75, v77, v75, v76
.LBB6_1472:                             ;   in Loop: Header=BB6_394 Depth=4
	s_or_b32 exec_lo, exec_lo, s13
	s_mov_b32 s13, 0
	s_mov_b32 s37, exec_lo
                                        ; implicit-def: $sgpr36
	v_cmpx_lt_i16_e32 0x7f, v73
	s_xor_b32 s37, exec_lo, s37
	s_cbranch_execnz .LBB6_2844
; %bb.1473:                             ;   in Loop: Header=BB6_394 Depth=4
	s_or_saveexec_b32 s37, s37
	v_mov_b32_e32 v76, s36
	s_xor_b32 exec_lo, exec_lo, s37
	s_cbranch_execnz .LBB6_2847
.LBB6_1474:                             ;   in Loop: Header=BB6_394 Depth=4
	s_or_b32 exec_lo, exec_lo, s37
	s_and_saveexec_b32 s36, s13
	s_cbranch_execz .LBB6_1476
.LBB6_1475:                             ;   in Loop: Header=BB6_394 Depth=4
	v_and_b32_e32 v76, 0xffff, v73
	v_lshlrev_b32_e32 v88, 16, v17
	s_delay_alu instid0(VALU_DEP_2) | instskip(NEXT) | instid1(VALU_DEP_1)
	v_and_b32_e32 v77, 7, v76
	v_clz_i32_u32_e32 v78, v77
	s_delay_alu instid0(VALU_DEP_1) | instskip(NEXT) | instid1(VALU_DEP_1)
	v_min_u32_e32 v78, 32, v78
	v_subrev_nc_u32_e32 v79, 28, v78
	v_sub_nc_u32_e32 v78, 29, v78
	s_delay_alu instid0(VALU_DEP_2) | instskip(SKIP_1) | instid1(VALU_DEP_2)
	v_lshlrev_b32_e32 v79, v79, v76
	v_bfe_u32 v76, v76, 3, 4
	v_and_b32_e32 v79, 7, v79
	s_delay_alu instid0(VALU_DEP_2) | instskip(NEXT) | instid1(VALU_DEP_2)
	v_cmp_eq_u32_e32 vcc_lo, 0, v76
	v_dual_cndmask_b32 v76, v76, v78 :: v_dual_cndmask_b32 v77, v77, v79
	v_and_b32_e32 v78, 0x80000000, v88
	s_delay_alu instid0(VALU_DEP_2) | instskip(NEXT) | instid1(VALU_DEP_3)
	v_lshl_add_u32 v76, v76, 23, 0x3b800000
	v_lshlrev_b32_e32 v77, 20, v77
	s_delay_alu instid0(VALU_DEP_1)
	v_or3_b32 v76, v78, v76, v77
.LBB6_1476:                             ;   in Loop: Header=BB6_394 Depth=4
	s_or_b32 exec_lo, exec_lo, s36
	s_delay_alu instid0(VALU_DEP_1) | instskip(SKIP_1) | instid1(VALU_DEP_1)
	v_dual_max_f32 v76, v76, v76 :: v_dual_max_f32 v75, v75, v75
	s_mov_b32 s13, 0
	v_max_f32_e32 v75, v75, v76
	s_branch .LBB6_1478
.LBB6_1477:                             ;   in Loop: Header=BB6_394 Depth=4
	s_mov_b32 s13, -1
                                        ; implicit-def: $vgpr75
.LBB6_1478:                             ;   in Loop: Header=BB6_394 Depth=4
	s_delay_alu instid0(SALU_CYCLE_1)
	s_and_b32 vcc_lo, exec_lo, s13
	s_cbranch_vccz .LBB6_1488
; %bb.1479:                             ;   in Loop: Header=BB6_394 Depth=4
	s_mov_b32 s13, 0
	s_mov_b32 s37, exec_lo
                                        ; implicit-def: $sgpr36
	v_cmpx_lt_i16_e32 0x7f, v74
	s_xor_b32 s37, exec_lo, s37
	s_cbranch_execnz .LBB6_2848
; %bb.1480:                             ;   in Loop: Header=BB6_394 Depth=4
	s_or_saveexec_b32 s37, s37
	v_mov_b32_e32 v75, s36
	s_xor_b32 exec_lo, exec_lo, s37
	s_cbranch_execnz .LBB6_2851
.LBB6_1481:                             ;   in Loop: Header=BB6_394 Depth=4
	s_or_b32 exec_lo, exec_lo, s37
	s_and_saveexec_b32 s36, s13
	s_cbranch_execz .LBB6_1483
.LBB6_1482:                             ;   in Loop: Header=BB6_394 Depth=4
	v_and_b32_e32 v74, 0xffff, v74
	v_lshlrev_b32_e32 v78, 16, v21
	s_delay_alu instid0(VALU_DEP_2) | instskip(NEXT) | instid1(VALU_DEP_1)
	v_and_b32_e32 v75, 7, v74
	v_clz_i32_u32_e32 v76, v75
	s_delay_alu instid0(VALU_DEP_1) | instskip(NEXT) | instid1(VALU_DEP_1)
	v_min_u32_e32 v76, 32, v76
	v_subrev_nc_u32_e32 v77, 28, v76
	v_sub_nc_u32_e32 v76, 29, v76
	s_delay_alu instid0(VALU_DEP_2) | instskip(SKIP_1) | instid1(VALU_DEP_2)
	v_lshlrev_b32_e32 v77, v77, v74
	v_bfe_u32 v74, v74, 3, 4
	v_and_b32_e32 v77, 7, v77
	s_delay_alu instid0(VALU_DEP_2) | instskip(NEXT) | instid1(VALU_DEP_2)
	v_cmp_eq_u32_e32 vcc_lo, 0, v74
	v_dual_cndmask_b32 v74, v74, v76 :: v_dual_cndmask_b32 v75, v75, v77
	v_and_b32_e32 v76, 0x80000000, v78
	s_delay_alu instid0(VALU_DEP_2) | instskip(NEXT) | instid1(VALU_DEP_3)
	v_lshl_add_u32 v74, v74, 23, 0x3b800000
	v_lshlrev_b32_e32 v75, 20, v75
	s_delay_alu instid0(VALU_DEP_1)
	v_or3_b32 v75, v76, v74, v75
.LBB6_1483:                             ;   in Loop: Header=BB6_394 Depth=4
	s_or_b32 exec_lo, exec_lo, s36
	s_mov_b32 s13, 0
	s_mov_b32 s37, exec_lo
                                        ; implicit-def: $sgpr36
	v_cmpx_lt_i16_e32 0x7f, v73
	s_xor_b32 s37, exec_lo, s37
	s_cbranch_execnz .LBB6_2852
; %bb.1484:                             ;   in Loop: Header=BB6_394 Depth=4
	s_or_saveexec_b32 s37, s37
	v_mov_b32_e32 v74, s36
	s_xor_b32 exec_lo, exec_lo, s37
	s_cbranch_execnz .LBB6_2855
.LBB6_1485:                             ;   in Loop: Header=BB6_394 Depth=4
	s_or_b32 exec_lo, exec_lo, s37
	s_and_saveexec_b32 s36, s13
	s_cbranch_execz .LBB6_1487
.LBB6_1486:                             ;   in Loop: Header=BB6_394 Depth=4
	v_and_b32_e32 v73, 0xffff, v73
	v_lshlrev_b32_e32 v78, 16, v17
	s_delay_alu instid0(VALU_DEP_2) | instskip(NEXT) | instid1(VALU_DEP_1)
	v_and_b32_e32 v74, 7, v73
	v_clz_i32_u32_e32 v76, v74
	s_delay_alu instid0(VALU_DEP_1) | instskip(NEXT) | instid1(VALU_DEP_1)
	v_min_u32_e32 v76, 32, v76
	v_subrev_nc_u32_e32 v77, 28, v76
	v_sub_nc_u32_e32 v76, 29, v76
	s_delay_alu instid0(VALU_DEP_2) | instskip(SKIP_1) | instid1(VALU_DEP_2)
	v_lshlrev_b32_e32 v77, v77, v73
	v_bfe_u32 v73, v73, 3, 4
	v_and_b32_e32 v77, 7, v77
	s_delay_alu instid0(VALU_DEP_2) | instskip(NEXT) | instid1(VALU_DEP_2)
	v_cmp_eq_u32_e32 vcc_lo, 0, v73
	v_dual_cndmask_b32 v73, v73, v76 :: v_dual_cndmask_b32 v74, v74, v77
	v_and_b32_e32 v76, 0x80000000, v78
	s_delay_alu instid0(VALU_DEP_2) | instskip(NEXT) | instid1(VALU_DEP_3)
	v_lshl_add_u32 v73, v73, 23, 0x3b800000
	v_lshlrev_b32_e32 v74, 20, v74
	s_delay_alu instid0(VALU_DEP_1)
	v_or3_b32 v74, v76, v73, v74
.LBB6_1487:                             ;   in Loop: Header=BB6_394 Depth=4
	s_or_b32 exec_lo, exec_lo, s36
	s_delay_alu instid0(VALU_DEP_1) | instskip(NEXT) | instid1(VALU_DEP_1)
	v_dual_max_f32 v73, v74, v74 :: v_dual_max_f32 v74, v75, v75
	v_min_f32_e32 v75, v74, v73
.LBB6_1488:                             ;   in Loop: Header=BB6_394 Depth=4
	s_delay_alu instid0(VALU_DEP_1) | instskip(NEXT) | instid1(VALU_DEP_1)
	v_and_b32_e32 v73, 0x7f800000, v75
	v_cmp_ne_u32_e32 vcc_lo, 0x7f800000, v73
	v_mov_b32_e32 v73, 0x80
	s_and_saveexec_b32 s36, vcc_lo
	s_cbranch_execz .LBB6_1496
; %bb.1489:                             ;   in Loop: Header=BB6_394 Depth=4
	v_mov_b32_e32 v73, 0
	s_mov_b32 s37, exec_lo
	v_cmpx_ne_u32_e32 0, v75
	s_cbranch_execz .LBB6_1495
; %bb.1490:                             ;   in Loop: Header=BB6_394 Depth=4
	v_bfe_u32 v73, v75, 23, 8
	v_and_b32_e32 v74, 0x7fffff, v75
	s_delay_alu instid0(VALU_DEP_2) | instskip(SKIP_1) | instid1(VALU_DEP_3)
	v_sub_nc_u32_e32 v76, 0x78, v73
	v_cmp_gt_u32_e32 vcc_lo, 0x79, v73
	v_or_b32_e32 v77, 0x800000, v74
	s_delay_alu instid0(VALU_DEP_3) | instskip(SKIP_2) | instid1(VALU_DEP_3)
	v_cndmask_b32_e32 v76, 0, v76, vcc_lo
	v_cmp_eq_u32_e32 vcc_lo, 0, v73
	v_add_nc_u32_e32 v73, 0xffffff89, v73
	v_cndmask_b32_e64 v76, v76, 0x77, vcc_lo
	v_cndmask_b32_e32 v74, v77, v74, vcc_lo
	s_delay_alu instid0(VALU_DEP_3) | instskip(NEXT) | instid1(VALU_DEP_3)
	v_cndmask_b32_e64 v73, v73, 0xffffff8a, vcc_lo
	v_lshl_add_u32 v77, 0x100000, v76, -1
	s_delay_alu instid0(VALU_DEP_3) | instskip(SKIP_1) | instid1(VALU_DEP_4)
	v_lshrrev_b32_e32 v78, v76, v74
	v_lshlrev_b32_e64 v88, v76, 0x80000
	v_add_nc_u32_e32 v76, v76, v73
	s_delay_alu instid0(VALU_DEP_4) | instskip(NEXT) | instid1(VALU_DEP_4)
	v_and_b32_e32 v74, v77, v74
	v_bfe_u32 v79, v78, 20, 1
	s_delay_alu instid0(VALU_DEP_2) | instskip(NEXT) | instid1(VALU_DEP_2)
	v_cmp_eq_u32_e64 s13, v74, v88
	v_add_nc_u32_e32 v77, -1, v79
	s_delay_alu instid0(VALU_DEP_1) | instskip(SKIP_2) | instid1(VALU_DEP_2)
	v_cndmask_b32_e64 v74, 0, v77, s13
	v_lshrrev_b32_e32 v77, 23, v78
	s_mov_b32 s13, exec_lo
	v_add_nc_u32_e32 v74, v74, v78
	s_delay_alu instid0(VALU_DEP_2) | instskip(NEXT) | instid1(VALU_DEP_2)
	v_xor_b32_e32 v77, 1, v77
	v_and_b32_e32 v73, 0xfffff, v74
	s_delay_alu instid0(VALU_DEP_1) | instskip(NEXT) | instid1(VALU_DEP_3)
	v_add_nc_u32_e32 v74, v73, v78
                                        ; implicit-def: $vgpr73
	v_cmpx_ne_u32_e64 v76, v77
	s_xor_b32 s13, exec_lo, s13
; %bb.1491:                             ;   in Loop: Header=BB6_394 Depth=4
	s_delay_alu instid0(VALU_DEP_2) | instskip(SKIP_2) | instid1(VALU_DEP_2)
	v_cmp_lt_u32_e32 vcc_lo, 0xffffff, v74
	v_sub_nc_u32_e32 v73, v76, v77
	v_cndmask_b32_e64 v76, 0, 1, vcc_lo
	v_add_co_ci_u32_e32 v73, vcc_lo, 0, v73, vcc_lo
	s_delay_alu instid0(VALU_DEP_2)
	v_lshrrev_b32_e32 v74, v76, v74
; %bb.1492:                             ;   in Loop: Header=BB6_394 Depth=4
	s_and_not1_saveexec_b32 s13, s13
; %bb.1493:                             ;   in Loop: Header=BB6_394 Depth=4
	s_delay_alu instid0(VALU_DEP_1)
	v_bfe_u32 v73, v74, 23, 1
; %bb.1494:                             ;   in Loop: Header=BB6_394 Depth=4
	s_or_b32 exec_lo, exec_lo, s13
	v_lshrrev_b32_e32 v74, 20, v74
	s_delay_alu instid0(VALU_DEP_2) | instskip(SKIP_2) | instid1(VALU_DEP_2)
	v_cmp_gt_i32_e32 vcc_lo, 16, v73
	v_lshrrev_b32_e32 v75, 24, v75
	v_min_i32_e32 v76, 15, v73
	v_dual_cndmask_b32 v74, 7, v74 :: v_dual_and_b32 v75, 0x80, v75
	s_delay_alu instid0(VALU_DEP_1) | instskip(SKIP_1) | instid1(VALU_DEP_2)
	v_or_b32_e32 v73, v73, v74
	v_and_b32_e32 v77, 7, v74
	v_cmp_ne_u32_e32 vcc_lo, 0, v73
	v_lshlrev_b32_e32 v76, 3, v76
	s_delay_alu instid0(VALU_DEP_1) | instskip(NEXT) | instid1(VALU_DEP_1)
	v_or3_b32 v74, v76, v75, v77
	v_cndmask_b32_e32 v73, 0, v74, vcc_lo
.LBB6_1495:                             ;   in Loop: Header=BB6_394 Depth=4
	s_or_b32 exec_lo, exec_lo, s37
.LBB6_1496:                             ;   in Loop: Header=BB6_394 Depth=4
	s_delay_alu instid0(SALU_CYCLE_1) | instskip(SKIP_3) | instid1(VALU_DEP_2)
	s_or_b32 exec_lo, exec_lo, s36
	v_lshrrev_b32_e32 v75, 16, v21
	v_lshrrev_b32_e32 v74, 16, v17
	s_and_not1_b32 vcc_lo, exec_lo, s35
	v_and_b32_e32 v76, 0xff, v75
	s_delay_alu instid0(VALU_DEP_1)
	v_cmp_lt_i16_e64 s13, 0x7f, v76
	s_cbranch_vccnz .LBB6_1506
; %bb.1497:                             ;   in Loop: Header=BB6_394 Depth=4
	s_mov_b32 s36, 0
                                        ; implicit-def: $sgpr37
	s_delay_alu instid0(VALU_DEP_1) | instskip(NEXT) | instid1(SALU_CYCLE_1)
	s_and_saveexec_b32 vcc_lo, s13
	s_xor_b32 s13, exec_lo, vcc_lo
	s_cbranch_execnz .LBB6_2856
; %bb.1498:                             ;   in Loop: Header=BB6_394 Depth=4
	s_or_saveexec_b32 s13, s13
	v_mov_b32_e32 v77, s37
	s_xor_b32 exec_lo, exec_lo, s13
	s_cbranch_execnz .LBB6_2859
.LBB6_1499:                             ;   in Loop: Header=BB6_394 Depth=4
	s_or_b32 exec_lo, exec_lo, s13
	s_and_saveexec_b32 s13, s36
	s_cbranch_execz .LBB6_1501
.LBB6_1500:                             ;   in Loop: Header=BB6_394 Depth=4
	v_bfe_u32 v77, v21, 16, 3
	v_bfe_u32 v88, v21, 19, 4
	v_lshlrev_b32_e32 v89, 24, v75
	s_delay_alu instid0(VALU_DEP_3) | instskip(NEXT) | instid1(VALU_DEP_3)
	v_clz_i32_u32_e32 v78, v77
	v_cmp_eq_u32_e32 vcc_lo, 0, v88
	s_delay_alu instid0(VALU_DEP_2) | instskip(NEXT) | instid1(VALU_DEP_1)
	v_min_u32_e32 v78, 32, v78
	v_subrev_nc_u32_e32 v79, 28, v78
	v_sub_nc_u32_e32 v78, 29, v78
	s_delay_alu instid0(VALU_DEP_1) | instskip(NEXT) | instid1(VALU_DEP_1)
	v_dual_cndmask_b32 v78, v88, v78 :: v_dual_lshlrev_b32 v79, v79, v75
	v_and_b32_e32 v79, 7, v79
	s_delay_alu instid0(VALU_DEP_2) | instskip(NEXT) | instid1(VALU_DEP_2)
	v_lshl_add_u32 v78, v78, 23, 0x3b800000
	v_cndmask_b32_e32 v77, v77, v79, vcc_lo
	v_and_b32_e32 v79, 0x80000000, v89
	s_delay_alu instid0(VALU_DEP_2) | instskip(NEXT) | instid1(VALU_DEP_1)
	v_lshlrev_b32_e32 v77, 20, v77
	v_or3_b32 v77, v79, v78, v77
.LBB6_1501:                             ;   in Loop: Header=BB6_394 Depth=4
	s_or_b32 exec_lo, exec_lo, s13
	v_and_b32_e32 v79, 0xff, v74
	s_mov_b32 s13, 0
	s_mov_b32 s37, exec_lo
                                        ; implicit-def: $sgpr36
	s_delay_alu instid0(VALU_DEP_1)
	v_cmpx_lt_i16_e32 0x7f, v79
	s_xor_b32 s37, exec_lo, s37
	s_cbranch_execnz .LBB6_2860
; %bb.1502:                             ;   in Loop: Header=BB6_394 Depth=4
	s_or_saveexec_b32 s37, s37
	v_mov_b32_e32 v78, s36
	s_xor_b32 exec_lo, exec_lo, s37
	s_cbranch_execnz .LBB6_2863
.LBB6_1503:                             ;   in Loop: Header=BB6_394 Depth=4
	s_or_b32 exec_lo, exec_lo, s37
	s_and_saveexec_b32 s36, s13
	s_cbranch_execz .LBB6_1505
.LBB6_1504:                             ;   in Loop: Header=BB6_394 Depth=4
	v_bfe_u32 v78, v17, 16, 3
	v_bfe_u32 v89, v17, 19, 4
	v_lshlrev_b32_e32 v90, 24, v74
	s_delay_alu instid0(VALU_DEP_3) | instskip(NEXT) | instid1(VALU_DEP_3)
	v_clz_i32_u32_e32 v79, v78
	v_cmp_eq_u32_e32 vcc_lo, 0, v89
	s_delay_alu instid0(VALU_DEP_2) | instskip(NEXT) | instid1(VALU_DEP_1)
	v_min_u32_e32 v79, 32, v79
	v_subrev_nc_u32_e32 v88, 28, v79
	v_sub_nc_u32_e32 v79, 29, v79
	s_delay_alu instid0(VALU_DEP_1) | instskip(NEXT) | instid1(VALU_DEP_1)
	v_dual_cndmask_b32 v79, v89, v79 :: v_dual_lshlrev_b32 v88, v88, v74
	v_and_b32_e32 v88, 7, v88
	s_delay_alu instid0(VALU_DEP_2) | instskip(NEXT) | instid1(VALU_DEP_2)
	v_lshl_add_u32 v79, v79, 23, 0x3b800000
	v_cndmask_b32_e32 v78, v78, v88, vcc_lo
	v_and_b32_e32 v88, 0x80000000, v90
	s_delay_alu instid0(VALU_DEP_2) | instskip(NEXT) | instid1(VALU_DEP_1)
	v_lshlrev_b32_e32 v78, 20, v78
	v_or3_b32 v78, v88, v79, v78
.LBB6_1505:                             ;   in Loop: Header=BB6_394 Depth=4
	s_or_b32 exec_lo, exec_lo, s36
	s_delay_alu instid0(VALU_DEP_1) | instskip(SKIP_1) | instid1(VALU_DEP_1)
	v_dual_max_f32 v78, v78, v78 :: v_dual_max_f32 v77, v77, v77
	s_mov_b32 s13, 0
	v_max_f32_e32 v77, v77, v78
	s_branch .LBB6_1507
.LBB6_1506:                             ;   in Loop: Header=BB6_394 Depth=4
	s_mov_b32 s13, -1
                                        ; implicit-def: $vgpr77
.LBB6_1507:                             ;   in Loop: Header=BB6_394 Depth=4
	s_delay_alu instid0(SALU_CYCLE_1)
	s_and_b32 vcc_lo, exec_lo, s13
	s_cbranch_vccz .LBB6_1517
; %bb.1508:                             ;   in Loop: Header=BB6_394 Depth=4
	s_mov_b32 s13, 0
	s_mov_b32 s37, exec_lo
                                        ; implicit-def: $sgpr36
	v_cmpx_lt_i16_e32 0x7f, v76
	s_xor_b32 s37, exec_lo, s37
	s_cbranch_execnz .LBB6_2864
; %bb.1509:                             ;   in Loop: Header=BB6_394 Depth=4
	s_or_saveexec_b32 s37, s37
	v_mov_b32_e32 v77, s36
	s_xor_b32 exec_lo, exec_lo, s37
	s_cbranch_execnz .LBB6_2867
.LBB6_1510:                             ;   in Loop: Header=BB6_394 Depth=4
	s_or_b32 exec_lo, exec_lo, s37
	s_and_saveexec_b32 s36, s13
	s_cbranch_execz .LBB6_1512
.LBB6_1511:                             ;   in Loop: Header=BB6_394 Depth=4
	v_bfe_u32 v76, v21, 16, 3
	v_bfe_u32 v79, v21, 19, 4
	s_delay_alu instid0(VALU_DEP_2) | instskip(NEXT) | instid1(VALU_DEP_2)
	v_clz_i32_u32_e32 v77, v76
	v_cmp_eq_u32_e32 vcc_lo, 0, v79
	s_delay_alu instid0(VALU_DEP_2) | instskip(NEXT) | instid1(VALU_DEP_1)
	v_min_u32_e32 v77, 32, v77
	v_subrev_nc_u32_e32 v78, 28, v77
	v_sub_nc_u32_e32 v77, 29, v77
	s_delay_alu instid0(VALU_DEP_1) | instskip(NEXT) | instid1(VALU_DEP_1)
	v_dual_cndmask_b32 v77, v79, v77 :: v_dual_lshlrev_b32 v78, v78, v75
	v_and_b32_e32 v78, 7, v78
	v_lshlrev_b32_e32 v75, 24, v75
	s_delay_alu instid0(VALU_DEP_3) | instskip(NEXT) | instid1(VALU_DEP_2)
	v_lshl_add_u32 v77, v77, 23, 0x3b800000
	v_dual_cndmask_b32 v76, v76, v78 :: v_dual_and_b32 v75, 0x80000000, v75
	s_delay_alu instid0(VALU_DEP_1) | instskip(NEXT) | instid1(VALU_DEP_1)
	v_lshlrev_b32_e32 v76, 20, v76
	v_or3_b32 v77, v75, v77, v76
.LBB6_1512:                             ;   in Loop: Header=BB6_394 Depth=4
	s_or_b32 exec_lo, exec_lo, s36
	v_and_b32_e32 v76, 0xff, v74
	s_mov_b32 s13, 0
	s_mov_b32 s37, exec_lo
                                        ; implicit-def: $sgpr36
	s_delay_alu instid0(VALU_DEP_1)
	v_cmpx_lt_i16_e32 0x7f, v76
	s_xor_b32 s37, exec_lo, s37
	s_cbranch_execnz .LBB6_2868
; %bb.1513:                             ;   in Loop: Header=BB6_394 Depth=4
	s_or_saveexec_b32 s37, s37
	v_mov_b32_e32 v75, s36
	s_xor_b32 exec_lo, exec_lo, s37
	s_cbranch_execnz .LBB6_2871
.LBB6_1514:                             ;   in Loop: Header=BB6_394 Depth=4
	s_or_b32 exec_lo, exec_lo, s37
	s_and_saveexec_b32 s36, s13
	s_cbranch_execz .LBB6_1516
.LBB6_1515:                             ;   in Loop: Header=BB6_394 Depth=4
	v_bfe_u32 v75, v17, 16, 3
	v_bfe_u32 v79, v17, 19, 4
	s_delay_alu instid0(VALU_DEP_2) | instskip(NEXT) | instid1(VALU_DEP_2)
	v_clz_i32_u32_e32 v76, v75
	v_cmp_eq_u32_e32 vcc_lo, 0, v79
	s_delay_alu instid0(VALU_DEP_2) | instskip(NEXT) | instid1(VALU_DEP_1)
	v_min_u32_e32 v76, 32, v76
	v_subrev_nc_u32_e32 v78, 28, v76
	v_sub_nc_u32_e32 v76, 29, v76
	s_delay_alu instid0(VALU_DEP_2) | instskip(SKIP_1) | instid1(VALU_DEP_2)
	v_lshlrev_b32_e32 v78, v78, v74
	v_lshlrev_b32_e32 v74, 24, v74
	v_and_b32_e32 v78, 7, v78
	s_delay_alu instid0(VALU_DEP_2) | instskip(NEXT) | instid1(VALU_DEP_2)
	v_and_b32_e32 v74, 0x80000000, v74
	v_cndmask_b32_e32 v75, v75, v78, vcc_lo
	s_delay_alu instid0(VALU_DEP_1) | instskip(NEXT) | instid1(VALU_DEP_1)
	v_dual_cndmask_b32 v76, v79, v76 :: v_dual_lshlrev_b32 v75, 20, v75
	v_lshl_add_u32 v76, v76, 23, 0x3b800000
	s_delay_alu instid0(VALU_DEP_1)
	v_or3_b32 v75, v74, v76, v75
.LBB6_1516:                             ;   in Loop: Header=BB6_394 Depth=4
	s_or_b32 exec_lo, exec_lo, s36
	s_delay_alu instid0(VALU_DEP_1) | instskip(NEXT) | instid1(VALU_DEP_1)
	v_dual_max_f32 v74, v75, v75 :: v_dual_max_f32 v75, v77, v77
	v_min_f32_e32 v77, v75, v74
.LBB6_1517:                             ;   in Loop: Header=BB6_394 Depth=4
	s_delay_alu instid0(VALU_DEP_1) | instskip(NEXT) | instid1(VALU_DEP_1)
	v_and_b32_e32 v74, 0x7f800000, v77
	v_cmp_ne_u32_e32 vcc_lo, 0x7f800000, v74
	v_mov_b32_e32 v74, 0x80
	s_and_saveexec_b32 s36, vcc_lo
	s_cbranch_execz .LBB6_1525
; %bb.1518:                             ;   in Loop: Header=BB6_394 Depth=4
	v_mov_b32_e32 v74, 0
	s_mov_b32 s37, exec_lo
	v_cmpx_ne_u32_e32 0, v77
	s_cbranch_execz .LBB6_1524
; %bb.1519:                             ;   in Loop: Header=BB6_394 Depth=4
	v_bfe_u32 v74, v77, 23, 8
	s_delay_alu instid0(VALU_DEP_1) | instskip(SKIP_1) | instid1(VALU_DEP_2)
	v_sub_nc_u32_e32 v76, 0x78, v74
	v_cmp_gt_u32_e32 vcc_lo, 0x79, v74
	v_dual_cndmask_b32 v76, 0, v76 :: v_dual_and_b32 v75, 0x7fffff, v77
	s_delay_alu instid0(VALU_DEP_1) | instskip(SKIP_2) | instid1(VALU_DEP_4)
	v_or_b32_e32 v78, 0x800000, v75
	v_cmp_eq_u32_e32 vcc_lo, 0, v74
	v_add_nc_u32_e32 v74, 0xffffff89, v74
	v_cndmask_b32_e64 v76, v76, 0x77, vcc_lo
	s_delay_alu instid0(VALU_DEP_4) | instskip(NEXT) | instid1(VALU_DEP_3)
	v_cndmask_b32_e32 v75, v78, v75, vcc_lo
	v_cndmask_b32_e64 v74, v74, 0xffffff8a, vcc_lo
	s_delay_alu instid0(VALU_DEP_3) | instskip(NEXT) | instid1(VALU_DEP_3)
	v_lshl_add_u32 v78, 0x100000, v76, -1
	v_lshrrev_b32_e32 v79, v76, v75
	v_lshlrev_b32_e64 v89, v76, 0x80000
	s_delay_alu instid0(VALU_DEP_4) | instskip(NEXT) | instid1(VALU_DEP_4)
	v_add_nc_u32_e32 v76, v76, v74
	v_and_b32_e32 v75, v78, v75
	s_delay_alu instid0(VALU_DEP_4) | instskip(NEXT) | instid1(VALU_DEP_2)
	v_bfe_u32 v88, v79, 20, 1
	v_cmp_eq_u32_e64 s13, v75, v89
	s_delay_alu instid0(VALU_DEP_2) | instskip(NEXT) | instid1(VALU_DEP_1)
	v_add_nc_u32_e32 v78, -1, v88
	v_cndmask_b32_e64 v75, 0, v78, s13
	v_lshrrev_b32_e32 v78, 23, v79
	s_mov_b32 s13, exec_lo
	s_delay_alu instid0(VALU_DEP_2) | instskip(NEXT) | instid1(VALU_DEP_2)
	v_add_nc_u32_e32 v75, v75, v79
	v_xor_b32_e32 v78, 1, v78
	s_delay_alu instid0(VALU_DEP_2) | instskip(NEXT) | instid1(VALU_DEP_1)
	v_and_b32_e32 v74, 0xfffff, v75
	v_add_nc_u32_e32 v75, v74, v79
                                        ; implicit-def: $vgpr74
	s_delay_alu instid0(VALU_DEP_3)
	v_cmpx_ne_u32_e64 v76, v78
	s_xor_b32 s13, exec_lo, s13
; %bb.1520:                             ;   in Loop: Header=BB6_394 Depth=4
	s_delay_alu instid0(VALU_DEP_2) | instskip(SKIP_2) | instid1(VALU_DEP_2)
	v_cmp_lt_u32_e32 vcc_lo, 0xffffff, v75
	v_sub_nc_u32_e32 v74, v76, v78
	v_cndmask_b32_e64 v76, 0, 1, vcc_lo
	v_add_co_ci_u32_e32 v74, vcc_lo, 0, v74, vcc_lo
	s_delay_alu instid0(VALU_DEP_2)
	v_lshrrev_b32_e32 v75, v76, v75
; %bb.1521:                             ;   in Loop: Header=BB6_394 Depth=4
	s_and_not1_saveexec_b32 s13, s13
; %bb.1522:                             ;   in Loop: Header=BB6_394 Depth=4
	s_delay_alu instid0(VALU_DEP_1)
	v_bfe_u32 v74, v75, 23, 1
; %bb.1523:                             ;   in Loop: Header=BB6_394 Depth=4
	s_or_b32 exec_lo, exec_lo, s13
	v_lshrrev_b32_e32 v75, 20, v75
	s_delay_alu instid0(VALU_DEP_2) | instskip(SKIP_2) | instid1(VALU_DEP_2)
	v_cmp_gt_i32_e32 vcc_lo, 16, v74
	v_min_i32_e32 v76, 15, v74
	v_lshrrev_b32_e32 v77, 24, v77
	v_dual_cndmask_b32 v75, 7, v75 :: v_dual_lshlrev_b32 v76, 3, v76
	s_delay_alu instid0(VALU_DEP_1) | instskip(SKIP_1) | instid1(VALU_DEP_3)
	v_or_b32_e32 v74, v74, v75
	v_and_b32_e32 v78, 7, v75
	v_and_b32_e32 v76, 0xf8, v76
	s_delay_alu instid0(VALU_DEP_3) | instskip(SKIP_1) | instid1(VALU_DEP_1)
	v_cmp_ne_u32_e32 vcc_lo, 0, v74
	v_and_b32_e32 v77, 0x80, v77
	v_or3_b32 v75, v76, v77, v78
	s_delay_alu instid0(VALU_DEP_1)
	v_cndmask_b32_e32 v74, 0, v75, vcc_lo
.LBB6_1524:                             ;   in Loop: Header=BB6_394 Depth=4
	s_or_b32 exec_lo, exec_lo, s37
.LBB6_1525:                             ;   in Loop: Header=BB6_394 Depth=4
	s_delay_alu instid0(SALU_CYCLE_1) | instskip(SKIP_3) | instid1(VALU_DEP_2)
	s_or_b32 exec_lo, exec_lo, s36
	v_lshrrev_b32_e32 v76, 24, v21
	v_lshrrev_b32_e32 v75, 24, v17
	s_and_not1_b32 vcc_lo, exec_lo, s35
	v_cmp_lt_i16_e64 s13, 0x7f, v76
	s_cbranch_vccnz .LBB6_1535
; %bb.1526:                             ;   in Loop: Header=BB6_394 Depth=4
	s_mov_b32 s36, 0
                                        ; implicit-def: $sgpr37
	s_delay_alu instid0(VALU_DEP_1) | instskip(NEXT) | instid1(SALU_CYCLE_1)
	s_and_saveexec_b32 vcc_lo, s13
	s_xor_b32 s13, exec_lo, vcc_lo
	s_cbranch_execnz .LBB6_2872
; %bb.1527:                             ;   in Loop: Header=BB6_394 Depth=4
	s_or_saveexec_b32 s13, s13
	v_mov_b32_e32 v77, s37
	s_xor_b32 exec_lo, exec_lo, s13
	s_cbranch_execnz .LBB6_2875
.LBB6_1528:                             ;   in Loop: Header=BB6_394 Depth=4
	s_or_b32 exec_lo, exec_lo, s13
	s_and_saveexec_b32 s13, s36
	s_cbranch_execz .LBB6_1530
.LBB6_1529:                             ;   in Loop: Header=BB6_394 Depth=4
	v_bfe_u32 v77, v21, 24, 3
	v_bfe_u32 v88, v21, 27, 4
	s_delay_alu instid0(VALU_DEP_2) | instskip(NEXT) | instid1(VALU_DEP_2)
	v_clz_i32_u32_e32 v78, v77
	v_cmp_eq_u32_e32 vcc_lo, 0, v88
	s_delay_alu instid0(VALU_DEP_2) | instskip(NEXT) | instid1(VALU_DEP_1)
	v_min_u32_e32 v78, 32, v78
	v_subrev_nc_u32_e32 v79, 28, v78
	v_sub_nc_u32_e32 v78, 29, v78
	s_delay_alu instid0(VALU_DEP_1) | instskip(NEXT) | instid1(VALU_DEP_1)
	v_dual_cndmask_b32 v78, v88, v78 :: v_dual_lshlrev_b32 v79, v79, v76
	v_and_b32_e32 v79, 7, v79
	s_delay_alu instid0(VALU_DEP_2) | instskip(NEXT) | instid1(VALU_DEP_2)
	v_lshl_add_u32 v78, v78, 23, 0x3b800000
	v_cndmask_b32_e32 v77, v77, v79, vcc_lo
	v_and_b32_e32 v79, 0x80000000, v21
	s_delay_alu instid0(VALU_DEP_2) | instskip(NEXT) | instid1(VALU_DEP_1)
	v_lshlrev_b32_e32 v77, 20, v77
	v_or3_b32 v77, v79, v78, v77
.LBB6_1530:                             ;   in Loop: Header=BB6_394 Depth=4
	s_or_b32 exec_lo, exec_lo, s13
	s_mov_b32 s13, 0
	s_mov_b32 s37, exec_lo
                                        ; implicit-def: $sgpr36
	v_cmpx_lt_i16_e32 0x7f, v75
	s_xor_b32 s37, exec_lo, s37
	s_cbranch_execnz .LBB6_2876
; %bb.1531:                             ;   in Loop: Header=BB6_394 Depth=4
	s_or_saveexec_b32 s37, s37
	v_mov_b32_e32 v78, s36
	s_xor_b32 exec_lo, exec_lo, s37
	s_cbranch_execnz .LBB6_2879
.LBB6_1532:                             ;   in Loop: Header=BB6_394 Depth=4
	s_or_b32 exec_lo, exec_lo, s37
	s_and_saveexec_b32 s36, s13
	s_cbranch_execz .LBB6_1534
.LBB6_1533:                             ;   in Loop: Header=BB6_394 Depth=4
	v_bfe_u32 v78, v17, 24, 3
	v_bfe_u32 v89, v17, 27, 4
	s_delay_alu instid0(VALU_DEP_2) | instskip(NEXT) | instid1(VALU_DEP_2)
	v_clz_i32_u32_e32 v79, v78
	v_cmp_eq_u32_e32 vcc_lo, 0, v89
	s_delay_alu instid0(VALU_DEP_2) | instskip(NEXT) | instid1(VALU_DEP_1)
	v_min_u32_e32 v79, 32, v79
	v_subrev_nc_u32_e32 v88, 28, v79
	v_sub_nc_u32_e32 v79, 29, v79
	s_delay_alu instid0(VALU_DEP_2) | instskip(NEXT) | instid1(VALU_DEP_1)
	v_lshlrev_b32_e32 v88, v88, v75
	v_dual_cndmask_b32 v79, v89, v79 :: v_dual_and_b32 v88, 7, v88
	s_delay_alu instid0(VALU_DEP_1) | instskip(NEXT) | instid1(VALU_DEP_2)
	v_lshl_add_u32 v79, v79, 23, 0x3b800000
	v_cndmask_b32_e32 v78, v78, v88, vcc_lo
	v_and_b32_e32 v88, 0x80000000, v17
	s_delay_alu instid0(VALU_DEP_2) | instskip(NEXT) | instid1(VALU_DEP_1)
	v_lshlrev_b32_e32 v78, 20, v78
	v_or3_b32 v78, v88, v79, v78
.LBB6_1534:                             ;   in Loop: Header=BB6_394 Depth=4
	s_or_b32 exec_lo, exec_lo, s36
	s_delay_alu instid0(VALU_DEP_1) | instskip(SKIP_1) | instid1(VALU_DEP_1)
	v_dual_max_f32 v78, v78, v78 :: v_dual_max_f32 v77, v77, v77
	s_mov_b32 s13, 0
	v_max_f32_e32 v77, v77, v78
	s_branch .LBB6_1536
.LBB6_1535:                             ;   in Loop: Header=BB6_394 Depth=4
	s_mov_b32 s13, -1
                                        ; implicit-def: $vgpr77
.LBB6_1536:                             ;   in Loop: Header=BB6_394 Depth=4
	s_delay_alu instid0(SALU_CYCLE_1)
	s_and_b32 vcc_lo, exec_lo, s13
	s_cbranch_vccz .LBB6_1546
; %bb.1537:                             ;   in Loop: Header=BB6_394 Depth=4
	s_mov_b32 s13, 0
	s_mov_b32 s37, exec_lo
                                        ; implicit-def: $sgpr36
	v_cmpx_lt_i16_e32 0x7f, v76
	s_xor_b32 s37, exec_lo, s37
	s_cbranch_execnz .LBB6_2880
; %bb.1538:                             ;   in Loop: Header=BB6_394 Depth=4
	s_or_saveexec_b32 s37, s37
	v_mov_b32_e32 v77, s36
	s_xor_b32 exec_lo, exec_lo, s37
	s_cbranch_execnz .LBB6_2883
.LBB6_1539:                             ;   in Loop: Header=BB6_394 Depth=4
	s_or_b32 exec_lo, exec_lo, s37
	s_and_saveexec_b32 s36, s13
	s_cbranch_execz .LBB6_1541
.LBB6_1540:                             ;   in Loop: Header=BB6_394 Depth=4
	v_bfe_u32 v77, v21, 24, 3
	s_delay_alu instid0(VALU_DEP_1) | instskip(NEXT) | instid1(VALU_DEP_1)
	v_clz_i32_u32_e32 v78, v77
	v_min_u32_e32 v78, 32, v78
	s_delay_alu instid0(VALU_DEP_1) | instskip(SKIP_1) | instid1(VALU_DEP_2)
	v_subrev_nc_u32_e32 v79, 28, v78
	v_sub_nc_u32_e32 v78, 29, v78
	v_lshlrev_b32_e32 v76, v79, v76
	v_bfe_u32 v79, v21, 27, 4
	v_and_b32_e32 v21, 0x80000000, v21
	s_delay_alu instid0(VALU_DEP_3) | instskip(NEXT) | instid1(VALU_DEP_3)
	v_and_b32_e32 v76, 7, v76
	v_cmp_eq_u32_e32 vcc_lo, 0, v79
	v_cndmask_b32_e32 v78, v79, v78, vcc_lo
	s_delay_alu instid0(VALU_DEP_3) | instskip(NEXT) | instid1(VALU_DEP_2)
	v_cndmask_b32_e32 v76, v77, v76, vcc_lo
	v_lshl_add_u32 v77, v78, 23, 0x3b800000
	s_delay_alu instid0(VALU_DEP_2) | instskip(NEXT) | instid1(VALU_DEP_1)
	v_lshlrev_b32_e32 v76, 20, v76
	v_or3_b32 v77, v21, v77, v76
.LBB6_1541:                             ;   in Loop: Header=BB6_394 Depth=4
	s_or_b32 exec_lo, exec_lo, s36
	s_mov_b32 s13, 0
	s_mov_b32 s37, exec_lo
                                        ; implicit-def: $sgpr36
	v_cmpx_lt_i16_e32 0x7f, v75
	s_xor_b32 s37, exec_lo, s37
	s_cbranch_execnz .LBB6_2884
; %bb.1542:                             ;   in Loop: Header=BB6_394 Depth=4
	s_or_saveexec_b32 s37, s37
	v_mov_b32_e32 v21, s36
	s_xor_b32 exec_lo, exec_lo, s37
	s_cbranch_execnz .LBB6_2887
.LBB6_1543:                             ;   in Loop: Header=BB6_394 Depth=4
	s_or_b32 exec_lo, exec_lo, s37
	s_and_saveexec_b32 s36, s13
	s_cbranch_execz .LBB6_1545
.LBB6_1544:                             ;   in Loop: Header=BB6_394 Depth=4
	v_bfe_u32 v21, v17, 24, 3
	s_delay_alu instid0(VALU_DEP_1) | instskip(NEXT) | instid1(VALU_DEP_1)
	v_clz_i32_u32_e32 v76, v21
	v_min_u32_e32 v76, 32, v76
	s_delay_alu instid0(VALU_DEP_1) | instskip(SKIP_1) | instid1(VALU_DEP_2)
	v_subrev_nc_u32_e32 v78, 28, v76
	v_sub_nc_u32_e32 v76, 29, v76
	v_lshlrev_b32_e32 v75, v78, v75
	v_bfe_u32 v78, v17, 27, 4
	v_and_b32_e32 v17, 0x80000000, v17
	s_delay_alu instid0(VALU_DEP_2) | instskip(NEXT) | instid1(VALU_DEP_4)
	v_cmp_eq_u32_e32 vcc_lo, 0, v78
	v_dual_cndmask_b32 v76, v78, v76 :: v_dual_and_b32 v75, 7, v75
	s_delay_alu instid0(VALU_DEP_1) | instskip(NEXT) | instid1(VALU_DEP_2)
	v_cndmask_b32_e32 v21, v21, v75, vcc_lo
	v_lshl_add_u32 v75, v76, 23, 0x3b800000
	s_delay_alu instid0(VALU_DEP_2) | instskip(NEXT) | instid1(VALU_DEP_1)
	v_lshlrev_b32_e32 v21, 20, v21
	v_or3_b32 v21, v17, v75, v21
.LBB6_1545:                             ;   in Loop: Header=BB6_394 Depth=4
	s_or_b32 exec_lo, exec_lo, s36
	s_delay_alu instid0(VALU_DEP_1) | instskip(SKIP_1) | instid1(VALU_DEP_1)
	v_max_f32_e32 v17, v21, v21
	v_max_f32_e32 v21, v77, v77
	v_min_f32_e32 v77, v21, v17
.LBB6_1546:                             ;   in Loop: Header=BB6_394 Depth=4
	s_delay_alu instid0(VALU_DEP_1) | instskip(NEXT) | instid1(VALU_DEP_1)
	v_and_b32_e32 v17, 0x7f800000, v77
	v_cmp_ne_u32_e32 vcc_lo, 0x7f800000, v17
	v_mov_b32_e32 v17, 0x8000
	s_and_saveexec_b32 s36, vcc_lo
	s_cbranch_execz .LBB6_1554
; %bb.1547:                             ;   in Loop: Header=BB6_394 Depth=4
	v_mov_b32_e32 v17, 0
	s_mov_b32 s37, exec_lo
	v_cmpx_ne_u32_e32 0, v77
	s_cbranch_execz .LBB6_1553
; %bb.1548:                             ;   in Loop: Header=BB6_394 Depth=4
	v_bfe_u32 v17, v77, 23, 8
	v_and_b32_e32 v21, 0x7fffff, v77
	s_delay_alu instid0(VALU_DEP_2) | instskip(SKIP_1) | instid1(VALU_DEP_3)
	v_sub_nc_u32_e32 v75, 0x78, v17
	v_cmp_gt_u32_e32 vcc_lo, 0x79, v17
	v_or_b32_e32 v76, 0x800000, v21
	s_delay_alu instid0(VALU_DEP_3) | instskip(SKIP_2) | instid1(VALU_DEP_3)
	v_cndmask_b32_e32 v75, 0, v75, vcc_lo
	v_cmp_eq_u32_e32 vcc_lo, 0, v17
	v_add_nc_u32_e32 v17, 0xffffff89, v17
	v_cndmask_b32_e64 v75, v75, 0x77, vcc_lo
	v_cndmask_b32_e32 v21, v76, v21, vcc_lo
	s_delay_alu instid0(VALU_DEP_3) | instskip(NEXT) | instid1(VALU_DEP_3)
	v_cndmask_b32_e64 v17, v17, 0xffffff8a, vcc_lo
	v_lshl_add_u32 v76, 0x100000, v75, -1
	s_delay_alu instid0(VALU_DEP_3) | instskip(SKIP_1) | instid1(VALU_DEP_4)
	v_lshrrev_b32_e32 v78, v75, v21
	v_lshlrev_b32_e64 v88, v75, 0x80000
	v_add_nc_u32_e32 v75, v75, v17
	s_delay_alu instid0(VALU_DEP_4) | instskip(NEXT) | instid1(VALU_DEP_4)
	v_and_b32_e32 v21, v76, v21
	v_bfe_u32 v79, v78, 20, 1
	s_delay_alu instid0(VALU_DEP_2) | instskip(NEXT) | instid1(VALU_DEP_2)
	v_cmp_eq_u32_e64 s13, v21, v88
	v_add_nc_u32_e32 v76, -1, v79
	s_delay_alu instid0(VALU_DEP_1) | instskip(SKIP_2) | instid1(VALU_DEP_2)
	v_cndmask_b32_e64 v21, 0, v76, s13
	v_lshrrev_b32_e32 v76, 23, v78
	s_mov_b32 s13, exec_lo
	v_add_nc_u32_e32 v21, v21, v78
	s_delay_alu instid0(VALU_DEP_2) | instskip(NEXT) | instid1(VALU_DEP_2)
	v_xor_b32_e32 v76, 1, v76
	v_and_b32_e32 v17, 0xfffff, v21
	s_delay_alu instid0(VALU_DEP_1) | instskip(NEXT) | instid1(VALU_DEP_3)
	v_add_nc_u32_e32 v21, v17, v78
                                        ; implicit-def: $vgpr17
	v_cmpx_ne_u32_e64 v75, v76
	s_xor_b32 s13, exec_lo, s13
; %bb.1549:                             ;   in Loop: Header=BB6_394 Depth=4
	s_delay_alu instid0(VALU_DEP_2) | instskip(SKIP_2) | instid1(VALU_DEP_2)
	v_cmp_lt_u32_e32 vcc_lo, 0xffffff, v21
	v_sub_nc_u32_e32 v17, v75, v76
	v_cndmask_b32_e64 v75, 0, 1, vcc_lo
	v_add_co_ci_u32_e32 v17, vcc_lo, 0, v17, vcc_lo
	s_delay_alu instid0(VALU_DEP_2)
	v_lshrrev_b32_e32 v21, v75, v21
; %bb.1550:                             ;   in Loop: Header=BB6_394 Depth=4
	s_and_not1_saveexec_b32 s13, s13
; %bb.1551:                             ;   in Loop: Header=BB6_394 Depth=4
	s_delay_alu instid0(VALU_DEP_1)
	v_bfe_u32 v17, v21, 23, 1
; %bb.1552:                             ;   in Loop: Header=BB6_394 Depth=4
	s_or_b32 exec_lo, exec_lo, s13
	v_lshrrev_b32_e32 v21, 20, v21
	s_delay_alu instid0(VALU_DEP_2) | instskip(SKIP_2) | instid1(VALU_DEP_3)
	v_min_i32_e32 v75, 15, v17
	v_cmp_gt_i32_e32 vcc_lo, 16, v17
	v_lshrrev_b32_e32 v76, 24, v77
	v_lshlrev_b32_e32 v75, 3, v75
	s_delay_alu instid0(VALU_DEP_2) | instskip(NEXT) | instid1(VALU_DEP_2)
	v_dual_cndmask_b32 v21, 7, v21 :: v_dual_and_b32 v76, 0x80, v76
	v_and_b32_e32 v75, 0xf8, v75
	s_delay_alu instid0(VALU_DEP_2) | instskip(SKIP_1) | instid1(VALU_DEP_2)
	v_and_b32_e32 v77, 7, v21
	v_or_b32_e32 v17, v17, v21
	v_or3_b32 v75, v76, v75, v77
	s_delay_alu instid0(VALU_DEP_2) | instskip(NEXT) | instid1(VALU_DEP_2)
	v_cmp_ne_u32_e32 vcc_lo, 0, v17
	v_lshlrev_b32_e32 v21, 8, v75
	s_delay_alu instid0(VALU_DEP_1)
	v_cndmask_b32_e32 v17, 0, v21, vcc_lo
.LBB6_1553:                             ;   in Loop: Header=BB6_394 Depth=4
	s_or_b32 exec_lo, exec_lo, s37
.LBB6_1554:                             ;   in Loop: Header=BB6_394 Depth=4
	s_delay_alu instid0(SALU_CYCLE_1) | instskip(SKIP_2) | instid1(VALU_DEP_1)
	s_or_b32 exec_lo, exec_lo, s36
	v_and_b32_e32 v21, 0xff, v22
	s_and_not1_b32 vcc_lo, exec_lo, s35
	v_cmp_lt_i16_e64 s13, 0x7f, v21
	s_cbranch_vccnz .LBB6_1564
; %bb.1555:                             ;   in Loop: Header=BB6_394 Depth=4
	s_mov_b32 s36, 0
                                        ; implicit-def: $sgpr37
	s_delay_alu instid0(VALU_DEP_1) | instskip(NEXT) | instid1(SALU_CYCLE_1)
	s_and_saveexec_b32 vcc_lo, s13
	s_xor_b32 s13, exec_lo, vcc_lo
	s_cbranch_execnz .LBB6_2888
; %bb.1556:                             ;   in Loop: Header=BB6_394 Depth=4
	s_or_saveexec_b32 s13, s13
	v_mov_b32_e32 v75, s37
	s_xor_b32 exec_lo, exec_lo, s13
	s_cbranch_execnz .LBB6_2891
.LBB6_1557:                             ;   in Loop: Header=BB6_394 Depth=4
	s_or_b32 exec_lo, exec_lo, s13
	s_and_saveexec_b32 s13, s36
	s_cbranch_execz .LBB6_1559
.LBB6_1558:                             ;   in Loop: Header=BB6_394 Depth=4
	v_bfe_u32 v78, v22, 3, 4
	v_lshlrev_b32_e32 v79, 24, v22
	s_delay_alu instid0(VALU_DEP_2) | instskip(SKIP_1) | instid1(VALU_DEP_1)
	v_cmp_eq_u32_e32 vcc_lo, 0, v78
	v_and_b32_e32 v75, 7, v22
	v_clz_i32_u32_e32 v76, v75
	s_delay_alu instid0(VALU_DEP_1) | instskip(NEXT) | instid1(VALU_DEP_1)
	v_min_u32_e32 v76, 32, v76
	v_subrev_nc_u32_e32 v77, 28, v76
	v_sub_nc_u32_e32 v76, 29, v76
	s_delay_alu instid0(VALU_DEP_1) | instskip(NEXT) | instid1(VALU_DEP_1)
	v_dual_cndmask_b32 v76, v78, v76 :: v_dual_lshlrev_b32 v77, v77, v22
	v_and_b32_e32 v77, 7, v77
	s_delay_alu instid0(VALU_DEP_2) | instskip(NEXT) | instid1(VALU_DEP_2)
	v_lshl_add_u32 v76, v76, 23, 0x3b800000
	v_cndmask_b32_e32 v75, v75, v77, vcc_lo
	v_and_b32_e32 v77, 0x80000000, v79
	s_delay_alu instid0(VALU_DEP_2) | instskip(NEXT) | instid1(VALU_DEP_1)
	v_lshlrev_b32_e32 v75, 20, v75
	v_or3_b32 v75, v77, v76, v75
.LBB6_1559:                             ;   in Loop: Header=BB6_394 Depth=4
	s_or_b32 exec_lo, exec_lo, s13
	v_and_b32_e32 v77, 0xff, v18
	s_mov_b32 s13, 0
	s_mov_b32 s37, exec_lo
                                        ; implicit-def: $sgpr36
	s_delay_alu instid0(VALU_DEP_1)
	v_cmpx_lt_i16_e32 0x7f, v77
	s_xor_b32 s37, exec_lo, s37
	s_cbranch_execnz .LBB6_2892
; %bb.1560:                             ;   in Loop: Header=BB6_394 Depth=4
	s_or_saveexec_b32 s37, s37
	v_mov_b32_e32 v76, s36
	s_xor_b32 exec_lo, exec_lo, s37
	s_cbranch_execnz .LBB6_2895
.LBB6_1561:                             ;   in Loop: Header=BB6_394 Depth=4
	s_or_b32 exec_lo, exec_lo, s37
	s_and_saveexec_b32 s36, s13
	s_cbranch_execz .LBB6_1563
.LBB6_1562:                             ;   in Loop: Header=BB6_394 Depth=4
	v_bfe_u32 v79, v18, 3, 4
	v_lshlrev_b32_e32 v88, 24, v18
	s_delay_alu instid0(VALU_DEP_2) | instskip(SKIP_1) | instid1(VALU_DEP_1)
	v_cmp_eq_u32_e32 vcc_lo, 0, v79
	v_and_b32_e32 v76, 7, v18
	v_clz_i32_u32_e32 v77, v76
	s_delay_alu instid0(VALU_DEP_1) | instskip(NEXT) | instid1(VALU_DEP_1)
	v_min_u32_e32 v77, 32, v77
	v_subrev_nc_u32_e32 v78, 28, v77
	v_sub_nc_u32_e32 v77, 29, v77
	s_delay_alu instid0(VALU_DEP_1) | instskip(NEXT) | instid1(VALU_DEP_1)
	v_dual_cndmask_b32 v77, v79, v77 :: v_dual_lshlrev_b32 v78, v78, v18
	v_and_b32_e32 v78, 7, v78
	s_delay_alu instid0(VALU_DEP_2) | instskip(NEXT) | instid1(VALU_DEP_2)
	v_lshl_add_u32 v77, v77, 23, 0x3b800000
	v_cndmask_b32_e32 v76, v76, v78, vcc_lo
	v_and_b32_e32 v78, 0x80000000, v88
	s_delay_alu instid0(VALU_DEP_2) | instskip(NEXT) | instid1(VALU_DEP_1)
	v_lshlrev_b32_e32 v76, 20, v76
	v_or3_b32 v76, v78, v77, v76
.LBB6_1563:                             ;   in Loop: Header=BB6_394 Depth=4
	s_or_b32 exec_lo, exec_lo, s36
	s_delay_alu instid0(VALU_DEP_1) | instskip(SKIP_1) | instid1(VALU_DEP_1)
	v_dual_max_f32 v76, v76, v76 :: v_dual_max_f32 v75, v75, v75
	s_mov_b32 s13, 0
	v_max_f32_e32 v75, v75, v76
	s_branch .LBB6_1565
.LBB6_1564:                             ;   in Loop: Header=BB6_394 Depth=4
	s_mov_b32 s13, -1
                                        ; implicit-def: $vgpr75
.LBB6_1565:                             ;   in Loop: Header=BB6_394 Depth=4
	s_delay_alu instid0(SALU_CYCLE_1)
	s_and_b32 vcc_lo, exec_lo, s13
	s_cbranch_vccz .LBB6_1575
; %bb.1566:                             ;   in Loop: Header=BB6_394 Depth=4
	s_mov_b32 s13, 0
	s_mov_b32 s37, exec_lo
                                        ; implicit-def: $sgpr36
	v_cmpx_lt_i16_e32 0x7f, v21
	s_xor_b32 s37, exec_lo, s37
	s_cbranch_execnz .LBB6_2896
; %bb.1567:                             ;   in Loop: Header=BB6_394 Depth=4
	s_or_saveexec_b32 s37, s37
	v_mov_b32_e32 v75, s36
	s_xor_b32 exec_lo, exec_lo, s37
	s_cbranch_execnz .LBB6_2899
.LBB6_1568:                             ;   in Loop: Header=BB6_394 Depth=4
	s_or_b32 exec_lo, exec_lo, s37
	s_and_saveexec_b32 s36, s13
	s_cbranch_execz .LBB6_1570
.LBB6_1569:                             ;   in Loop: Header=BB6_394 Depth=4
	v_and_b32_e32 v21, 7, v22
	v_bfe_u32 v77, v22, 3, 4
	s_delay_alu instid0(VALU_DEP_2) | instskip(NEXT) | instid1(VALU_DEP_2)
	v_clz_i32_u32_e32 v75, v21
	v_cmp_eq_u32_e32 vcc_lo, 0, v77
	s_delay_alu instid0(VALU_DEP_2) | instskip(NEXT) | instid1(VALU_DEP_1)
	v_min_u32_e32 v75, 32, v75
	v_subrev_nc_u32_e32 v76, 28, v75
	v_sub_nc_u32_e32 v75, 29, v75
	s_delay_alu instid0(VALU_DEP_1) | instskip(NEXT) | instid1(VALU_DEP_1)
	v_dual_cndmask_b32 v75, v77, v75 :: v_dual_lshlrev_b32 v76, v76, v22
	v_and_b32_e32 v76, 7, v76
	v_lshlrev_b32_e32 v78, 24, v22
	s_delay_alu instid0(VALU_DEP_3) | instskip(NEXT) | instid1(VALU_DEP_2)
	v_lshl_add_u32 v75, v75, 23, 0x3b800000
	v_dual_cndmask_b32 v21, v21, v76 :: v_dual_and_b32 v76, 0x80000000, v78
	s_delay_alu instid0(VALU_DEP_1) | instskip(NEXT) | instid1(VALU_DEP_1)
	v_lshlrev_b32_e32 v21, 20, v21
	v_or3_b32 v75, v76, v75, v21
.LBB6_1570:                             ;   in Loop: Header=BB6_394 Depth=4
	s_or_b32 exec_lo, exec_lo, s36
	v_and_b32_e32 v76, 0xff, v18
	s_mov_b32 s13, 0
	s_mov_b32 s37, exec_lo
                                        ; implicit-def: $sgpr36
	s_delay_alu instid0(VALU_DEP_1)
	v_cmpx_lt_i16_e32 0x7f, v76
	s_xor_b32 s37, exec_lo, s37
	s_cbranch_execnz .LBB6_2900
; %bb.1571:                             ;   in Loop: Header=BB6_394 Depth=4
	s_or_saveexec_b32 s37, s37
	v_mov_b32_e32 v21, s36
	s_xor_b32 exec_lo, exec_lo, s37
	s_cbranch_execnz .LBB6_2903
.LBB6_1572:                             ;   in Loop: Header=BB6_394 Depth=4
	s_or_b32 exec_lo, exec_lo, s37
	s_and_saveexec_b32 s36, s13
	s_cbranch_execz .LBB6_1574
.LBB6_1573:                             ;   in Loop: Header=BB6_394 Depth=4
	v_bfe_u32 v78, v18, 3, 4
	v_lshlrev_b32_e32 v79, 24, v18
	s_delay_alu instid0(VALU_DEP_2) | instskip(SKIP_1) | instid1(VALU_DEP_1)
	v_cmp_eq_u32_e32 vcc_lo, 0, v78
	v_and_b32_e32 v21, 7, v18
	v_clz_i32_u32_e32 v76, v21
	s_delay_alu instid0(VALU_DEP_1) | instskip(NEXT) | instid1(VALU_DEP_1)
	v_min_u32_e32 v76, 32, v76
	v_subrev_nc_u32_e32 v77, 28, v76
	v_sub_nc_u32_e32 v76, 29, v76
	s_delay_alu instid0(VALU_DEP_1) | instskip(NEXT) | instid1(VALU_DEP_1)
	v_dual_cndmask_b32 v76, v78, v76 :: v_dual_lshlrev_b32 v77, v77, v18
	v_and_b32_e32 v77, 7, v77
	s_delay_alu instid0(VALU_DEP_2) | instskip(NEXT) | instid1(VALU_DEP_2)
	v_lshl_add_u32 v76, v76, 23, 0x3b800000
	v_cndmask_b32_e32 v21, v21, v77, vcc_lo
	v_and_b32_e32 v77, 0x80000000, v79
	s_delay_alu instid0(VALU_DEP_2) | instskip(NEXT) | instid1(VALU_DEP_1)
	v_lshlrev_b32_e32 v21, 20, v21
	v_or3_b32 v21, v77, v76, v21
.LBB6_1574:                             ;   in Loop: Header=BB6_394 Depth=4
	s_or_b32 exec_lo, exec_lo, s36
	s_delay_alu instid0(VALU_DEP_1) | instskip(SKIP_1) | instid1(VALU_DEP_1)
	v_max_f32_e32 v21, v21, v21
	v_max_f32_e32 v75, v75, v75
	v_min_f32_e32 v75, v75, v21
.LBB6_1575:                             ;   in Loop: Header=BB6_394 Depth=4
	s_delay_alu instid0(VALU_DEP_1) | instskip(NEXT) | instid1(VALU_DEP_1)
	v_and_b32_e32 v21, 0x7f800000, v75
	v_cmp_ne_u32_e32 vcc_lo, 0x7f800000, v21
	v_mov_b32_e32 v21, 0x80
	s_and_saveexec_b32 s36, vcc_lo
	s_cbranch_execz .LBB6_1583
; %bb.1576:                             ;   in Loop: Header=BB6_394 Depth=4
	v_mov_b32_e32 v21, 0
	s_mov_b32 s37, exec_lo
	v_cmpx_ne_u32_e32 0, v75
	s_cbranch_execz .LBB6_1582
; %bb.1577:                             ;   in Loop: Header=BB6_394 Depth=4
	v_bfe_u32 v21, v75, 23, 8
	s_delay_alu instid0(VALU_DEP_1) | instskip(SKIP_1) | instid1(VALU_DEP_2)
	v_sub_nc_u32_e32 v77, 0x78, v21
	v_cmp_gt_u32_e32 vcc_lo, 0x79, v21
	v_dual_cndmask_b32 v77, 0, v77 :: v_dual_and_b32 v76, 0x7fffff, v75
	s_delay_alu instid0(VALU_DEP_1) | instskip(SKIP_2) | instid1(VALU_DEP_4)
	v_or_b32_e32 v78, 0x800000, v76
	v_cmp_eq_u32_e32 vcc_lo, 0, v21
	v_add_nc_u32_e32 v21, 0xffffff89, v21
	v_cndmask_b32_e64 v77, v77, 0x77, vcc_lo
	s_delay_alu instid0(VALU_DEP_4) | instskip(NEXT) | instid1(VALU_DEP_3)
	v_cndmask_b32_e32 v76, v78, v76, vcc_lo
	v_cndmask_b32_e64 v21, v21, 0xffffff8a, vcc_lo
	s_delay_alu instid0(VALU_DEP_3) | instskip(NEXT) | instid1(VALU_DEP_3)
	v_lshl_add_u32 v78, 0x100000, v77, -1
	v_lshrrev_b32_e32 v79, v77, v76
	v_lshlrev_b32_e64 v89, v77, 0x80000
	s_delay_alu instid0(VALU_DEP_4) | instskip(NEXT) | instid1(VALU_DEP_4)
	v_add_nc_u32_e32 v77, v77, v21
	v_and_b32_e32 v76, v78, v76
	s_delay_alu instid0(VALU_DEP_4) | instskip(NEXT) | instid1(VALU_DEP_2)
	v_bfe_u32 v88, v79, 20, 1
	v_cmp_eq_u32_e64 s13, v76, v89
	s_delay_alu instid0(VALU_DEP_2) | instskip(NEXT) | instid1(VALU_DEP_1)
	v_add_nc_u32_e32 v78, -1, v88
	v_cndmask_b32_e64 v76, 0, v78, s13
	v_lshrrev_b32_e32 v78, 23, v79
	s_mov_b32 s13, exec_lo
	s_delay_alu instid0(VALU_DEP_2) | instskip(NEXT) | instid1(VALU_DEP_2)
	v_add_nc_u32_e32 v76, v76, v79
	v_xor_b32_e32 v78, 1, v78
	s_delay_alu instid0(VALU_DEP_2) | instskip(NEXT) | instid1(VALU_DEP_1)
	v_and_b32_e32 v21, 0xfffff, v76
	v_add_nc_u32_e32 v76, v21, v79
                                        ; implicit-def: $vgpr21
	s_delay_alu instid0(VALU_DEP_3)
	v_cmpx_ne_u32_e64 v77, v78
	s_xor_b32 s13, exec_lo, s13
; %bb.1578:                             ;   in Loop: Header=BB6_394 Depth=4
	s_delay_alu instid0(VALU_DEP_2) | instskip(SKIP_2) | instid1(VALU_DEP_2)
	v_cmp_lt_u32_e32 vcc_lo, 0xffffff, v76
	v_sub_nc_u32_e32 v21, v77, v78
	v_cndmask_b32_e64 v77, 0, 1, vcc_lo
	v_add_co_ci_u32_e32 v21, vcc_lo, 0, v21, vcc_lo
	s_delay_alu instid0(VALU_DEP_2)
	v_lshrrev_b32_e32 v76, v77, v76
; %bb.1579:                             ;   in Loop: Header=BB6_394 Depth=4
	s_and_not1_saveexec_b32 s13, s13
; %bb.1580:                             ;   in Loop: Header=BB6_394 Depth=4
	s_delay_alu instid0(VALU_DEP_1)
	v_bfe_u32 v21, v76, 23, 1
; %bb.1581:                             ;   in Loop: Header=BB6_394 Depth=4
	s_or_b32 exec_lo, exec_lo, s13
	v_lshrrev_b32_e32 v76, 20, v76
	s_delay_alu instid0(VALU_DEP_2) | instskip(SKIP_2) | instid1(VALU_DEP_2)
	v_cmp_gt_i32_e32 vcc_lo, 16, v21
	v_lshrrev_b32_e32 v75, 24, v75
	v_min_i32_e32 v77, 15, v21
	v_dual_cndmask_b32 v76, 7, v76 :: v_dual_and_b32 v75, 0x80, v75
	s_delay_alu instid0(VALU_DEP_2) | instskip(NEXT) | instid1(VALU_DEP_2)
	v_lshlrev_b32_e32 v77, 3, v77
	v_or_b32_e32 v21, v21, v76
	s_delay_alu instid0(VALU_DEP_1) | instskip(SKIP_1) | instid1(VALU_DEP_1)
	v_cmp_ne_u32_e32 vcc_lo, 0, v21
	v_and_b32_e32 v78, 7, v76
	v_or3_b32 v75, v77, v75, v78
	s_delay_alu instid0(VALU_DEP_1)
	v_cndmask_b32_e32 v21, 0, v75, vcc_lo
.LBB6_1582:                             ;   in Loop: Header=BB6_394 Depth=4
	s_or_b32 exec_lo, exec_lo, s37
.LBB6_1583:                             ;   in Loop: Header=BB6_394 Depth=4
	s_delay_alu instid0(SALU_CYCLE_1) | instskip(SKIP_3) | instid1(VALU_DEP_2)
	s_or_b32 exec_lo, exec_lo, s36
	v_lshrrev_b16 v76, 8, v22
	v_lshrrev_b16 v75, 8, v18
	s_and_not1_b32 vcc_lo, exec_lo, s35
	v_cmp_lt_i16_e64 s13, 0x7f, v76
	s_cbranch_vccnz .LBB6_1593
; %bb.1584:                             ;   in Loop: Header=BB6_394 Depth=4
	s_mov_b32 s36, 0
                                        ; implicit-def: $sgpr37
	s_delay_alu instid0(VALU_DEP_1) | instskip(NEXT) | instid1(SALU_CYCLE_1)
	s_and_saveexec_b32 vcc_lo, s13
	s_xor_b32 s13, exec_lo, vcc_lo
	s_cbranch_execnz .LBB6_2904
; %bb.1585:                             ;   in Loop: Header=BB6_394 Depth=4
	s_or_saveexec_b32 s13, s13
	v_mov_b32_e32 v77, s37
	s_xor_b32 exec_lo, exec_lo, s13
	s_cbranch_execnz .LBB6_2907
.LBB6_1586:                             ;   in Loop: Header=BB6_394 Depth=4
	s_or_b32 exec_lo, exec_lo, s13
	s_and_saveexec_b32 s13, s36
	s_cbranch_execz .LBB6_1588
.LBB6_1587:                             ;   in Loop: Header=BB6_394 Depth=4
	v_and_b32_e32 v77, 0xffff, v76
	s_delay_alu instid0(VALU_DEP_1) | instskip(NEXT) | instid1(VALU_DEP_1)
	v_and_b32_e32 v78, 7, v77
	v_clz_i32_u32_e32 v79, v78
	s_delay_alu instid0(VALU_DEP_1) | instskip(NEXT) | instid1(VALU_DEP_1)
	v_min_u32_e32 v79, 32, v79
	v_subrev_nc_u32_e32 v88, 28, v79
	v_sub_nc_u32_e32 v79, 29, v79
	s_delay_alu instid0(VALU_DEP_2) | instskip(SKIP_1) | instid1(VALU_DEP_2)
	v_lshlrev_b32_e32 v88, v88, v77
	v_bfe_u32 v77, v77, 3, 4
	v_and_b32_e32 v88, 7, v88
	s_delay_alu instid0(VALU_DEP_2) | instskip(SKIP_1) | instid1(VALU_DEP_3)
	v_cmp_eq_u32_e32 vcc_lo, 0, v77
	v_cndmask_b32_e32 v77, v77, v79, vcc_lo
	v_dual_cndmask_b32 v78, v78, v88 :: v_dual_lshlrev_b32 v89, 16, v22
	s_delay_alu instid0(VALU_DEP_2) | instskip(NEXT) | instid1(VALU_DEP_2)
	v_lshl_add_u32 v77, v77, 23, 0x3b800000
	v_and_b32_e32 v79, 0x80000000, v89
	s_delay_alu instid0(VALU_DEP_3) | instskip(NEXT) | instid1(VALU_DEP_1)
	v_lshlrev_b32_e32 v78, 20, v78
	v_or3_b32 v77, v79, v77, v78
.LBB6_1588:                             ;   in Loop: Header=BB6_394 Depth=4
	s_or_b32 exec_lo, exec_lo, s13
	s_mov_b32 s13, 0
	s_mov_b32 s37, exec_lo
                                        ; implicit-def: $sgpr36
	v_cmpx_lt_i16_e32 0x7f, v75
	s_xor_b32 s37, exec_lo, s37
	s_cbranch_execnz .LBB6_2908
; %bb.1589:                             ;   in Loop: Header=BB6_394 Depth=4
	s_or_saveexec_b32 s37, s37
	v_mov_b32_e32 v78, s36
	s_xor_b32 exec_lo, exec_lo, s37
	s_cbranch_execnz .LBB6_2911
.LBB6_1590:                             ;   in Loop: Header=BB6_394 Depth=4
	s_or_b32 exec_lo, exec_lo, s37
	s_and_saveexec_b32 s36, s13
	s_cbranch_execz .LBB6_1592
.LBB6_1591:                             ;   in Loop: Header=BB6_394 Depth=4
	v_and_b32_e32 v78, 0xffff, v75
	v_lshlrev_b32_e32 v90, 16, v18
	s_delay_alu instid0(VALU_DEP_2) | instskip(NEXT) | instid1(VALU_DEP_1)
	v_and_b32_e32 v79, 7, v78
	v_clz_i32_u32_e32 v88, v79
	s_delay_alu instid0(VALU_DEP_1) | instskip(NEXT) | instid1(VALU_DEP_1)
	v_min_u32_e32 v88, 32, v88
	v_subrev_nc_u32_e32 v89, 28, v88
	v_sub_nc_u32_e32 v88, 29, v88
	s_delay_alu instid0(VALU_DEP_2) | instskip(SKIP_1) | instid1(VALU_DEP_2)
	v_lshlrev_b32_e32 v89, v89, v78
	v_bfe_u32 v78, v78, 3, 4
	v_and_b32_e32 v89, 7, v89
	s_delay_alu instid0(VALU_DEP_2) | instskip(NEXT) | instid1(VALU_DEP_2)
	v_cmp_eq_u32_e32 vcc_lo, 0, v78
	v_dual_cndmask_b32 v78, v78, v88 :: v_dual_cndmask_b32 v79, v79, v89
	v_and_b32_e32 v88, 0x80000000, v90
	s_delay_alu instid0(VALU_DEP_2) | instskip(NEXT) | instid1(VALU_DEP_3)
	v_lshl_add_u32 v78, v78, 23, 0x3b800000
	v_lshlrev_b32_e32 v79, 20, v79
	s_delay_alu instid0(VALU_DEP_1)
	v_or3_b32 v78, v88, v78, v79
.LBB6_1592:                             ;   in Loop: Header=BB6_394 Depth=4
	s_or_b32 exec_lo, exec_lo, s36
	s_delay_alu instid0(VALU_DEP_1) | instskip(SKIP_1) | instid1(VALU_DEP_1)
	v_dual_max_f32 v78, v78, v78 :: v_dual_max_f32 v77, v77, v77
	s_mov_b32 s13, 0
	v_max_f32_e32 v77, v77, v78
	s_branch .LBB6_1594
.LBB6_1593:                             ;   in Loop: Header=BB6_394 Depth=4
	s_mov_b32 s13, -1
                                        ; implicit-def: $vgpr77
.LBB6_1594:                             ;   in Loop: Header=BB6_394 Depth=4
	s_delay_alu instid0(SALU_CYCLE_1)
	s_and_b32 vcc_lo, exec_lo, s13
	s_cbranch_vccz .LBB6_1604
; %bb.1595:                             ;   in Loop: Header=BB6_394 Depth=4
	s_mov_b32 s13, 0
	s_mov_b32 s37, exec_lo
                                        ; implicit-def: $sgpr36
	v_cmpx_lt_i16_e32 0x7f, v76
	s_xor_b32 s37, exec_lo, s37
	s_cbranch_execnz .LBB6_2912
; %bb.1596:                             ;   in Loop: Header=BB6_394 Depth=4
	s_or_saveexec_b32 s37, s37
	v_mov_b32_e32 v77, s36
	s_xor_b32 exec_lo, exec_lo, s37
	s_cbranch_execnz .LBB6_2915
.LBB6_1597:                             ;   in Loop: Header=BB6_394 Depth=4
	s_or_b32 exec_lo, exec_lo, s37
	s_and_saveexec_b32 s36, s13
	s_cbranch_execz .LBB6_1599
.LBB6_1598:                             ;   in Loop: Header=BB6_394 Depth=4
	v_and_b32_e32 v76, 0xffff, v76
	v_lshlrev_b32_e32 v88, 16, v22
	s_delay_alu instid0(VALU_DEP_2) | instskip(NEXT) | instid1(VALU_DEP_1)
	v_and_b32_e32 v77, 7, v76
	v_clz_i32_u32_e32 v78, v77
	s_delay_alu instid0(VALU_DEP_1) | instskip(NEXT) | instid1(VALU_DEP_1)
	v_min_u32_e32 v78, 32, v78
	v_subrev_nc_u32_e32 v79, 28, v78
	v_sub_nc_u32_e32 v78, 29, v78
	s_delay_alu instid0(VALU_DEP_2) | instskip(SKIP_1) | instid1(VALU_DEP_2)
	v_lshlrev_b32_e32 v79, v79, v76
	v_bfe_u32 v76, v76, 3, 4
	v_and_b32_e32 v79, 7, v79
	s_delay_alu instid0(VALU_DEP_2) | instskip(NEXT) | instid1(VALU_DEP_2)
	v_cmp_eq_u32_e32 vcc_lo, 0, v76
	v_dual_cndmask_b32 v76, v76, v78 :: v_dual_cndmask_b32 v77, v77, v79
	v_and_b32_e32 v78, 0x80000000, v88
	s_delay_alu instid0(VALU_DEP_2) | instskip(NEXT) | instid1(VALU_DEP_3)
	v_lshl_add_u32 v76, v76, 23, 0x3b800000
	v_lshlrev_b32_e32 v77, 20, v77
	s_delay_alu instid0(VALU_DEP_1)
	v_or3_b32 v77, v78, v76, v77
.LBB6_1599:                             ;   in Loop: Header=BB6_394 Depth=4
	s_or_b32 exec_lo, exec_lo, s36
	s_mov_b32 s13, 0
	s_mov_b32 s37, exec_lo
                                        ; implicit-def: $sgpr36
	v_cmpx_lt_i16_e32 0x7f, v75
	s_xor_b32 s37, exec_lo, s37
	s_cbranch_execnz .LBB6_2916
; %bb.1600:                             ;   in Loop: Header=BB6_394 Depth=4
	s_or_saveexec_b32 s37, s37
	v_mov_b32_e32 v76, s36
	s_xor_b32 exec_lo, exec_lo, s37
	s_cbranch_execnz .LBB6_2919
.LBB6_1601:                             ;   in Loop: Header=BB6_394 Depth=4
	s_or_b32 exec_lo, exec_lo, s37
	s_and_saveexec_b32 s36, s13
	s_cbranch_execz .LBB6_1603
.LBB6_1602:                             ;   in Loop: Header=BB6_394 Depth=4
	v_and_b32_e32 v75, 0xffff, v75
	v_lshlrev_b32_e32 v88, 16, v18
	s_delay_alu instid0(VALU_DEP_2) | instskip(NEXT) | instid1(VALU_DEP_1)
	v_and_b32_e32 v76, 7, v75
	v_clz_i32_u32_e32 v78, v76
	s_delay_alu instid0(VALU_DEP_1) | instskip(NEXT) | instid1(VALU_DEP_1)
	v_min_u32_e32 v78, 32, v78
	v_subrev_nc_u32_e32 v79, 28, v78
	v_sub_nc_u32_e32 v78, 29, v78
	s_delay_alu instid0(VALU_DEP_2) | instskip(SKIP_1) | instid1(VALU_DEP_2)
	v_lshlrev_b32_e32 v79, v79, v75
	v_bfe_u32 v75, v75, 3, 4
	v_and_b32_e32 v79, 7, v79
	s_delay_alu instid0(VALU_DEP_2) | instskip(NEXT) | instid1(VALU_DEP_2)
	v_cmp_eq_u32_e32 vcc_lo, 0, v75
	v_dual_cndmask_b32 v75, v75, v78 :: v_dual_cndmask_b32 v76, v76, v79
	v_and_b32_e32 v78, 0x80000000, v88
	s_delay_alu instid0(VALU_DEP_2) | instskip(NEXT) | instid1(VALU_DEP_3)
	v_lshl_add_u32 v75, v75, 23, 0x3b800000
	v_lshlrev_b32_e32 v76, 20, v76
	s_delay_alu instid0(VALU_DEP_1)
	v_or3_b32 v76, v78, v75, v76
.LBB6_1603:                             ;   in Loop: Header=BB6_394 Depth=4
	s_or_b32 exec_lo, exec_lo, s36
	s_delay_alu instid0(VALU_DEP_1) | instskip(NEXT) | instid1(VALU_DEP_1)
	v_dual_max_f32 v75, v76, v76 :: v_dual_max_f32 v76, v77, v77
	v_min_f32_e32 v77, v76, v75
.LBB6_1604:                             ;   in Loop: Header=BB6_394 Depth=4
	s_delay_alu instid0(VALU_DEP_1) | instskip(NEXT) | instid1(VALU_DEP_1)
	v_and_b32_e32 v75, 0x7f800000, v77
	v_cmp_ne_u32_e32 vcc_lo, 0x7f800000, v75
	v_mov_b32_e32 v75, 0x80
	s_and_saveexec_b32 s36, vcc_lo
	s_cbranch_execz .LBB6_1612
; %bb.1605:                             ;   in Loop: Header=BB6_394 Depth=4
	v_mov_b32_e32 v75, 0
	s_mov_b32 s37, exec_lo
	v_cmpx_ne_u32_e32 0, v77
	s_cbranch_execz .LBB6_1611
; %bb.1606:                             ;   in Loop: Header=BB6_394 Depth=4
	v_bfe_u32 v75, v77, 23, 8
	v_and_b32_e32 v76, 0x7fffff, v77
	s_delay_alu instid0(VALU_DEP_2) | instskip(SKIP_1) | instid1(VALU_DEP_3)
	v_sub_nc_u32_e32 v78, 0x78, v75
	v_cmp_gt_u32_e32 vcc_lo, 0x79, v75
	v_or_b32_e32 v79, 0x800000, v76
	s_delay_alu instid0(VALU_DEP_3) | instskip(SKIP_2) | instid1(VALU_DEP_3)
	v_cndmask_b32_e32 v78, 0, v78, vcc_lo
	v_cmp_eq_u32_e32 vcc_lo, 0, v75
	v_add_nc_u32_e32 v75, 0xffffff89, v75
	v_cndmask_b32_e64 v78, v78, 0x77, vcc_lo
	v_cndmask_b32_e32 v76, v79, v76, vcc_lo
	s_delay_alu instid0(VALU_DEP_3) | instskip(NEXT) | instid1(VALU_DEP_3)
	v_cndmask_b32_e64 v75, v75, 0xffffff8a, vcc_lo
	v_lshl_add_u32 v79, 0x100000, v78, -1
	s_delay_alu instid0(VALU_DEP_3) | instskip(SKIP_1) | instid1(VALU_DEP_4)
	v_lshrrev_b32_e32 v88, v78, v76
	v_lshlrev_b32_e64 v90, v78, 0x80000
	v_add_nc_u32_e32 v78, v78, v75
	s_delay_alu instid0(VALU_DEP_4) | instskip(NEXT) | instid1(VALU_DEP_4)
	v_and_b32_e32 v76, v79, v76
	v_bfe_u32 v89, v88, 20, 1
	s_delay_alu instid0(VALU_DEP_2) | instskip(NEXT) | instid1(VALU_DEP_2)
	v_cmp_eq_u32_e64 s13, v76, v90
	v_add_nc_u32_e32 v79, -1, v89
	s_delay_alu instid0(VALU_DEP_1) | instskip(SKIP_2) | instid1(VALU_DEP_2)
	v_cndmask_b32_e64 v76, 0, v79, s13
	v_lshrrev_b32_e32 v79, 23, v88
	s_mov_b32 s13, exec_lo
	v_add_nc_u32_e32 v76, v76, v88
	s_delay_alu instid0(VALU_DEP_2) | instskip(NEXT) | instid1(VALU_DEP_2)
	v_xor_b32_e32 v79, 1, v79
	v_and_b32_e32 v75, 0xfffff, v76
	s_delay_alu instid0(VALU_DEP_1) | instskip(NEXT) | instid1(VALU_DEP_3)
	v_add_nc_u32_e32 v76, v75, v88
                                        ; implicit-def: $vgpr75
	v_cmpx_ne_u32_e64 v78, v79
	s_xor_b32 s13, exec_lo, s13
; %bb.1607:                             ;   in Loop: Header=BB6_394 Depth=4
	s_delay_alu instid0(VALU_DEP_2) | instskip(SKIP_2) | instid1(VALU_DEP_2)
	v_cmp_lt_u32_e32 vcc_lo, 0xffffff, v76
	v_sub_nc_u32_e32 v75, v78, v79
	v_cndmask_b32_e64 v78, 0, 1, vcc_lo
	v_add_co_ci_u32_e32 v75, vcc_lo, 0, v75, vcc_lo
	s_delay_alu instid0(VALU_DEP_2)
	v_lshrrev_b32_e32 v76, v78, v76
; %bb.1608:                             ;   in Loop: Header=BB6_394 Depth=4
	s_and_not1_saveexec_b32 s13, s13
; %bb.1609:                             ;   in Loop: Header=BB6_394 Depth=4
	s_delay_alu instid0(VALU_DEP_1)
	v_bfe_u32 v75, v76, 23, 1
; %bb.1610:                             ;   in Loop: Header=BB6_394 Depth=4
	s_or_b32 exec_lo, exec_lo, s13
	v_lshrrev_b32_e32 v76, 20, v76
	s_delay_alu instid0(VALU_DEP_2) | instskip(SKIP_2) | instid1(VALU_DEP_2)
	v_cmp_gt_i32_e32 vcc_lo, 16, v75
	v_lshrrev_b32_e32 v77, 24, v77
	v_min_i32_e32 v78, 15, v75
	v_dual_cndmask_b32 v76, 7, v76 :: v_dual_and_b32 v77, 0x80, v77
	s_delay_alu instid0(VALU_DEP_1) | instskip(SKIP_1) | instid1(VALU_DEP_2)
	v_or_b32_e32 v75, v75, v76
	v_and_b32_e32 v79, 7, v76
	v_cmp_ne_u32_e32 vcc_lo, 0, v75
	v_lshlrev_b32_e32 v78, 3, v78
	s_delay_alu instid0(VALU_DEP_1) | instskip(NEXT) | instid1(VALU_DEP_1)
	v_or3_b32 v76, v78, v77, v79
	v_cndmask_b32_e32 v75, 0, v76, vcc_lo
.LBB6_1611:                             ;   in Loop: Header=BB6_394 Depth=4
	s_or_b32 exec_lo, exec_lo, s37
.LBB6_1612:                             ;   in Loop: Header=BB6_394 Depth=4
	s_delay_alu instid0(SALU_CYCLE_1) | instskip(SKIP_3) | instid1(VALU_DEP_2)
	s_or_b32 exec_lo, exec_lo, s36
	v_lshrrev_b32_e32 v77, 16, v22
	v_lshrrev_b32_e32 v76, 16, v18
	s_and_not1_b32 vcc_lo, exec_lo, s35
	v_and_b32_e32 v78, 0xff, v77
	s_delay_alu instid0(VALU_DEP_1)
	v_cmp_lt_i16_e64 s13, 0x7f, v78
	s_cbranch_vccnz .LBB6_1622
; %bb.1613:                             ;   in Loop: Header=BB6_394 Depth=4
	s_mov_b32 s36, 0
                                        ; implicit-def: $sgpr37
	s_delay_alu instid0(VALU_DEP_1) | instskip(NEXT) | instid1(SALU_CYCLE_1)
	s_and_saveexec_b32 vcc_lo, s13
	s_xor_b32 s13, exec_lo, vcc_lo
	s_cbranch_execnz .LBB6_2920
; %bb.1614:                             ;   in Loop: Header=BB6_394 Depth=4
	s_or_saveexec_b32 s13, s13
	v_mov_b32_e32 v79, s37
	s_xor_b32 exec_lo, exec_lo, s13
	s_cbranch_execnz .LBB6_2923
.LBB6_1615:                             ;   in Loop: Header=BB6_394 Depth=4
	s_or_b32 exec_lo, exec_lo, s13
	s_and_saveexec_b32 s13, s36
	s_cbranch_execz .LBB6_1617
.LBB6_1616:                             ;   in Loop: Header=BB6_394 Depth=4
	v_bfe_u32 v79, v22, 16, 3
	v_bfe_u32 v90, v22, 19, 4
	v_lshlrev_b32_e32 v91, 24, v77
	s_delay_alu instid0(VALU_DEP_3) | instskip(NEXT) | instid1(VALU_DEP_3)
	v_clz_i32_u32_e32 v88, v79
	v_cmp_eq_u32_e32 vcc_lo, 0, v90
	s_delay_alu instid0(VALU_DEP_2) | instskip(NEXT) | instid1(VALU_DEP_1)
	v_min_u32_e32 v88, 32, v88
	v_subrev_nc_u32_e32 v89, 28, v88
	v_sub_nc_u32_e32 v88, 29, v88
	s_delay_alu instid0(VALU_DEP_1) | instskip(NEXT) | instid1(VALU_DEP_1)
	v_dual_cndmask_b32 v88, v90, v88 :: v_dual_lshlrev_b32 v89, v89, v77
	v_and_b32_e32 v89, 7, v89
	s_delay_alu instid0(VALU_DEP_2) | instskip(NEXT) | instid1(VALU_DEP_2)
	v_lshl_add_u32 v88, v88, 23, 0x3b800000
	v_cndmask_b32_e32 v79, v79, v89, vcc_lo
	v_and_b32_e32 v89, 0x80000000, v91
	s_delay_alu instid0(VALU_DEP_2) | instskip(NEXT) | instid1(VALU_DEP_1)
	v_lshlrev_b32_e32 v79, 20, v79
	v_or3_b32 v79, v89, v88, v79
.LBB6_1617:                             ;   in Loop: Header=BB6_394 Depth=4
	s_or_b32 exec_lo, exec_lo, s13
	v_and_b32_e32 v89, 0xff, v76
	s_mov_b32 s13, 0
	s_mov_b32 s37, exec_lo
                                        ; implicit-def: $sgpr36
	s_delay_alu instid0(VALU_DEP_1)
	v_cmpx_lt_i16_e32 0x7f, v89
	s_xor_b32 s37, exec_lo, s37
	s_cbranch_execnz .LBB6_2924
; %bb.1618:                             ;   in Loop: Header=BB6_394 Depth=4
	s_or_saveexec_b32 s37, s37
	v_mov_b32_e32 v88, s36
	s_xor_b32 exec_lo, exec_lo, s37
	s_cbranch_execnz .LBB6_2927
.LBB6_1619:                             ;   in Loop: Header=BB6_394 Depth=4
	s_or_b32 exec_lo, exec_lo, s37
	s_and_saveexec_b32 s36, s13
	s_cbranch_execz .LBB6_1621
.LBB6_1620:                             ;   in Loop: Header=BB6_394 Depth=4
	v_bfe_u32 v88, v18, 16, 3
	v_bfe_u32 v91, v18, 19, 4
	v_lshlrev_b32_e32 v92, 24, v76
	s_delay_alu instid0(VALU_DEP_3) | instskip(NEXT) | instid1(VALU_DEP_3)
	v_clz_i32_u32_e32 v89, v88
	v_cmp_eq_u32_e32 vcc_lo, 0, v91
	s_delay_alu instid0(VALU_DEP_2) | instskip(NEXT) | instid1(VALU_DEP_1)
	v_min_u32_e32 v89, 32, v89
	v_subrev_nc_u32_e32 v90, 28, v89
	v_sub_nc_u32_e32 v89, 29, v89
	s_delay_alu instid0(VALU_DEP_1) | instskip(NEXT) | instid1(VALU_DEP_1)
	v_dual_cndmask_b32 v89, v91, v89 :: v_dual_lshlrev_b32 v90, v90, v76
	v_and_b32_e32 v90, 7, v90
	s_delay_alu instid0(VALU_DEP_2) | instskip(NEXT) | instid1(VALU_DEP_2)
	v_lshl_add_u32 v89, v89, 23, 0x3b800000
	v_cndmask_b32_e32 v88, v88, v90, vcc_lo
	v_and_b32_e32 v90, 0x80000000, v92
	s_delay_alu instid0(VALU_DEP_2) | instskip(NEXT) | instid1(VALU_DEP_1)
	v_lshlrev_b32_e32 v88, 20, v88
	v_or3_b32 v88, v90, v89, v88
.LBB6_1621:                             ;   in Loop: Header=BB6_394 Depth=4
	s_or_b32 exec_lo, exec_lo, s36
	s_delay_alu instid0(VALU_DEP_1) | instskip(SKIP_1) | instid1(VALU_DEP_1)
	v_dual_max_f32 v88, v88, v88 :: v_dual_max_f32 v79, v79, v79
	s_mov_b32 s13, 0
	v_max_f32_e32 v79, v79, v88
	s_branch .LBB6_1623
.LBB6_1622:                             ;   in Loop: Header=BB6_394 Depth=4
	s_mov_b32 s13, -1
                                        ; implicit-def: $vgpr79
.LBB6_1623:                             ;   in Loop: Header=BB6_394 Depth=4
	s_delay_alu instid0(SALU_CYCLE_1)
	s_and_b32 vcc_lo, exec_lo, s13
	s_cbranch_vccz .LBB6_1633
; %bb.1624:                             ;   in Loop: Header=BB6_394 Depth=4
	s_mov_b32 s13, 0
	s_mov_b32 s37, exec_lo
                                        ; implicit-def: $sgpr36
	v_cmpx_lt_i16_e32 0x7f, v78
	s_xor_b32 s37, exec_lo, s37
	s_cbranch_execnz .LBB6_2928
; %bb.1625:                             ;   in Loop: Header=BB6_394 Depth=4
	s_or_saveexec_b32 s37, s37
	v_mov_b32_e32 v79, s36
	s_xor_b32 exec_lo, exec_lo, s37
	s_cbranch_execnz .LBB6_2931
.LBB6_1626:                             ;   in Loop: Header=BB6_394 Depth=4
	s_or_b32 exec_lo, exec_lo, s37
	s_and_saveexec_b32 s36, s13
	s_cbranch_execz .LBB6_1628
.LBB6_1627:                             ;   in Loop: Header=BB6_394 Depth=4
	v_bfe_u32 v78, v22, 16, 3
	v_bfe_u32 v89, v22, 19, 4
	s_delay_alu instid0(VALU_DEP_2) | instskip(NEXT) | instid1(VALU_DEP_2)
	v_clz_i32_u32_e32 v79, v78
	v_cmp_eq_u32_e32 vcc_lo, 0, v89
	s_delay_alu instid0(VALU_DEP_2) | instskip(NEXT) | instid1(VALU_DEP_1)
	v_min_u32_e32 v79, 32, v79
	v_subrev_nc_u32_e32 v88, 28, v79
	v_sub_nc_u32_e32 v79, 29, v79
	s_delay_alu instid0(VALU_DEP_1) | instskip(NEXT) | instid1(VALU_DEP_1)
	v_dual_cndmask_b32 v79, v89, v79 :: v_dual_lshlrev_b32 v88, v88, v77
	v_and_b32_e32 v88, 7, v88
	v_lshlrev_b32_e32 v77, 24, v77
	s_delay_alu instid0(VALU_DEP_3) | instskip(NEXT) | instid1(VALU_DEP_2)
	v_lshl_add_u32 v79, v79, 23, 0x3b800000
	v_dual_cndmask_b32 v78, v78, v88 :: v_dual_and_b32 v77, 0x80000000, v77
	s_delay_alu instid0(VALU_DEP_1) | instskip(NEXT) | instid1(VALU_DEP_1)
	v_lshlrev_b32_e32 v78, 20, v78
	v_or3_b32 v79, v77, v79, v78
.LBB6_1628:                             ;   in Loop: Header=BB6_394 Depth=4
	s_or_b32 exec_lo, exec_lo, s36
	v_and_b32_e32 v78, 0xff, v76
	s_mov_b32 s13, 0
	s_mov_b32 s37, exec_lo
                                        ; implicit-def: $sgpr36
	s_delay_alu instid0(VALU_DEP_1)
	v_cmpx_lt_i16_e32 0x7f, v78
	s_xor_b32 s37, exec_lo, s37
	s_cbranch_execnz .LBB6_2932
; %bb.1629:                             ;   in Loop: Header=BB6_394 Depth=4
	s_or_saveexec_b32 s37, s37
	v_mov_b32_e32 v77, s36
	s_xor_b32 exec_lo, exec_lo, s37
	s_cbranch_execnz .LBB6_2935
.LBB6_1630:                             ;   in Loop: Header=BB6_394 Depth=4
	s_or_b32 exec_lo, exec_lo, s37
	s_and_saveexec_b32 s36, s13
	s_cbranch_execz .LBB6_1632
.LBB6_1631:                             ;   in Loop: Header=BB6_394 Depth=4
	v_bfe_u32 v77, v18, 16, 3
	v_bfe_u32 v89, v18, 19, 4
	s_delay_alu instid0(VALU_DEP_2) | instskip(NEXT) | instid1(VALU_DEP_2)
	v_clz_i32_u32_e32 v78, v77
	v_cmp_eq_u32_e32 vcc_lo, 0, v89
	s_delay_alu instid0(VALU_DEP_2) | instskip(NEXT) | instid1(VALU_DEP_1)
	v_min_u32_e32 v78, 32, v78
	v_subrev_nc_u32_e32 v88, 28, v78
	v_sub_nc_u32_e32 v78, 29, v78
	s_delay_alu instid0(VALU_DEP_2) | instskip(SKIP_1) | instid1(VALU_DEP_2)
	v_lshlrev_b32_e32 v88, v88, v76
	v_lshlrev_b32_e32 v76, 24, v76
	v_and_b32_e32 v88, 7, v88
	s_delay_alu instid0(VALU_DEP_2) | instskip(NEXT) | instid1(VALU_DEP_2)
	v_and_b32_e32 v76, 0x80000000, v76
	v_cndmask_b32_e32 v77, v77, v88, vcc_lo
	s_delay_alu instid0(VALU_DEP_1) | instskip(NEXT) | instid1(VALU_DEP_1)
	v_dual_cndmask_b32 v78, v89, v78 :: v_dual_lshlrev_b32 v77, 20, v77
	v_lshl_add_u32 v78, v78, 23, 0x3b800000
	s_delay_alu instid0(VALU_DEP_1)
	v_or3_b32 v77, v76, v78, v77
.LBB6_1632:                             ;   in Loop: Header=BB6_394 Depth=4
	s_or_b32 exec_lo, exec_lo, s36
	s_delay_alu instid0(VALU_DEP_1) | instskip(NEXT) | instid1(VALU_DEP_1)
	v_dual_max_f32 v76, v77, v77 :: v_dual_max_f32 v77, v79, v79
	v_min_f32_e32 v79, v77, v76
.LBB6_1633:                             ;   in Loop: Header=BB6_394 Depth=4
	s_delay_alu instid0(VALU_DEP_1) | instskip(NEXT) | instid1(VALU_DEP_1)
	v_and_b32_e32 v76, 0x7f800000, v79
	v_cmp_ne_u32_e32 vcc_lo, 0x7f800000, v76
	v_mov_b32_e32 v76, 0x80
	s_and_saveexec_b32 s36, vcc_lo
	s_cbranch_execz .LBB6_1641
; %bb.1634:                             ;   in Loop: Header=BB6_394 Depth=4
	v_mov_b32_e32 v76, 0
	s_mov_b32 s37, exec_lo
	v_cmpx_ne_u32_e32 0, v79
	s_cbranch_execz .LBB6_1640
; %bb.1635:                             ;   in Loop: Header=BB6_394 Depth=4
	v_bfe_u32 v76, v79, 23, 8
	s_delay_alu instid0(VALU_DEP_1) | instskip(SKIP_1) | instid1(VALU_DEP_2)
	v_sub_nc_u32_e32 v78, 0x78, v76
	v_cmp_gt_u32_e32 vcc_lo, 0x79, v76
	v_dual_cndmask_b32 v78, 0, v78 :: v_dual_and_b32 v77, 0x7fffff, v79
	s_delay_alu instid0(VALU_DEP_1) | instskip(SKIP_2) | instid1(VALU_DEP_4)
	v_or_b32_e32 v88, 0x800000, v77
	v_cmp_eq_u32_e32 vcc_lo, 0, v76
	v_add_nc_u32_e32 v76, 0xffffff89, v76
	v_cndmask_b32_e64 v78, v78, 0x77, vcc_lo
	s_delay_alu instid0(VALU_DEP_4) | instskip(NEXT) | instid1(VALU_DEP_3)
	v_cndmask_b32_e32 v77, v88, v77, vcc_lo
	v_cndmask_b32_e64 v76, v76, 0xffffff8a, vcc_lo
	s_delay_alu instid0(VALU_DEP_3) | instskip(NEXT) | instid1(VALU_DEP_3)
	v_lshl_add_u32 v88, 0x100000, v78, -1
	v_lshrrev_b32_e32 v89, v78, v77
	v_lshlrev_b32_e64 v91, v78, 0x80000
	s_delay_alu instid0(VALU_DEP_4) | instskip(NEXT) | instid1(VALU_DEP_4)
	v_add_nc_u32_e32 v78, v78, v76
	v_and_b32_e32 v77, v88, v77
	s_delay_alu instid0(VALU_DEP_4) | instskip(NEXT) | instid1(VALU_DEP_2)
	v_bfe_u32 v90, v89, 20, 1
	v_cmp_eq_u32_e64 s13, v77, v91
	s_delay_alu instid0(VALU_DEP_2) | instskip(NEXT) | instid1(VALU_DEP_1)
	v_add_nc_u32_e32 v88, -1, v90
	v_cndmask_b32_e64 v77, 0, v88, s13
	v_lshrrev_b32_e32 v88, 23, v89
	s_mov_b32 s13, exec_lo
	s_delay_alu instid0(VALU_DEP_2) | instskip(NEXT) | instid1(VALU_DEP_2)
	v_add_nc_u32_e32 v77, v77, v89
	v_xor_b32_e32 v88, 1, v88
	s_delay_alu instid0(VALU_DEP_2) | instskip(NEXT) | instid1(VALU_DEP_1)
	v_and_b32_e32 v76, 0xfffff, v77
	v_add_nc_u32_e32 v77, v76, v89
                                        ; implicit-def: $vgpr76
	s_delay_alu instid0(VALU_DEP_3)
	v_cmpx_ne_u32_e64 v78, v88
	s_xor_b32 s13, exec_lo, s13
; %bb.1636:                             ;   in Loop: Header=BB6_394 Depth=4
	s_delay_alu instid0(VALU_DEP_2) | instskip(SKIP_2) | instid1(VALU_DEP_2)
	v_cmp_lt_u32_e32 vcc_lo, 0xffffff, v77
	v_sub_nc_u32_e32 v76, v78, v88
	v_cndmask_b32_e64 v78, 0, 1, vcc_lo
	v_add_co_ci_u32_e32 v76, vcc_lo, 0, v76, vcc_lo
	s_delay_alu instid0(VALU_DEP_2)
	v_lshrrev_b32_e32 v77, v78, v77
; %bb.1637:                             ;   in Loop: Header=BB6_394 Depth=4
	s_and_not1_saveexec_b32 s13, s13
; %bb.1638:                             ;   in Loop: Header=BB6_394 Depth=4
	s_delay_alu instid0(VALU_DEP_1)
	v_bfe_u32 v76, v77, 23, 1
; %bb.1639:                             ;   in Loop: Header=BB6_394 Depth=4
	s_or_b32 exec_lo, exec_lo, s13
	v_lshrrev_b32_e32 v77, 20, v77
	s_delay_alu instid0(VALU_DEP_2) | instskip(SKIP_2) | instid1(VALU_DEP_2)
	v_cmp_gt_i32_e32 vcc_lo, 16, v76
	v_lshrrev_b32_e32 v78, 24, v79
	v_min_i32_e32 v79, 15, v76
	v_dual_cndmask_b32 v77, 7, v77 :: v_dual_and_b32 v78, 0x80, v78
	s_delay_alu instid0(VALU_DEP_1) | instskip(SKIP_1) | instid1(VALU_DEP_2)
	v_or_b32_e32 v76, v76, v77
	v_and_b32_e32 v88, 7, v77
	v_cmp_ne_u32_e32 vcc_lo, 0, v76
	v_lshlrev_b32_e32 v79, 3, v79
	s_delay_alu instid0(VALU_DEP_1) | instskip(NEXT) | instid1(VALU_DEP_1)
	v_or3_b32 v77, v79, v78, v88
	v_cndmask_b32_e32 v76, 0, v77, vcc_lo
.LBB6_1640:                             ;   in Loop: Header=BB6_394 Depth=4
	s_or_b32 exec_lo, exec_lo, s37
.LBB6_1641:                             ;   in Loop: Header=BB6_394 Depth=4
	s_delay_alu instid0(SALU_CYCLE_1) | instskip(SKIP_3) | instid1(VALU_DEP_2)
	s_or_b32 exec_lo, exec_lo, s36
	v_lshrrev_b32_e32 v78, 24, v22
	v_lshrrev_b32_e32 v77, 24, v18
	s_and_not1_b32 vcc_lo, exec_lo, s35
	v_cmp_lt_i16_e64 s13, 0x7f, v78
	s_cbranch_vccnz .LBB6_1651
; %bb.1642:                             ;   in Loop: Header=BB6_394 Depth=4
	s_mov_b32 s36, 0
                                        ; implicit-def: $sgpr37
	s_delay_alu instid0(VALU_DEP_1) | instskip(NEXT) | instid1(SALU_CYCLE_1)
	s_and_saveexec_b32 vcc_lo, s13
	s_xor_b32 s13, exec_lo, vcc_lo
	s_cbranch_execnz .LBB6_2936
; %bb.1643:                             ;   in Loop: Header=BB6_394 Depth=4
	s_or_saveexec_b32 s13, s13
	v_mov_b32_e32 v79, s37
	s_xor_b32 exec_lo, exec_lo, s13
	s_cbranch_execnz .LBB6_2939
.LBB6_1644:                             ;   in Loop: Header=BB6_394 Depth=4
	s_or_b32 exec_lo, exec_lo, s13
	s_and_saveexec_b32 s13, s36
	s_cbranch_execz .LBB6_1646
.LBB6_1645:                             ;   in Loop: Header=BB6_394 Depth=4
	v_bfe_u32 v79, v22, 24, 3
	v_bfe_u32 v90, v22, 27, 4
	s_delay_alu instid0(VALU_DEP_2) | instskip(NEXT) | instid1(VALU_DEP_2)
	v_clz_i32_u32_e32 v88, v79
	v_cmp_eq_u32_e32 vcc_lo, 0, v90
	s_delay_alu instid0(VALU_DEP_2) | instskip(NEXT) | instid1(VALU_DEP_1)
	v_min_u32_e32 v88, 32, v88
	v_subrev_nc_u32_e32 v89, 28, v88
	v_sub_nc_u32_e32 v88, 29, v88
	s_delay_alu instid0(VALU_DEP_1) | instskip(NEXT) | instid1(VALU_DEP_1)
	v_dual_cndmask_b32 v88, v90, v88 :: v_dual_lshlrev_b32 v89, v89, v78
	v_and_b32_e32 v89, 7, v89
	s_delay_alu instid0(VALU_DEP_2) | instskip(NEXT) | instid1(VALU_DEP_2)
	v_lshl_add_u32 v88, v88, 23, 0x3b800000
	v_cndmask_b32_e32 v79, v79, v89, vcc_lo
	v_and_b32_e32 v89, 0x80000000, v22
	s_delay_alu instid0(VALU_DEP_2) | instskip(NEXT) | instid1(VALU_DEP_1)
	v_lshlrev_b32_e32 v79, 20, v79
	v_or3_b32 v79, v89, v88, v79
.LBB6_1646:                             ;   in Loop: Header=BB6_394 Depth=4
	s_or_b32 exec_lo, exec_lo, s13
	s_mov_b32 s13, 0
	s_mov_b32 s37, exec_lo
                                        ; implicit-def: $sgpr36
	v_cmpx_lt_i16_e32 0x7f, v77
	s_xor_b32 s37, exec_lo, s37
	s_cbranch_execnz .LBB6_2940
; %bb.1647:                             ;   in Loop: Header=BB6_394 Depth=4
	s_or_saveexec_b32 s37, s37
	v_mov_b32_e32 v88, s36
	s_xor_b32 exec_lo, exec_lo, s37
	s_cbranch_execnz .LBB6_2943
.LBB6_1648:                             ;   in Loop: Header=BB6_394 Depth=4
	s_or_b32 exec_lo, exec_lo, s37
	s_and_saveexec_b32 s36, s13
	s_cbranch_execz .LBB6_1650
.LBB6_1649:                             ;   in Loop: Header=BB6_394 Depth=4
	v_bfe_u32 v88, v18, 24, 3
	v_bfe_u32 v91, v18, 27, 4
	s_delay_alu instid0(VALU_DEP_2) | instskip(NEXT) | instid1(VALU_DEP_2)
	v_clz_i32_u32_e32 v89, v88
	v_cmp_eq_u32_e32 vcc_lo, 0, v91
	s_delay_alu instid0(VALU_DEP_2) | instskip(NEXT) | instid1(VALU_DEP_1)
	v_min_u32_e32 v89, 32, v89
	v_subrev_nc_u32_e32 v90, 28, v89
	v_sub_nc_u32_e32 v89, 29, v89
	s_delay_alu instid0(VALU_DEP_2) | instskip(NEXT) | instid1(VALU_DEP_1)
	v_lshlrev_b32_e32 v90, v90, v77
	v_dual_cndmask_b32 v89, v91, v89 :: v_dual_and_b32 v90, 7, v90
	s_delay_alu instid0(VALU_DEP_1) | instskip(NEXT) | instid1(VALU_DEP_2)
	v_lshl_add_u32 v89, v89, 23, 0x3b800000
	v_cndmask_b32_e32 v88, v88, v90, vcc_lo
	v_and_b32_e32 v90, 0x80000000, v18
	s_delay_alu instid0(VALU_DEP_2) | instskip(NEXT) | instid1(VALU_DEP_1)
	v_lshlrev_b32_e32 v88, 20, v88
	v_or3_b32 v88, v90, v89, v88
.LBB6_1650:                             ;   in Loop: Header=BB6_394 Depth=4
	s_or_b32 exec_lo, exec_lo, s36
	s_delay_alu instid0(VALU_DEP_1) | instskip(SKIP_1) | instid1(VALU_DEP_1)
	v_dual_max_f32 v88, v88, v88 :: v_dual_max_f32 v79, v79, v79
	s_mov_b32 s13, 0
	v_max_f32_e32 v79, v79, v88
	s_branch .LBB6_1652
.LBB6_1651:                             ;   in Loop: Header=BB6_394 Depth=4
	s_mov_b32 s13, -1
                                        ; implicit-def: $vgpr79
.LBB6_1652:                             ;   in Loop: Header=BB6_394 Depth=4
	s_delay_alu instid0(SALU_CYCLE_1)
	s_and_b32 vcc_lo, exec_lo, s13
	s_cbranch_vccz .LBB6_1662
; %bb.1653:                             ;   in Loop: Header=BB6_394 Depth=4
	s_mov_b32 s13, 0
	s_mov_b32 s37, exec_lo
                                        ; implicit-def: $sgpr36
	v_cmpx_lt_i16_e32 0x7f, v78
	s_xor_b32 s37, exec_lo, s37
	s_cbranch_execnz .LBB6_2944
; %bb.1654:                             ;   in Loop: Header=BB6_394 Depth=4
	s_or_saveexec_b32 s37, s37
	v_mov_b32_e32 v79, s36
	s_xor_b32 exec_lo, exec_lo, s37
	s_cbranch_execnz .LBB6_2947
.LBB6_1655:                             ;   in Loop: Header=BB6_394 Depth=4
	s_or_b32 exec_lo, exec_lo, s37
	s_and_saveexec_b32 s36, s13
	s_cbranch_execz .LBB6_1657
.LBB6_1656:                             ;   in Loop: Header=BB6_394 Depth=4
	v_bfe_u32 v79, v22, 24, 3
	s_delay_alu instid0(VALU_DEP_1) | instskip(NEXT) | instid1(VALU_DEP_1)
	v_clz_i32_u32_e32 v88, v79
	v_min_u32_e32 v88, 32, v88
	s_delay_alu instid0(VALU_DEP_1) | instskip(SKIP_1) | instid1(VALU_DEP_2)
	v_subrev_nc_u32_e32 v89, 28, v88
	v_sub_nc_u32_e32 v88, 29, v88
	v_lshlrev_b32_e32 v78, v89, v78
	v_bfe_u32 v89, v22, 27, 4
	v_and_b32_e32 v22, 0x80000000, v22
	s_delay_alu instid0(VALU_DEP_3) | instskip(NEXT) | instid1(VALU_DEP_3)
	v_and_b32_e32 v78, 7, v78
	v_cmp_eq_u32_e32 vcc_lo, 0, v89
	v_cndmask_b32_e32 v88, v89, v88, vcc_lo
	s_delay_alu instid0(VALU_DEP_3) | instskip(NEXT) | instid1(VALU_DEP_2)
	v_cndmask_b32_e32 v78, v79, v78, vcc_lo
	v_lshl_add_u32 v79, v88, 23, 0x3b800000
	s_delay_alu instid0(VALU_DEP_2) | instskip(NEXT) | instid1(VALU_DEP_1)
	v_lshlrev_b32_e32 v78, 20, v78
	v_or3_b32 v79, v22, v79, v78
.LBB6_1657:                             ;   in Loop: Header=BB6_394 Depth=4
	s_or_b32 exec_lo, exec_lo, s36
	s_mov_b32 s13, 0
	s_mov_b32 s37, exec_lo
                                        ; implicit-def: $sgpr36
	v_cmpx_lt_i16_e32 0x7f, v77
	s_xor_b32 s37, exec_lo, s37
	s_cbranch_execnz .LBB6_2948
; %bb.1658:                             ;   in Loop: Header=BB6_394 Depth=4
	s_or_saveexec_b32 s37, s37
	v_mov_b32_e32 v22, s36
	s_xor_b32 exec_lo, exec_lo, s37
	s_cbranch_execnz .LBB6_2951
.LBB6_1659:                             ;   in Loop: Header=BB6_394 Depth=4
	s_or_b32 exec_lo, exec_lo, s37
	s_and_saveexec_b32 s36, s13
	s_cbranch_execz .LBB6_1661
.LBB6_1660:                             ;   in Loop: Header=BB6_394 Depth=4
	v_bfe_u32 v22, v18, 24, 3
	s_delay_alu instid0(VALU_DEP_1) | instskip(NEXT) | instid1(VALU_DEP_1)
	v_clz_i32_u32_e32 v78, v22
	v_min_u32_e32 v78, 32, v78
	s_delay_alu instid0(VALU_DEP_1) | instskip(SKIP_1) | instid1(VALU_DEP_2)
	v_subrev_nc_u32_e32 v88, 28, v78
	v_sub_nc_u32_e32 v78, 29, v78
	v_lshlrev_b32_e32 v77, v88, v77
	v_bfe_u32 v88, v18, 27, 4
	v_and_b32_e32 v18, 0x80000000, v18
	s_delay_alu instid0(VALU_DEP_2) | instskip(NEXT) | instid1(VALU_DEP_4)
	v_cmp_eq_u32_e32 vcc_lo, 0, v88
	v_dual_cndmask_b32 v78, v88, v78 :: v_dual_and_b32 v77, 7, v77
	s_delay_alu instid0(VALU_DEP_1) | instskip(NEXT) | instid1(VALU_DEP_2)
	v_cndmask_b32_e32 v22, v22, v77, vcc_lo
	v_lshl_add_u32 v77, v78, 23, 0x3b800000
	s_delay_alu instid0(VALU_DEP_2) | instskip(NEXT) | instid1(VALU_DEP_1)
	v_lshlrev_b32_e32 v22, 20, v22
	v_or3_b32 v22, v18, v77, v22
.LBB6_1661:                             ;   in Loop: Header=BB6_394 Depth=4
	s_or_b32 exec_lo, exec_lo, s36
	s_delay_alu instid0(VALU_DEP_1) | instskip(SKIP_1) | instid1(VALU_DEP_1)
	v_max_f32_e32 v18, v22, v22
	v_max_f32_e32 v22, v79, v79
	v_min_f32_e32 v79, v22, v18
.LBB6_1662:                             ;   in Loop: Header=BB6_394 Depth=4
	s_delay_alu instid0(VALU_DEP_1) | instskip(NEXT) | instid1(VALU_DEP_1)
	v_and_b32_e32 v18, 0x7f800000, v79
	v_cmp_ne_u32_e32 vcc_lo, 0x7f800000, v18
	v_mov_b32_e32 v18, 0x80
	s_and_saveexec_b32 s36, vcc_lo
	s_cbranch_execz .LBB6_1670
; %bb.1663:                             ;   in Loop: Header=BB6_394 Depth=4
	v_mov_b32_e32 v18, 0
	s_mov_b32 s37, exec_lo
	v_cmpx_ne_u32_e32 0, v79
	s_cbranch_execz .LBB6_1669
; %bb.1664:                             ;   in Loop: Header=BB6_394 Depth=4
	v_bfe_u32 v18, v79, 23, 8
	s_delay_alu instid0(VALU_DEP_1) | instskip(SKIP_1) | instid1(VALU_DEP_2)
	v_sub_nc_u32_e32 v77, 0x78, v18
	v_cmp_gt_u32_e32 vcc_lo, 0x79, v18
	v_dual_cndmask_b32 v77, 0, v77 :: v_dual_and_b32 v22, 0x7fffff, v79
	s_delay_alu instid0(VALU_DEP_1) | instskip(SKIP_2) | instid1(VALU_DEP_4)
	v_or_b32_e32 v78, 0x800000, v22
	v_cmp_eq_u32_e32 vcc_lo, 0, v18
	v_add_nc_u32_e32 v18, 0xffffff89, v18
	v_cndmask_b32_e64 v77, v77, 0x77, vcc_lo
	s_delay_alu instid0(VALU_DEP_4) | instskip(NEXT) | instid1(VALU_DEP_3)
	v_cndmask_b32_e32 v22, v78, v22, vcc_lo
	v_cndmask_b32_e64 v18, v18, 0xffffff8a, vcc_lo
	s_delay_alu instid0(VALU_DEP_3) | instskip(NEXT) | instid1(VALU_DEP_3)
	v_lshl_add_u32 v78, 0x100000, v77, -1
	v_lshrrev_b32_e32 v88, v77, v22
	v_lshlrev_b32_e64 v90, v77, 0x80000
	s_delay_alu instid0(VALU_DEP_4) | instskip(NEXT) | instid1(VALU_DEP_4)
	v_add_nc_u32_e32 v77, v77, v18
	v_and_b32_e32 v22, v78, v22
	s_delay_alu instid0(VALU_DEP_4) | instskip(NEXT) | instid1(VALU_DEP_2)
	v_bfe_u32 v89, v88, 20, 1
	v_cmp_eq_u32_e64 s13, v22, v90
	s_delay_alu instid0(VALU_DEP_2) | instskip(NEXT) | instid1(VALU_DEP_1)
	v_add_nc_u32_e32 v78, -1, v89
	v_cndmask_b32_e64 v22, 0, v78, s13
	v_lshrrev_b32_e32 v78, 23, v88
	s_mov_b32 s13, exec_lo
	s_delay_alu instid0(VALU_DEP_2) | instskip(NEXT) | instid1(VALU_DEP_2)
	v_add_nc_u32_e32 v22, v22, v88
	v_xor_b32_e32 v78, 1, v78
	s_delay_alu instid0(VALU_DEP_2) | instskip(NEXT) | instid1(VALU_DEP_1)
	v_and_b32_e32 v18, 0xfffff, v22
	v_add_nc_u32_e32 v22, v18, v88
                                        ; implicit-def: $vgpr18
	s_delay_alu instid0(VALU_DEP_3)
	v_cmpx_ne_u32_e64 v77, v78
	s_xor_b32 s13, exec_lo, s13
; %bb.1665:                             ;   in Loop: Header=BB6_394 Depth=4
	s_delay_alu instid0(VALU_DEP_2) | instskip(SKIP_2) | instid1(VALU_DEP_2)
	v_cmp_lt_u32_e32 vcc_lo, 0xffffff, v22
	v_sub_nc_u32_e32 v18, v77, v78
	v_cndmask_b32_e64 v77, 0, 1, vcc_lo
	v_add_co_ci_u32_e32 v18, vcc_lo, 0, v18, vcc_lo
	s_delay_alu instid0(VALU_DEP_2)
	v_lshrrev_b32_e32 v22, v77, v22
; %bb.1666:                             ;   in Loop: Header=BB6_394 Depth=4
	s_and_not1_saveexec_b32 s13, s13
; %bb.1667:                             ;   in Loop: Header=BB6_394 Depth=4
	s_delay_alu instid0(VALU_DEP_1)
	v_bfe_u32 v18, v22, 23, 1
; %bb.1668:                             ;   in Loop: Header=BB6_394 Depth=4
	s_or_b32 exec_lo, exec_lo, s13
	v_lshrrev_b32_e32 v22, 20, v22
	s_delay_alu instid0(VALU_DEP_2) | instskip(SKIP_2) | instid1(VALU_DEP_2)
	v_cmp_gt_i32_e32 vcc_lo, 16, v18
	v_lshrrev_b32_e32 v77, 24, v79
	v_min_i32_e32 v78, 15, v18
	v_dual_cndmask_b32 v22, 7, v22 :: v_dual_and_b32 v77, 0x80, v77
	s_delay_alu instid0(VALU_DEP_2) | instskip(NEXT) | instid1(VALU_DEP_2)
	v_lshlrev_b32_e32 v78, 3, v78
	v_and_b32_e32 v79, 7, v22
	v_or_b32_e32 v18, v18, v22
	s_delay_alu instid0(VALU_DEP_2) | instskip(NEXT) | instid1(VALU_DEP_2)
	v_or3_b32 v22, v78, v77, v79
	v_cmp_ne_u32_e32 vcc_lo, 0, v18
	s_delay_alu instid0(VALU_DEP_2)
	v_cndmask_b32_e32 v18, 0, v22, vcc_lo
.LBB6_1669:                             ;   in Loop: Header=BB6_394 Depth=4
	s_or_b32 exec_lo, exec_lo, s37
.LBB6_1670:                             ;   in Loop: Header=BB6_394 Depth=4
	s_delay_alu instid0(SALU_CYCLE_1) | instskip(SKIP_2) | instid1(VALU_DEP_1)
	s_or_b32 exec_lo, exec_lo, s36
	v_and_b32_e32 v22, 0xff, v23
	s_and_not1_b32 vcc_lo, exec_lo, s35
	v_cmp_lt_i16_e64 s13, 0x7f, v22
	s_cbranch_vccnz .LBB6_1680
; %bb.1671:                             ;   in Loop: Header=BB6_394 Depth=4
	s_mov_b32 s36, 0
                                        ; implicit-def: $sgpr37
	s_delay_alu instid0(VALU_DEP_1) | instskip(NEXT) | instid1(SALU_CYCLE_1)
	s_and_saveexec_b32 vcc_lo, s13
	s_xor_b32 s13, exec_lo, vcc_lo
	s_cbranch_execnz .LBB6_2952
; %bb.1672:                             ;   in Loop: Header=BB6_394 Depth=4
	s_or_saveexec_b32 s13, s13
	v_mov_b32_e32 v77, s37
	s_xor_b32 exec_lo, exec_lo, s13
	s_cbranch_execnz .LBB6_2955
.LBB6_1673:                             ;   in Loop: Header=BB6_394 Depth=4
	s_or_b32 exec_lo, exec_lo, s13
	s_and_saveexec_b32 s13, s36
	s_cbranch_execz .LBB6_1675
.LBB6_1674:                             ;   in Loop: Header=BB6_394 Depth=4
	v_bfe_u32 v88, v23, 3, 4
	v_lshlrev_b32_e32 v89, 24, v23
	s_delay_alu instid0(VALU_DEP_2) | instskip(SKIP_1) | instid1(VALU_DEP_1)
	v_cmp_eq_u32_e32 vcc_lo, 0, v88
	v_and_b32_e32 v77, 7, v23
	v_clz_i32_u32_e32 v78, v77
	s_delay_alu instid0(VALU_DEP_1) | instskip(NEXT) | instid1(VALU_DEP_1)
	v_min_u32_e32 v78, 32, v78
	v_subrev_nc_u32_e32 v79, 28, v78
	v_sub_nc_u32_e32 v78, 29, v78
	s_delay_alu instid0(VALU_DEP_1) | instskip(NEXT) | instid1(VALU_DEP_1)
	v_dual_cndmask_b32 v78, v88, v78 :: v_dual_lshlrev_b32 v79, v79, v23
	v_and_b32_e32 v79, 7, v79
	s_delay_alu instid0(VALU_DEP_2) | instskip(NEXT) | instid1(VALU_DEP_2)
	v_lshl_add_u32 v78, v78, 23, 0x3b800000
	v_cndmask_b32_e32 v77, v77, v79, vcc_lo
	v_and_b32_e32 v79, 0x80000000, v89
	s_delay_alu instid0(VALU_DEP_2) | instskip(NEXT) | instid1(VALU_DEP_1)
	v_lshlrev_b32_e32 v77, 20, v77
	v_or3_b32 v77, v79, v78, v77
.LBB6_1675:                             ;   in Loop: Header=BB6_394 Depth=4
	s_or_b32 exec_lo, exec_lo, s13
	v_and_b32_e32 v79, 0xff, v19
	s_mov_b32 s13, 0
	s_mov_b32 s37, exec_lo
                                        ; implicit-def: $sgpr36
	s_delay_alu instid0(VALU_DEP_1)
	v_cmpx_lt_i16_e32 0x7f, v79
	s_xor_b32 s37, exec_lo, s37
	s_cbranch_execnz .LBB6_2956
; %bb.1676:                             ;   in Loop: Header=BB6_394 Depth=4
	s_or_saveexec_b32 s37, s37
	v_mov_b32_e32 v78, s36
	s_xor_b32 exec_lo, exec_lo, s37
	s_cbranch_execnz .LBB6_2959
.LBB6_1677:                             ;   in Loop: Header=BB6_394 Depth=4
	s_or_b32 exec_lo, exec_lo, s37
	s_and_saveexec_b32 s36, s13
	s_cbranch_execz .LBB6_1679
.LBB6_1678:                             ;   in Loop: Header=BB6_394 Depth=4
	v_and_b32_e32 v78, 7, v19
	v_bfe_u32 v89, v19, 3, 4
	v_lshlrev_b32_e32 v90, 24, v19
	s_delay_alu instid0(VALU_DEP_3) | instskip(NEXT) | instid1(VALU_DEP_3)
	v_clz_i32_u32_e32 v79, v78
	v_cmp_eq_u32_e32 vcc_lo, 0, v89
	s_delay_alu instid0(VALU_DEP_2) | instskip(NEXT) | instid1(VALU_DEP_1)
	v_min_u32_e32 v79, 32, v79
	v_subrev_nc_u32_e32 v88, 28, v79
	v_sub_nc_u32_e32 v79, 29, v79
	s_delay_alu instid0(VALU_DEP_2) | instskip(NEXT) | instid1(VALU_DEP_1)
	v_lshlrev_b32_e32 v88, v88, v19
	v_dual_cndmask_b32 v79, v89, v79 :: v_dual_and_b32 v88, 7, v88
	s_delay_alu instid0(VALU_DEP_1) | instskip(NEXT) | instid1(VALU_DEP_2)
	v_lshl_add_u32 v79, v79, 23, 0x3b800000
	v_cndmask_b32_e32 v78, v78, v88, vcc_lo
	v_and_b32_e32 v88, 0x80000000, v90
	s_delay_alu instid0(VALU_DEP_2) | instskip(NEXT) | instid1(VALU_DEP_1)
	v_lshlrev_b32_e32 v78, 20, v78
	v_or3_b32 v78, v88, v79, v78
.LBB6_1679:                             ;   in Loop: Header=BB6_394 Depth=4
	s_or_b32 exec_lo, exec_lo, s36
	s_delay_alu instid0(VALU_DEP_1) | instskip(SKIP_1) | instid1(VALU_DEP_1)
	v_dual_max_f32 v78, v78, v78 :: v_dual_max_f32 v77, v77, v77
	s_mov_b32 s13, 0
	v_max_f32_e32 v77, v77, v78
	s_branch .LBB6_1681
.LBB6_1680:                             ;   in Loop: Header=BB6_394 Depth=4
	s_mov_b32 s13, -1
                                        ; implicit-def: $vgpr77
.LBB6_1681:                             ;   in Loop: Header=BB6_394 Depth=4
	s_delay_alu instid0(SALU_CYCLE_1)
	s_and_b32 vcc_lo, exec_lo, s13
	s_cbranch_vccz .LBB6_1691
; %bb.1682:                             ;   in Loop: Header=BB6_394 Depth=4
	s_mov_b32 s13, 0
	s_mov_b32 s37, exec_lo
                                        ; implicit-def: $sgpr36
	v_cmpx_lt_i16_e32 0x7f, v22
	s_xor_b32 s37, exec_lo, s37
	s_cbranch_execnz .LBB6_2960
; %bb.1683:                             ;   in Loop: Header=BB6_394 Depth=4
	s_or_saveexec_b32 s37, s37
	v_mov_b32_e32 v77, s36
	s_xor_b32 exec_lo, exec_lo, s37
	s_cbranch_execnz .LBB6_2963
.LBB6_1684:                             ;   in Loop: Header=BB6_394 Depth=4
	s_or_b32 exec_lo, exec_lo, s37
	s_and_saveexec_b32 s36, s13
	s_cbranch_execz .LBB6_1686
.LBB6_1685:                             ;   in Loop: Header=BB6_394 Depth=4
	v_bfe_u32 v79, v23, 3, 4
	v_lshlrev_b32_e32 v88, 24, v23
	s_delay_alu instid0(VALU_DEP_2) | instskip(SKIP_1) | instid1(VALU_DEP_1)
	v_cmp_eq_u32_e32 vcc_lo, 0, v79
	v_and_b32_e32 v22, 7, v23
	v_clz_i32_u32_e32 v77, v22
	s_delay_alu instid0(VALU_DEP_1) | instskip(NEXT) | instid1(VALU_DEP_1)
	v_min_u32_e32 v77, 32, v77
	v_subrev_nc_u32_e32 v78, 28, v77
	v_sub_nc_u32_e32 v77, 29, v77
	s_delay_alu instid0(VALU_DEP_1) | instskip(NEXT) | instid1(VALU_DEP_1)
	v_dual_cndmask_b32 v77, v79, v77 :: v_dual_lshlrev_b32 v78, v78, v23
	v_and_b32_e32 v78, 7, v78
	s_delay_alu instid0(VALU_DEP_2) | instskip(NEXT) | instid1(VALU_DEP_2)
	v_lshl_add_u32 v77, v77, 23, 0x3b800000
	v_cndmask_b32_e32 v22, v22, v78, vcc_lo
	v_and_b32_e32 v78, 0x80000000, v88
	s_delay_alu instid0(VALU_DEP_2) | instskip(NEXT) | instid1(VALU_DEP_1)
	v_lshlrev_b32_e32 v22, 20, v22
	v_or3_b32 v77, v78, v77, v22
.LBB6_1686:                             ;   in Loop: Header=BB6_394 Depth=4
	s_or_b32 exec_lo, exec_lo, s36
	v_and_b32_e32 v78, 0xff, v19
	s_mov_b32 s13, 0
	s_mov_b32 s37, exec_lo
                                        ; implicit-def: $sgpr36
	s_delay_alu instid0(VALU_DEP_1)
	v_cmpx_lt_i16_e32 0x7f, v78
	s_xor_b32 s37, exec_lo, s37
	s_cbranch_execnz .LBB6_2964
; %bb.1687:                             ;   in Loop: Header=BB6_394 Depth=4
	s_or_saveexec_b32 s37, s37
	v_mov_b32_e32 v22, s36
	s_xor_b32 exec_lo, exec_lo, s37
	s_cbranch_execnz .LBB6_2967
.LBB6_1688:                             ;   in Loop: Header=BB6_394 Depth=4
	s_or_b32 exec_lo, exec_lo, s37
	s_and_saveexec_b32 s36, s13
	s_cbranch_execz .LBB6_1690
.LBB6_1689:                             ;   in Loop: Header=BB6_394 Depth=4
	v_and_b32_e32 v22, 7, v19
	v_bfe_u32 v88, v19, 3, 4
	v_lshlrev_b32_e32 v89, 24, v19
	s_delay_alu instid0(VALU_DEP_3) | instskip(NEXT) | instid1(VALU_DEP_3)
	v_clz_i32_u32_e32 v78, v22
	v_cmp_eq_u32_e32 vcc_lo, 0, v88
	s_delay_alu instid0(VALU_DEP_2) | instskip(NEXT) | instid1(VALU_DEP_1)
	v_min_u32_e32 v78, 32, v78
	v_subrev_nc_u32_e32 v79, 28, v78
	v_sub_nc_u32_e32 v78, 29, v78
	s_delay_alu instid0(VALU_DEP_1) | instskip(NEXT) | instid1(VALU_DEP_1)
	v_dual_cndmask_b32 v78, v88, v78 :: v_dual_lshlrev_b32 v79, v79, v19
	v_and_b32_e32 v79, 7, v79
	s_delay_alu instid0(VALU_DEP_2) | instskip(NEXT) | instid1(VALU_DEP_2)
	v_lshl_add_u32 v78, v78, 23, 0x3b800000
	v_dual_cndmask_b32 v22, v22, v79 :: v_dual_and_b32 v79, 0x80000000, v89
	s_delay_alu instid0(VALU_DEP_1) | instskip(NEXT) | instid1(VALU_DEP_1)
	v_lshlrev_b32_e32 v22, 20, v22
	v_or3_b32 v22, v79, v78, v22
.LBB6_1690:                             ;   in Loop: Header=BB6_394 Depth=4
	s_or_b32 exec_lo, exec_lo, s36
	s_delay_alu instid0(VALU_DEP_1) | instskip(NEXT) | instid1(VALU_DEP_1)
	v_dual_max_f32 v22, v22, v22 :: v_dual_max_f32 v77, v77, v77
	v_min_f32_e32 v77, v77, v22
.LBB6_1691:                             ;   in Loop: Header=BB6_394 Depth=4
	s_delay_alu instid0(VALU_DEP_1) | instskip(NEXT) | instid1(VALU_DEP_1)
	v_and_b32_e32 v22, 0x7f800000, v77
	v_cmp_ne_u32_e32 vcc_lo, 0x7f800000, v22
	v_mov_b32_e32 v22, 0x80
	s_and_saveexec_b32 s36, vcc_lo
	s_cbranch_execz .LBB6_1699
; %bb.1692:                             ;   in Loop: Header=BB6_394 Depth=4
	v_mov_b32_e32 v22, 0
	s_mov_b32 s37, exec_lo
	v_cmpx_ne_u32_e32 0, v77
	s_cbranch_execz .LBB6_1698
; %bb.1693:                             ;   in Loop: Header=BB6_394 Depth=4
	v_bfe_u32 v22, v77, 23, 8
	s_delay_alu instid0(VALU_DEP_1) | instskip(SKIP_1) | instid1(VALU_DEP_2)
	v_sub_nc_u32_e32 v79, 0x78, v22
	v_cmp_gt_u32_e32 vcc_lo, 0x79, v22
	v_dual_cndmask_b32 v79, 0, v79 :: v_dual_and_b32 v78, 0x7fffff, v77
	s_delay_alu instid0(VALU_DEP_1) | instskip(SKIP_2) | instid1(VALU_DEP_4)
	v_or_b32_e32 v88, 0x800000, v78
	v_cmp_eq_u32_e32 vcc_lo, 0, v22
	v_add_nc_u32_e32 v22, 0xffffff89, v22
	v_cndmask_b32_e64 v79, v79, 0x77, vcc_lo
	s_delay_alu instid0(VALU_DEP_4) | instskip(NEXT) | instid1(VALU_DEP_3)
	v_cndmask_b32_e32 v78, v88, v78, vcc_lo
	v_cndmask_b32_e64 v22, v22, 0xffffff8a, vcc_lo
	s_delay_alu instid0(VALU_DEP_3) | instskip(NEXT) | instid1(VALU_DEP_3)
	v_lshl_add_u32 v88, 0x100000, v79, -1
	v_lshrrev_b32_e32 v89, v79, v78
	v_lshlrev_b32_e64 v91, v79, 0x80000
	s_delay_alu instid0(VALU_DEP_4) | instskip(NEXT) | instid1(VALU_DEP_4)
	v_add_nc_u32_e32 v79, v79, v22
	v_and_b32_e32 v78, v88, v78
	s_delay_alu instid0(VALU_DEP_4) | instskip(NEXT) | instid1(VALU_DEP_2)
	v_bfe_u32 v90, v89, 20, 1
	v_cmp_eq_u32_e64 s13, v78, v91
	s_delay_alu instid0(VALU_DEP_2) | instskip(NEXT) | instid1(VALU_DEP_1)
	v_add_nc_u32_e32 v88, -1, v90
	v_cndmask_b32_e64 v78, 0, v88, s13
	v_lshrrev_b32_e32 v88, 23, v89
	s_mov_b32 s13, exec_lo
	s_delay_alu instid0(VALU_DEP_2) | instskip(NEXT) | instid1(VALU_DEP_2)
	v_add_nc_u32_e32 v78, v78, v89
	v_xor_b32_e32 v88, 1, v88
	s_delay_alu instid0(VALU_DEP_2) | instskip(NEXT) | instid1(VALU_DEP_1)
	v_and_b32_e32 v22, 0xfffff, v78
	v_add_nc_u32_e32 v78, v22, v89
                                        ; implicit-def: $vgpr22
	s_delay_alu instid0(VALU_DEP_3)
	v_cmpx_ne_u32_e64 v79, v88
	s_xor_b32 s13, exec_lo, s13
; %bb.1694:                             ;   in Loop: Header=BB6_394 Depth=4
	s_delay_alu instid0(VALU_DEP_2) | instskip(SKIP_2) | instid1(VALU_DEP_2)
	v_cmp_lt_u32_e32 vcc_lo, 0xffffff, v78
	v_sub_nc_u32_e32 v22, v79, v88
	v_cndmask_b32_e64 v79, 0, 1, vcc_lo
	v_add_co_ci_u32_e32 v22, vcc_lo, 0, v22, vcc_lo
	s_delay_alu instid0(VALU_DEP_2)
	v_lshrrev_b32_e32 v78, v79, v78
; %bb.1695:                             ;   in Loop: Header=BB6_394 Depth=4
	s_and_not1_saveexec_b32 s13, s13
; %bb.1696:                             ;   in Loop: Header=BB6_394 Depth=4
	s_delay_alu instid0(VALU_DEP_1)
	v_bfe_u32 v22, v78, 23, 1
; %bb.1697:                             ;   in Loop: Header=BB6_394 Depth=4
	s_or_b32 exec_lo, exec_lo, s13
	v_lshrrev_b32_e32 v78, 20, v78
	s_delay_alu instid0(VALU_DEP_2) | instskip(SKIP_2) | instid1(VALU_DEP_2)
	v_cmp_gt_i32_e32 vcc_lo, 16, v22
	v_lshrrev_b32_e32 v77, 24, v77
	v_min_i32_e32 v79, 15, v22
	v_dual_cndmask_b32 v78, 7, v78 :: v_dual_and_b32 v77, 0x80, v77
	s_delay_alu instid0(VALU_DEP_1) | instskip(SKIP_1) | instid1(VALU_DEP_2)
	v_or_b32_e32 v22, v22, v78
	v_and_b32_e32 v88, 7, v78
	v_cmp_ne_u32_e32 vcc_lo, 0, v22
	v_lshlrev_b32_e32 v79, 3, v79
	s_delay_alu instid0(VALU_DEP_1) | instskip(NEXT) | instid1(VALU_DEP_1)
	v_or3_b32 v77, v79, v77, v88
	v_cndmask_b32_e32 v22, 0, v77, vcc_lo
.LBB6_1698:                             ;   in Loop: Header=BB6_394 Depth=4
	s_or_b32 exec_lo, exec_lo, s37
.LBB6_1699:                             ;   in Loop: Header=BB6_394 Depth=4
	s_delay_alu instid0(SALU_CYCLE_1) | instskip(SKIP_3) | instid1(VALU_DEP_2)
	s_or_b32 exec_lo, exec_lo, s36
	v_lshrrev_b16 v78, 8, v23
	v_lshrrev_b16 v77, 8, v19
	s_and_not1_b32 vcc_lo, exec_lo, s35
	v_cmp_lt_i16_e64 s13, 0x7f, v78
	s_cbranch_vccnz .LBB6_1709
; %bb.1700:                             ;   in Loop: Header=BB6_394 Depth=4
	s_mov_b32 s36, 0
                                        ; implicit-def: $sgpr37
	s_delay_alu instid0(VALU_DEP_1) | instskip(NEXT) | instid1(SALU_CYCLE_1)
	s_and_saveexec_b32 vcc_lo, s13
	s_xor_b32 s13, exec_lo, vcc_lo
	s_cbranch_execnz .LBB6_2968
; %bb.1701:                             ;   in Loop: Header=BB6_394 Depth=4
	s_or_saveexec_b32 s13, s13
	v_mov_b32_e32 v79, s37
	s_xor_b32 exec_lo, exec_lo, s13
	s_cbranch_execnz .LBB6_2971
.LBB6_1702:                             ;   in Loop: Header=BB6_394 Depth=4
	s_or_b32 exec_lo, exec_lo, s13
	s_and_saveexec_b32 s13, s36
	s_cbranch_execz .LBB6_1704
.LBB6_1703:                             ;   in Loop: Header=BB6_394 Depth=4
	v_and_b32_e32 v79, 0xffff, v78
	s_delay_alu instid0(VALU_DEP_1) | instskip(NEXT) | instid1(VALU_DEP_1)
	v_and_b32_e32 v88, 7, v79
	v_clz_i32_u32_e32 v89, v88
	s_delay_alu instid0(VALU_DEP_1) | instskip(NEXT) | instid1(VALU_DEP_1)
	v_min_u32_e32 v89, 32, v89
	v_subrev_nc_u32_e32 v90, 28, v89
	v_sub_nc_u32_e32 v89, 29, v89
	s_delay_alu instid0(VALU_DEP_2) | instskip(SKIP_1) | instid1(VALU_DEP_2)
	v_lshlrev_b32_e32 v90, v90, v79
	v_bfe_u32 v79, v79, 3, 4
	v_and_b32_e32 v90, 7, v90
	s_delay_alu instid0(VALU_DEP_2) | instskip(SKIP_1) | instid1(VALU_DEP_3)
	v_cmp_eq_u32_e32 vcc_lo, 0, v79
	v_cndmask_b32_e32 v79, v79, v89, vcc_lo
	v_dual_cndmask_b32 v88, v88, v90 :: v_dual_lshlrev_b32 v91, 16, v23
	s_delay_alu instid0(VALU_DEP_2) | instskip(NEXT) | instid1(VALU_DEP_2)
	v_lshl_add_u32 v79, v79, 23, 0x3b800000
	v_and_b32_e32 v89, 0x80000000, v91
	s_delay_alu instid0(VALU_DEP_3) | instskip(NEXT) | instid1(VALU_DEP_1)
	v_lshlrev_b32_e32 v88, 20, v88
	v_or3_b32 v79, v89, v79, v88
.LBB6_1704:                             ;   in Loop: Header=BB6_394 Depth=4
	s_or_b32 exec_lo, exec_lo, s13
	s_mov_b32 s13, 0
	s_mov_b32 s37, exec_lo
                                        ; implicit-def: $sgpr36
	v_cmpx_lt_i16_e32 0x7f, v77
	s_xor_b32 s37, exec_lo, s37
	s_cbranch_execnz .LBB6_2972
; %bb.1705:                             ;   in Loop: Header=BB6_394 Depth=4
	s_or_saveexec_b32 s37, s37
	v_mov_b32_e32 v88, s36
	s_xor_b32 exec_lo, exec_lo, s37
	s_cbranch_execnz .LBB6_2975
.LBB6_1706:                             ;   in Loop: Header=BB6_394 Depth=4
	s_or_b32 exec_lo, exec_lo, s37
	s_and_saveexec_b32 s36, s13
	s_cbranch_execz .LBB6_1708
.LBB6_1707:                             ;   in Loop: Header=BB6_394 Depth=4
	v_and_b32_e32 v88, 0xffff, v77
	v_lshlrev_b32_e32 v92, 16, v19
	s_delay_alu instid0(VALU_DEP_2) | instskip(NEXT) | instid1(VALU_DEP_1)
	v_and_b32_e32 v89, 7, v88
	v_clz_i32_u32_e32 v90, v89
	s_delay_alu instid0(VALU_DEP_1) | instskip(NEXT) | instid1(VALU_DEP_1)
	v_min_u32_e32 v90, 32, v90
	v_subrev_nc_u32_e32 v91, 28, v90
	v_sub_nc_u32_e32 v90, 29, v90
	s_delay_alu instid0(VALU_DEP_2) | instskip(SKIP_1) | instid1(VALU_DEP_2)
	v_lshlrev_b32_e32 v91, v91, v88
	v_bfe_u32 v88, v88, 3, 4
	v_and_b32_e32 v91, 7, v91
	s_delay_alu instid0(VALU_DEP_2) | instskip(NEXT) | instid1(VALU_DEP_2)
	v_cmp_eq_u32_e32 vcc_lo, 0, v88
	v_dual_cndmask_b32 v88, v88, v90 :: v_dual_cndmask_b32 v89, v89, v91
	v_and_b32_e32 v90, 0x80000000, v92
	s_delay_alu instid0(VALU_DEP_2) | instskip(NEXT) | instid1(VALU_DEP_3)
	v_lshl_add_u32 v88, v88, 23, 0x3b800000
	v_lshlrev_b32_e32 v89, 20, v89
	s_delay_alu instid0(VALU_DEP_1)
	v_or3_b32 v88, v90, v88, v89
.LBB6_1708:                             ;   in Loop: Header=BB6_394 Depth=4
	s_or_b32 exec_lo, exec_lo, s36
	s_delay_alu instid0(VALU_DEP_1) | instskip(SKIP_1) | instid1(VALU_DEP_1)
	v_dual_max_f32 v88, v88, v88 :: v_dual_max_f32 v79, v79, v79
	s_mov_b32 s13, 0
	v_max_f32_e32 v79, v79, v88
	s_branch .LBB6_1710
.LBB6_1709:                             ;   in Loop: Header=BB6_394 Depth=4
	s_mov_b32 s13, -1
                                        ; implicit-def: $vgpr79
.LBB6_1710:                             ;   in Loop: Header=BB6_394 Depth=4
	s_delay_alu instid0(SALU_CYCLE_1)
	s_and_b32 vcc_lo, exec_lo, s13
	s_cbranch_vccz .LBB6_1720
; %bb.1711:                             ;   in Loop: Header=BB6_394 Depth=4
	s_mov_b32 s13, 0
	s_mov_b32 s37, exec_lo
                                        ; implicit-def: $sgpr36
	v_cmpx_lt_i16_e32 0x7f, v78
	s_xor_b32 s37, exec_lo, s37
	s_cbranch_execnz .LBB6_2976
; %bb.1712:                             ;   in Loop: Header=BB6_394 Depth=4
	s_or_saveexec_b32 s37, s37
	v_mov_b32_e32 v79, s36
	s_xor_b32 exec_lo, exec_lo, s37
	s_cbranch_execnz .LBB6_2979
.LBB6_1713:                             ;   in Loop: Header=BB6_394 Depth=4
	s_or_b32 exec_lo, exec_lo, s37
	s_and_saveexec_b32 s36, s13
	s_cbranch_execz .LBB6_1715
.LBB6_1714:                             ;   in Loop: Header=BB6_394 Depth=4
	v_and_b32_e32 v78, 0xffff, v78
	v_lshlrev_b32_e32 v90, 16, v23
	s_delay_alu instid0(VALU_DEP_2) | instskip(NEXT) | instid1(VALU_DEP_1)
	v_and_b32_e32 v79, 7, v78
	v_clz_i32_u32_e32 v88, v79
	s_delay_alu instid0(VALU_DEP_1) | instskip(NEXT) | instid1(VALU_DEP_1)
	v_min_u32_e32 v88, 32, v88
	v_subrev_nc_u32_e32 v89, 28, v88
	v_sub_nc_u32_e32 v88, 29, v88
	s_delay_alu instid0(VALU_DEP_2) | instskip(SKIP_1) | instid1(VALU_DEP_2)
	v_lshlrev_b32_e32 v89, v89, v78
	v_bfe_u32 v78, v78, 3, 4
	v_and_b32_e32 v89, 7, v89
	s_delay_alu instid0(VALU_DEP_2) | instskip(NEXT) | instid1(VALU_DEP_2)
	v_cmp_eq_u32_e32 vcc_lo, 0, v78
	v_dual_cndmask_b32 v78, v78, v88 :: v_dual_cndmask_b32 v79, v79, v89
	v_and_b32_e32 v88, 0x80000000, v90
	s_delay_alu instid0(VALU_DEP_2) | instskip(NEXT) | instid1(VALU_DEP_3)
	v_lshl_add_u32 v78, v78, 23, 0x3b800000
	v_lshlrev_b32_e32 v79, 20, v79
	s_delay_alu instid0(VALU_DEP_1)
	v_or3_b32 v79, v88, v78, v79
.LBB6_1715:                             ;   in Loop: Header=BB6_394 Depth=4
	s_or_b32 exec_lo, exec_lo, s36
	s_mov_b32 s13, 0
	s_mov_b32 s37, exec_lo
                                        ; implicit-def: $sgpr36
	v_cmpx_lt_i16_e32 0x7f, v77
	s_xor_b32 s37, exec_lo, s37
	s_cbranch_execnz .LBB6_2980
; %bb.1716:                             ;   in Loop: Header=BB6_394 Depth=4
	s_or_saveexec_b32 s37, s37
	v_mov_b32_e32 v78, s36
	s_xor_b32 exec_lo, exec_lo, s37
	s_cbranch_execnz .LBB6_2983
.LBB6_1717:                             ;   in Loop: Header=BB6_394 Depth=4
	s_or_b32 exec_lo, exec_lo, s37
	s_and_saveexec_b32 s36, s13
	s_cbranch_execz .LBB6_1719
.LBB6_1718:                             ;   in Loop: Header=BB6_394 Depth=4
	v_and_b32_e32 v77, 0xffff, v77
	v_lshlrev_b32_e32 v90, 16, v19
	s_delay_alu instid0(VALU_DEP_2) | instskip(NEXT) | instid1(VALU_DEP_1)
	v_and_b32_e32 v78, 7, v77
	v_clz_i32_u32_e32 v88, v78
	s_delay_alu instid0(VALU_DEP_1) | instskip(NEXT) | instid1(VALU_DEP_1)
	v_min_u32_e32 v88, 32, v88
	v_subrev_nc_u32_e32 v89, 28, v88
	v_sub_nc_u32_e32 v88, 29, v88
	s_delay_alu instid0(VALU_DEP_2) | instskip(SKIP_1) | instid1(VALU_DEP_2)
	v_lshlrev_b32_e32 v89, v89, v77
	v_bfe_u32 v77, v77, 3, 4
	v_and_b32_e32 v89, 7, v89
	s_delay_alu instid0(VALU_DEP_2) | instskip(NEXT) | instid1(VALU_DEP_2)
	v_cmp_eq_u32_e32 vcc_lo, 0, v77
	v_dual_cndmask_b32 v77, v77, v88 :: v_dual_cndmask_b32 v78, v78, v89
	v_and_b32_e32 v88, 0x80000000, v90
	s_delay_alu instid0(VALU_DEP_2) | instskip(NEXT) | instid1(VALU_DEP_3)
	v_lshl_add_u32 v77, v77, 23, 0x3b800000
	v_lshlrev_b32_e32 v78, 20, v78
	s_delay_alu instid0(VALU_DEP_1)
	v_or3_b32 v78, v88, v77, v78
.LBB6_1719:                             ;   in Loop: Header=BB6_394 Depth=4
	s_or_b32 exec_lo, exec_lo, s36
	s_delay_alu instid0(VALU_DEP_1) | instskip(NEXT) | instid1(VALU_DEP_1)
	v_dual_max_f32 v77, v78, v78 :: v_dual_max_f32 v78, v79, v79
	v_min_f32_e32 v79, v78, v77
.LBB6_1720:                             ;   in Loop: Header=BB6_394 Depth=4
	s_delay_alu instid0(VALU_DEP_1) | instskip(NEXT) | instid1(VALU_DEP_1)
	v_and_b32_e32 v77, 0x7f800000, v79
	v_cmp_ne_u32_e32 vcc_lo, 0x7f800000, v77
	v_mov_b32_e32 v77, 0x80
	s_and_saveexec_b32 s36, vcc_lo
	s_cbranch_execz .LBB6_1728
; %bb.1721:                             ;   in Loop: Header=BB6_394 Depth=4
	v_mov_b32_e32 v77, 0
	s_mov_b32 s37, exec_lo
	v_cmpx_ne_u32_e32 0, v79
	s_cbranch_execz .LBB6_1727
; %bb.1722:                             ;   in Loop: Header=BB6_394 Depth=4
	v_bfe_u32 v77, v79, 23, 8
	v_and_b32_e32 v78, 0x7fffff, v79
	s_delay_alu instid0(VALU_DEP_2) | instskip(SKIP_1) | instid1(VALU_DEP_3)
	v_sub_nc_u32_e32 v88, 0x78, v77
	v_cmp_gt_u32_e32 vcc_lo, 0x79, v77
	v_or_b32_e32 v89, 0x800000, v78
	s_delay_alu instid0(VALU_DEP_3) | instskip(SKIP_2) | instid1(VALU_DEP_3)
	v_cndmask_b32_e32 v88, 0, v88, vcc_lo
	v_cmp_eq_u32_e32 vcc_lo, 0, v77
	v_add_nc_u32_e32 v77, 0xffffff89, v77
	v_cndmask_b32_e64 v88, v88, 0x77, vcc_lo
	v_cndmask_b32_e32 v78, v89, v78, vcc_lo
	s_delay_alu instid0(VALU_DEP_3) | instskip(NEXT) | instid1(VALU_DEP_3)
	v_cndmask_b32_e64 v77, v77, 0xffffff8a, vcc_lo
	v_lshl_add_u32 v89, 0x100000, v88, -1
	s_delay_alu instid0(VALU_DEP_3) | instskip(SKIP_1) | instid1(VALU_DEP_4)
	v_lshrrev_b32_e32 v90, v88, v78
	v_lshlrev_b32_e64 v92, v88, 0x80000
	v_add_nc_u32_e32 v88, v88, v77
	s_delay_alu instid0(VALU_DEP_4) | instskip(NEXT) | instid1(VALU_DEP_4)
	v_and_b32_e32 v78, v89, v78
	v_bfe_u32 v91, v90, 20, 1
	s_delay_alu instid0(VALU_DEP_2) | instskip(NEXT) | instid1(VALU_DEP_2)
	v_cmp_eq_u32_e64 s13, v78, v92
	v_add_nc_u32_e32 v89, -1, v91
	s_delay_alu instid0(VALU_DEP_1) | instskip(SKIP_2) | instid1(VALU_DEP_2)
	v_cndmask_b32_e64 v78, 0, v89, s13
	v_lshrrev_b32_e32 v89, 23, v90
	s_mov_b32 s13, exec_lo
	v_add_nc_u32_e32 v78, v78, v90
	s_delay_alu instid0(VALU_DEP_2) | instskip(NEXT) | instid1(VALU_DEP_2)
	v_xor_b32_e32 v89, 1, v89
	v_and_b32_e32 v77, 0xfffff, v78
	s_delay_alu instid0(VALU_DEP_1) | instskip(NEXT) | instid1(VALU_DEP_3)
	v_add_nc_u32_e32 v78, v77, v90
                                        ; implicit-def: $vgpr77
	v_cmpx_ne_u32_e64 v88, v89
	s_xor_b32 s13, exec_lo, s13
; %bb.1723:                             ;   in Loop: Header=BB6_394 Depth=4
	s_delay_alu instid0(VALU_DEP_2) | instskip(SKIP_2) | instid1(VALU_DEP_2)
	v_cmp_lt_u32_e32 vcc_lo, 0xffffff, v78
	v_sub_nc_u32_e32 v77, v88, v89
	v_cndmask_b32_e64 v88, 0, 1, vcc_lo
	v_add_co_ci_u32_e32 v77, vcc_lo, 0, v77, vcc_lo
	s_delay_alu instid0(VALU_DEP_2)
	v_lshrrev_b32_e32 v78, v88, v78
; %bb.1724:                             ;   in Loop: Header=BB6_394 Depth=4
	s_and_not1_saveexec_b32 s13, s13
; %bb.1725:                             ;   in Loop: Header=BB6_394 Depth=4
	s_delay_alu instid0(VALU_DEP_1)
	v_bfe_u32 v77, v78, 23, 1
; %bb.1726:                             ;   in Loop: Header=BB6_394 Depth=4
	s_or_b32 exec_lo, exec_lo, s13
	v_lshrrev_b32_e32 v78, 20, v78
	s_delay_alu instid0(VALU_DEP_2) | instskip(SKIP_2) | instid1(VALU_DEP_2)
	v_cmp_gt_i32_e32 vcc_lo, 16, v77
	v_lshrrev_b32_e32 v79, 24, v79
	v_min_i32_e32 v88, 15, v77
	v_dual_cndmask_b32 v78, 7, v78 :: v_dual_and_b32 v79, 0x80, v79
	s_delay_alu instid0(VALU_DEP_1) | instskip(SKIP_1) | instid1(VALU_DEP_2)
	v_or_b32_e32 v77, v77, v78
	v_and_b32_e32 v89, 7, v78
	v_cmp_ne_u32_e32 vcc_lo, 0, v77
	v_lshlrev_b32_e32 v88, 3, v88
	s_delay_alu instid0(VALU_DEP_1) | instskip(NEXT) | instid1(VALU_DEP_1)
	v_or3_b32 v78, v88, v79, v89
	v_cndmask_b32_e32 v77, 0, v78, vcc_lo
.LBB6_1727:                             ;   in Loop: Header=BB6_394 Depth=4
	s_or_b32 exec_lo, exec_lo, s37
.LBB6_1728:                             ;   in Loop: Header=BB6_394 Depth=4
	s_delay_alu instid0(SALU_CYCLE_1) | instskip(SKIP_3) | instid1(VALU_DEP_2)
	s_or_b32 exec_lo, exec_lo, s36
	v_lshrrev_b32_e32 v79, 16, v23
	v_lshrrev_b32_e32 v78, 16, v19
	s_and_not1_b32 vcc_lo, exec_lo, s35
	v_and_b32_e32 v88, 0xff, v79
	s_delay_alu instid0(VALU_DEP_1)
	v_cmp_lt_i16_e64 s13, 0x7f, v88
	s_cbranch_vccnz .LBB6_1738
; %bb.1729:                             ;   in Loop: Header=BB6_394 Depth=4
	s_mov_b32 s36, 0
                                        ; implicit-def: $sgpr37
	s_delay_alu instid0(VALU_DEP_1) | instskip(NEXT) | instid1(SALU_CYCLE_1)
	s_and_saveexec_b32 vcc_lo, s13
	s_xor_b32 s13, exec_lo, vcc_lo
	s_cbranch_execnz .LBB6_2984
; %bb.1730:                             ;   in Loop: Header=BB6_394 Depth=4
	s_or_saveexec_b32 s13, s13
	v_mov_b32_e32 v89, s37
	s_xor_b32 exec_lo, exec_lo, s13
	s_cbranch_execnz .LBB6_2987
.LBB6_1731:                             ;   in Loop: Header=BB6_394 Depth=4
	s_or_b32 exec_lo, exec_lo, s13
	s_and_saveexec_b32 s13, s36
	s_cbranch_execz .LBB6_1733
.LBB6_1732:                             ;   in Loop: Header=BB6_394 Depth=4
	v_bfe_u32 v89, v23, 16, 3
	v_bfe_u32 v92, v23, 19, 4
	v_lshlrev_b32_e32 v93, 24, v79
	s_delay_alu instid0(VALU_DEP_3) | instskip(NEXT) | instid1(VALU_DEP_3)
	v_clz_i32_u32_e32 v90, v89
	v_cmp_eq_u32_e32 vcc_lo, 0, v92
	s_delay_alu instid0(VALU_DEP_2) | instskip(NEXT) | instid1(VALU_DEP_1)
	v_min_u32_e32 v90, 32, v90
	v_subrev_nc_u32_e32 v91, 28, v90
	v_sub_nc_u32_e32 v90, 29, v90
	s_delay_alu instid0(VALU_DEP_1) | instskip(NEXT) | instid1(VALU_DEP_1)
	v_dual_cndmask_b32 v90, v92, v90 :: v_dual_lshlrev_b32 v91, v91, v79
	v_and_b32_e32 v91, 7, v91
	s_delay_alu instid0(VALU_DEP_2) | instskip(NEXT) | instid1(VALU_DEP_2)
	v_lshl_add_u32 v90, v90, 23, 0x3b800000
	v_cndmask_b32_e32 v89, v89, v91, vcc_lo
	v_and_b32_e32 v91, 0x80000000, v93
	s_delay_alu instid0(VALU_DEP_2) | instskip(NEXT) | instid1(VALU_DEP_1)
	v_lshlrev_b32_e32 v89, 20, v89
	v_or3_b32 v89, v91, v90, v89
.LBB6_1733:                             ;   in Loop: Header=BB6_394 Depth=4
	s_or_b32 exec_lo, exec_lo, s13
	v_and_b32_e32 v91, 0xff, v78
	s_mov_b32 s13, 0
	s_mov_b32 s37, exec_lo
                                        ; implicit-def: $sgpr36
	s_delay_alu instid0(VALU_DEP_1)
	v_cmpx_lt_i16_e32 0x7f, v91
	s_xor_b32 s37, exec_lo, s37
	s_cbranch_execnz .LBB6_2988
; %bb.1734:                             ;   in Loop: Header=BB6_394 Depth=4
	s_or_saveexec_b32 s37, s37
	v_mov_b32_e32 v90, s36
	s_xor_b32 exec_lo, exec_lo, s37
	s_cbranch_execnz .LBB6_2991
.LBB6_1735:                             ;   in Loop: Header=BB6_394 Depth=4
	s_or_b32 exec_lo, exec_lo, s37
	s_and_saveexec_b32 s36, s13
	s_cbranch_execz .LBB6_1737
.LBB6_1736:                             ;   in Loop: Header=BB6_394 Depth=4
	v_bfe_u32 v90, v19, 16, 3
	v_bfe_u32 v93, v19, 19, 4
	v_lshlrev_b32_e32 v94, 24, v78
	s_delay_alu instid0(VALU_DEP_3) | instskip(NEXT) | instid1(VALU_DEP_3)
	v_clz_i32_u32_e32 v91, v90
	v_cmp_eq_u32_e32 vcc_lo, 0, v93
	s_delay_alu instid0(VALU_DEP_2) | instskip(NEXT) | instid1(VALU_DEP_1)
	v_min_u32_e32 v91, 32, v91
	v_subrev_nc_u32_e32 v92, 28, v91
	v_sub_nc_u32_e32 v91, 29, v91
	s_delay_alu instid0(VALU_DEP_1) | instskip(NEXT) | instid1(VALU_DEP_1)
	v_dual_cndmask_b32 v91, v93, v91 :: v_dual_lshlrev_b32 v92, v92, v78
	v_and_b32_e32 v92, 7, v92
	s_delay_alu instid0(VALU_DEP_2) | instskip(NEXT) | instid1(VALU_DEP_2)
	v_lshl_add_u32 v91, v91, 23, 0x3b800000
	v_cndmask_b32_e32 v90, v90, v92, vcc_lo
	v_and_b32_e32 v92, 0x80000000, v94
	s_delay_alu instid0(VALU_DEP_2) | instskip(NEXT) | instid1(VALU_DEP_1)
	v_lshlrev_b32_e32 v90, 20, v90
	v_or3_b32 v90, v92, v91, v90
.LBB6_1737:                             ;   in Loop: Header=BB6_394 Depth=4
	s_or_b32 exec_lo, exec_lo, s36
	s_delay_alu instid0(VALU_DEP_1) | instskip(SKIP_1) | instid1(VALU_DEP_1)
	v_dual_max_f32 v90, v90, v90 :: v_dual_max_f32 v89, v89, v89
	s_mov_b32 s13, 0
	v_max_f32_e32 v89, v89, v90
	s_branch .LBB6_1739
.LBB6_1738:                             ;   in Loop: Header=BB6_394 Depth=4
	s_mov_b32 s13, -1
                                        ; implicit-def: $vgpr89
.LBB6_1739:                             ;   in Loop: Header=BB6_394 Depth=4
	s_delay_alu instid0(SALU_CYCLE_1)
	s_and_b32 vcc_lo, exec_lo, s13
	s_cbranch_vccz .LBB6_1749
; %bb.1740:                             ;   in Loop: Header=BB6_394 Depth=4
	s_mov_b32 s13, 0
	s_mov_b32 s37, exec_lo
                                        ; implicit-def: $sgpr36
	v_cmpx_lt_i16_e32 0x7f, v88
	s_xor_b32 s37, exec_lo, s37
	s_cbranch_execnz .LBB6_2992
; %bb.1741:                             ;   in Loop: Header=BB6_394 Depth=4
	s_or_saveexec_b32 s37, s37
	v_mov_b32_e32 v89, s36
	s_xor_b32 exec_lo, exec_lo, s37
	s_cbranch_execnz .LBB6_2995
.LBB6_1742:                             ;   in Loop: Header=BB6_394 Depth=4
	s_or_b32 exec_lo, exec_lo, s37
	s_and_saveexec_b32 s36, s13
	s_cbranch_execz .LBB6_1744
.LBB6_1743:                             ;   in Loop: Header=BB6_394 Depth=4
	v_bfe_u32 v88, v23, 16, 3
	v_bfe_u32 v91, v23, 19, 4
	s_delay_alu instid0(VALU_DEP_2) | instskip(NEXT) | instid1(VALU_DEP_2)
	v_clz_i32_u32_e32 v89, v88
	v_cmp_eq_u32_e32 vcc_lo, 0, v91
	s_delay_alu instid0(VALU_DEP_2) | instskip(NEXT) | instid1(VALU_DEP_1)
	v_min_u32_e32 v89, 32, v89
	v_subrev_nc_u32_e32 v90, 28, v89
	v_sub_nc_u32_e32 v89, 29, v89
	s_delay_alu instid0(VALU_DEP_1) | instskip(NEXT) | instid1(VALU_DEP_1)
	v_dual_cndmask_b32 v89, v91, v89 :: v_dual_lshlrev_b32 v90, v90, v79
	v_and_b32_e32 v90, 7, v90
	v_lshlrev_b32_e32 v79, 24, v79
	s_delay_alu instid0(VALU_DEP_3) | instskip(NEXT) | instid1(VALU_DEP_2)
	v_lshl_add_u32 v89, v89, 23, 0x3b800000
	v_dual_cndmask_b32 v88, v88, v90 :: v_dual_and_b32 v79, 0x80000000, v79
	s_delay_alu instid0(VALU_DEP_1) | instskip(NEXT) | instid1(VALU_DEP_1)
	v_lshlrev_b32_e32 v88, 20, v88
	v_or3_b32 v89, v79, v89, v88
.LBB6_1744:                             ;   in Loop: Header=BB6_394 Depth=4
	s_or_b32 exec_lo, exec_lo, s36
	v_and_b32_e32 v88, 0xff, v78
	s_mov_b32 s13, 0
	s_mov_b32 s37, exec_lo
                                        ; implicit-def: $sgpr36
	s_delay_alu instid0(VALU_DEP_1)
	v_cmpx_lt_i16_e32 0x7f, v88
	s_xor_b32 s37, exec_lo, s37
	s_cbranch_execnz .LBB6_2996
; %bb.1745:                             ;   in Loop: Header=BB6_394 Depth=4
	s_or_saveexec_b32 s37, s37
	v_mov_b32_e32 v79, s36
	s_xor_b32 exec_lo, exec_lo, s37
	s_cbranch_execnz .LBB6_2999
.LBB6_1746:                             ;   in Loop: Header=BB6_394 Depth=4
	s_or_b32 exec_lo, exec_lo, s37
	s_and_saveexec_b32 s36, s13
	s_cbranch_execz .LBB6_1748
.LBB6_1747:                             ;   in Loop: Header=BB6_394 Depth=4
	v_bfe_u32 v79, v19, 16, 3
	v_bfe_u32 v91, v19, 19, 4
	s_delay_alu instid0(VALU_DEP_2) | instskip(NEXT) | instid1(VALU_DEP_2)
	v_clz_i32_u32_e32 v88, v79
	v_cmp_eq_u32_e32 vcc_lo, 0, v91
	s_delay_alu instid0(VALU_DEP_2) | instskip(NEXT) | instid1(VALU_DEP_1)
	v_min_u32_e32 v88, 32, v88
	v_subrev_nc_u32_e32 v90, 28, v88
	v_sub_nc_u32_e32 v88, 29, v88
	s_delay_alu instid0(VALU_DEP_2) | instskip(SKIP_1) | instid1(VALU_DEP_2)
	v_lshlrev_b32_e32 v90, v90, v78
	v_lshlrev_b32_e32 v78, 24, v78
	v_and_b32_e32 v90, 7, v90
	s_delay_alu instid0(VALU_DEP_2) | instskip(NEXT) | instid1(VALU_DEP_2)
	v_and_b32_e32 v78, 0x80000000, v78
	v_cndmask_b32_e32 v79, v79, v90, vcc_lo
	s_delay_alu instid0(VALU_DEP_1) | instskip(NEXT) | instid1(VALU_DEP_1)
	v_dual_cndmask_b32 v88, v91, v88 :: v_dual_lshlrev_b32 v79, 20, v79
	v_lshl_add_u32 v88, v88, 23, 0x3b800000
	s_delay_alu instid0(VALU_DEP_1)
	v_or3_b32 v79, v78, v88, v79
.LBB6_1748:                             ;   in Loop: Header=BB6_394 Depth=4
	s_or_b32 exec_lo, exec_lo, s36
	s_delay_alu instid0(VALU_DEP_1) | instskip(NEXT) | instid1(VALU_DEP_1)
	v_dual_max_f32 v78, v79, v79 :: v_dual_max_f32 v79, v89, v89
	v_min_f32_e32 v89, v79, v78
.LBB6_1749:                             ;   in Loop: Header=BB6_394 Depth=4
	s_delay_alu instid0(VALU_DEP_1) | instskip(NEXT) | instid1(VALU_DEP_1)
	v_and_b32_e32 v78, 0x7f800000, v89
	v_cmp_ne_u32_e32 vcc_lo, 0x7f800000, v78
	v_mov_b32_e32 v78, 0x80
	s_and_saveexec_b32 s36, vcc_lo
	s_cbranch_execz .LBB6_1757
; %bb.1750:                             ;   in Loop: Header=BB6_394 Depth=4
	v_mov_b32_e32 v78, 0
	s_mov_b32 s37, exec_lo
	v_cmpx_ne_u32_e32 0, v89
	s_cbranch_execz .LBB6_1756
; %bb.1751:                             ;   in Loop: Header=BB6_394 Depth=4
	v_bfe_u32 v78, v89, 23, 8
	s_delay_alu instid0(VALU_DEP_1) | instskip(SKIP_1) | instid1(VALU_DEP_2)
	v_sub_nc_u32_e32 v88, 0x78, v78
	v_cmp_gt_u32_e32 vcc_lo, 0x79, v78
	v_dual_cndmask_b32 v88, 0, v88 :: v_dual_and_b32 v79, 0x7fffff, v89
	s_delay_alu instid0(VALU_DEP_1) | instskip(SKIP_2) | instid1(VALU_DEP_4)
	v_or_b32_e32 v90, 0x800000, v79
	v_cmp_eq_u32_e32 vcc_lo, 0, v78
	v_add_nc_u32_e32 v78, 0xffffff89, v78
	v_cndmask_b32_e64 v88, v88, 0x77, vcc_lo
	s_delay_alu instid0(VALU_DEP_4) | instskip(NEXT) | instid1(VALU_DEP_3)
	v_cndmask_b32_e32 v79, v90, v79, vcc_lo
	v_cndmask_b32_e64 v78, v78, 0xffffff8a, vcc_lo
	s_delay_alu instid0(VALU_DEP_3) | instskip(NEXT) | instid1(VALU_DEP_3)
	v_lshl_add_u32 v90, 0x100000, v88, -1
	v_lshrrev_b32_e32 v91, v88, v79
	v_lshlrev_b32_e64 v93, v88, 0x80000
	s_delay_alu instid0(VALU_DEP_4) | instskip(NEXT) | instid1(VALU_DEP_4)
	v_add_nc_u32_e32 v88, v88, v78
	v_and_b32_e32 v79, v90, v79
	s_delay_alu instid0(VALU_DEP_4) | instskip(NEXT) | instid1(VALU_DEP_2)
	v_bfe_u32 v92, v91, 20, 1
	v_cmp_eq_u32_e64 s13, v79, v93
	s_delay_alu instid0(VALU_DEP_2) | instskip(NEXT) | instid1(VALU_DEP_1)
	v_add_nc_u32_e32 v90, -1, v92
	v_cndmask_b32_e64 v79, 0, v90, s13
	v_lshrrev_b32_e32 v90, 23, v91
	s_mov_b32 s13, exec_lo
	s_delay_alu instid0(VALU_DEP_2) | instskip(NEXT) | instid1(VALU_DEP_2)
	v_add_nc_u32_e32 v79, v79, v91
	v_xor_b32_e32 v90, 1, v90
	s_delay_alu instid0(VALU_DEP_2) | instskip(NEXT) | instid1(VALU_DEP_1)
	v_and_b32_e32 v78, 0xfffff, v79
	v_add_nc_u32_e32 v79, v78, v91
                                        ; implicit-def: $vgpr78
	s_delay_alu instid0(VALU_DEP_3)
	v_cmpx_ne_u32_e64 v88, v90
	s_xor_b32 s13, exec_lo, s13
; %bb.1752:                             ;   in Loop: Header=BB6_394 Depth=4
	s_delay_alu instid0(VALU_DEP_2) | instskip(SKIP_2) | instid1(VALU_DEP_2)
	v_cmp_lt_u32_e32 vcc_lo, 0xffffff, v79
	v_sub_nc_u32_e32 v78, v88, v90
	v_cndmask_b32_e64 v88, 0, 1, vcc_lo
	v_add_co_ci_u32_e32 v78, vcc_lo, 0, v78, vcc_lo
	s_delay_alu instid0(VALU_DEP_2)
	v_lshrrev_b32_e32 v79, v88, v79
; %bb.1753:                             ;   in Loop: Header=BB6_394 Depth=4
	s_and_not1_saveexec_b32 s13, s13
; %bb.1754:                             ;   in Loop: Header=BB6_394 Depth=4
	s_delay_alu instid0(VALU_DEP_1)
	v_bfe_u32 v78, v79, 23, 1
; %bb.1755:                             ;   in Loop: Header=BB6_394 Depth=4
	s_or_b32 exec_lo, exec_lo, s13
	v_lshrrev_b32_e32 v79, 20, v79
	s_delay_alu instid0(VALU_DEP_2) | instskip(SKIP_2) | instid1(VALU_DEP_2)
	v_cmp_gt_i32_e32 vcc_lo, 16, v78
	v_min_i32_e32 v88, 15, v78
	v_lshrrev_b32_e32 v89, 24, v89
	v_dual_cndmask_b32 v79, 7, v79 :: v_dual_lshlrev_b32 v88, 3, v88
	s_delay_alu instid0(VALU_DEP_1) | instskip(SKIP_1) | instid1(VALU_DEP_3)
	v_or_b32_e32 v78, v78, v79
	v_and_b32_e32 v90, 7, v79
	v_and_b32_e32 v88, 0xf8, v88
	s_delay_alu instid0(VALU_DEP_3) | instskip(SKIP_1) | instid1(VALU_DEP_1)
	v_cmp_ne_u32_e32 vcc_lo, 0, v78
	v_and_b32_e32 v89, 0x80, v89
	v_or3_b32 v79, v88, v89, v90
	s_delay_alu instid0(VALU_DEP_1)
	v_cndmask_b32_e32 v78, 0, v79, vcc_lo
.LBB6_1756:                             ;   in Loop: Header=BB6_394 Depth=4
	s_or_b32 exec_lo, exec_lo, s37
.LBB6_1757:                             ;   in Loop: Header=BB6_394 Depth=4
	s_delay_alu instid0(SALU_CYCLE_1) | instskip(SKIP_3) | instid1(VALU_DEP_2)
	s_or_b32 exec_lo, exec_lo, s36
	v_lshrrev_b32_e32 v88, 24, v23
	v_lshrrev_b32_e32 v79, 24, v19
	s_and_not1_b32 vcc_lo, exec_lo, s35
	v_cmp_lt_i16_e64 s13, 0x7f, v88
	s_cbranch_vccnz .LBB6_1767
; %bb.1758:                             ;   in Loop: Header=BB6_394 Depth=4
	s_mov_b32 s36, 0
                                        ; implicit-def: $sgpr37
	s_delay_alu instid0(VALU_DEP_1) | instskip(NEXT) | instid1(SALU_CYCLE_1)
	s_and_saveexec_b32 vcc_lo, s13
	s_xor_b32 s13, exec_lo, vcc_lo
	s_cbranch_execnz .LBB6_3000
; %bb.1759:                             ;   in Loop: Header=BB6_394 Depth=4
	s_or_saveexec_b32 s13, s13
	v_mov_b32_e32 v89, s37
	s_xor_b32 exec_lo, exec_lo, s13
	s_cbranch_execnz .LBB6_3003
.LBB6_1760:                             ;   in Loop: Header=BB6_394 Depth=4
	s_or_b32 exec_lo, exec_lo, s13
	s_and_saveexec_b32 s13, s36
	s_cbranch_execz .LBB6_1762
.LBB6_1761:                             ;   in Loop: Header=BB6_394 Depth=4
	v_bfe_u32 v89, v23, 24, 3
	v_bfe_u32 v92, v23, 27, 4
	s_delay_alu instid0(VALU_DEP_2) | instskip(NEXT) | instid1(VALU_DEP_2)
	v_clz_i32_u32_e32 v90, v89
	v_cmp_eq_u32_e32 vcc_lo, 0, v92
	s_delay_alu instid0(VALU_DEP_2) | instskip(NEXT) | instid1(VALU_DEP_1)
	v_min_u32_e32 v90, 32, v90
	v_subrev_nc_u32_e32 v91, 28, v90
	v_sub_nc_u32_e32 v90, 29, v90
	s_delay_alu instid0(VALU_DEP_1) | instskip(NEXT) | instid1(VALU_DEP_1)
	v_dual_cndmask_b32 v90, v92, v90 :: v_dual_lshlrev_b32 v91, v91, v88
	v_and_b32_e32 v91, 7, v91
	s_delay_alu instid0(VALU_DEP_2) | instskip(NEXT) | instid1(VALU_DEP_2)
	v_lshl_add_u32 v90, v90, 23, 0x3b800000
	v_cndmask_b32_e32 v89, v89, v91, vcc_lo
	v_and_b32_e32 v91, 0x80000000, v23
	s_delay_alu instid0(VALU_DEP_2) | instskip(NEXT) | instid1(VALU_DEP_1)
	v_lshlrev_b32_e32 v89, 20, v89
	v_or3_b32 v89, v91, v90, v89
.LBB6_1762:                             ;   in Loop: Header=BB6_394 Depth=4
	s_or_b32 exec_lo, exec_lo, s13
	s_mov_b32 s13, 0
	s_mov_b32 s37, exec_lo
                                        ; implicit-def: $sgpr36
	v_cmpx_lt_i16_e32 0x7f, v79
	s_xor_b32 s37, exec_lo, s37
	s_cbranch_execnz .LBB6_3004
; %bb.1763:                             ;   in Loop: Header=BB6_394 Depth=4
	s_or_saveexec_b32 s37, s37
	v_mov_b32_e32 v90, s36
	s_xor_b32 exec_lo, exec_lo, s37
	s_cbranch_execnz .LBB6_3007
.LBB6_1764:                             ;   in Loop: Header=BB6_394 Depth=4
	s_or_b32 exec_lo, exec_lo, s37
	s_and_saveexec_b32 s36, s13
	s_cbranch_execz .LBB6_1766
.LBB6_1765:                             ;   in Loop: Header=BB6_394 Depth=4
	v_bfe_u32 v90, v19, 24, 3
	v_bfe_u32 v93, v19, 27, 4
	s_delay_alu instid0(VALU_DEP_2) | instskip(NEXT) | instid1(VALU_DEP_2)
	v_clz_i32_u32_e32 v91, v90
	v_cmp_eq_u32_e32 vcc_lo, 0, v93
	s_delay_alu instid0(VALU_DEP_2) | instskip(NEXT) | instid1(VALU_DEP_1)
	v_min_u32_e32 v91, 32, v91
	v_subrev_nc_u32_e32 v92, 28, v91
	v_sub_nc_u32_e32 v91, 29, v91
	s_delay_alu instid0(VALU_DEP_2) | instskip(NEXT) | instid1(VALU_DEP_1)
	v_lshlrev_b32_e32 v92, v92, v79
	v_dual_cndmask_b32 v91, v93, v91 :: v_dual_and_b32 v92, 7, v92
	s_delay_alu instid0(VALU_DEP_1) | instskip(NEXT) | instid1(VALU_DEP_2)
	v_lshl_add_u32 v91, v91, 23, 0x3b800000
	v_cndmask_b32_e32 v90, v90, v92, vcc_lo
	v_and_b32_e32 v92, 0x80000000, v19
	s_delay_alu instid0(VALU_DEP_2) | instskip(NEXT) | instid1(VALU_DEP_1)
	v_lshlrev_b32_e32 v90, 20, v90
	v_or3_b32 v90, v92, v91, v90
.LBB6_1766:                             ;   in Loop: Header=BB6_394 Depth=4
	s_or_b32 exec_lo, exec_lo, s36
	s_delay_alu instid0(VALU_DEP_1) | instskip(SKIP_1) | instid1(VALU_DEP_1)
	v_dual_max_f32 v90, v90, v90 :: v_dual_max_f32 v89, v89, v89
	s_mov_b32 s13, 0
	v_max_f32_e32 v89, v89, v90
	s_branch .LBB6_1768
.LBB6_1767:                             ;   in Loop: Header=BB6_394 Depth=4
	s_mov_b32 s13, -1
                                        ; implicit-def: $vgpr89
.LBB6_1768:                             ;   in Loop: Header=BB6_394 Depth=4
	s_delay_alu instid0(SALU_CYCLE_1)
	s_and_b32 vcc_lo, exec_lo, s13
	s_cbranch_vccz .LBB6_1778
; %bb.1769:                             ;   in Loop: Header=BB6_394 Depth=4
	s_mov_b32 s13, 0
	s_mov_b32 s37, exec_lo
                                        ; implicit-def: $sgpr36
	v_cmpx_lt_i16_e32 0x7f, v88
	s_xor_b32 s37, exec_lo, s37
	s_cbranch_execnz .LBB6_3008
; %bb.1770:                             ;   in Loop: Header=BB6_394 Depth=4
	s_or_saveexec_b32 s37, s37
	v_mov_b32_e32 v89, s36
	s_xor_b32 exec_lo, exec_lo, s37
	s_cbranch_execnz .LBB6_3011
.LBB6_1771:                             ;   in Loop: Header=BB6_394 Depth=4
	s_or_b32 exec_lo, exec_lo, s37
	s_and_saveexec_b32 s36, s13
	s_cbranch_execz .LBB6_1773
.LBB6_1772:                             ;   in Loop: Header=BB6_394 Depth=4
	v_bfe_u32 v89, v23, 24, 3
	s_delay_alu instid0(VALU_DEP_1) | instskip(NEXT) | instid1(VALU_DEP_1)
	v_clz_i32_u32_e32 v90, v89
	v_min_u32_e32 v90, 32, v90
	s_delay_alu instid0(VALU_DEP_1) | instskip(SKIP_1) | instid1(VALU_DEP_2)
	v_subrev_nc_u32_e32 v91, 28, v90
	v_sub_nc_u32_e32 v90, 29, v90
	v_lshlrev_b32_e32 v88, v91, v88
	v_bfe_u32 v91, v23, 27, 4
	v_and_b32_e32 v23, 0x80000000, v23
	s_delay_alu instid0(VALU_DEP_3) | instskip(NEXT) | instid1(VALU_DEP_3)
	v_and_b32_e32 v88, 7, v88
	v_cmp_eq_u32_e32 vcc_lo, 0, v91
	v_cndmask_b32_e32 v90, v91, v90, vcc_lo
	s_delay_alu instid0(VALU_DEP_3) | instskip(NEXT) | instid1(VALU_DEP_2)
	v_cndmask_b32_e32 v88, v89, v88, vcc_lo
	v_lshl_add_u32 v89, v90, 23, 0x3b800000
	s_delay_alu instid0(VALU_DEP_2) | instskip(NEXT) | instid1(VALU_DEP_1)
	v_lshlrev_b32_e32 v88, 20, v88
	v_or3_b32 v89, v23, v89, v88
.LBB6_1773:                             ;   in Loop: Header=BB6_394 Depth=4
	s_or_b32 exec_lo, exec_lo, s36
	s_mov_b32 s13, 0
	s_mov_b32 s37, exec_lo
                                        ; implicit-def: $sgpr36
	v_cmpx_lt_i16_e32 0x7f, v79
	s_xor_b32 s37, exec_lo, s37
	s_cbranch_execnz .LBB6_3012
; %bb.1774:                             ;   in Loop: Header=BB6_394 Depth=4
	s_or_saveexec_b32 s37, s37
	v_mov_b32_e32 v23, s36
	s_xor_b32 exec_lo, exec_lo, s37
	s_cbranch_execnz .LBB6_3015
.LBB6_1775:                             ;   in Loop: Header=BB6_394 Depth=4
	s_or_b32 exec_lo, exec_lo, s37
	s_and_saveexec_b32 s36, s13
	s_cbranch_execz .LBB6_1777
.LBB6_1776:                             ;   in Loop: Header=BB6_394 Depth=4
	v_bfe_u32 v23, v19, 24, 3
	s_delay_alu instid0(VALU_DEP_1) | instskip(NEXT) | instid1(VALU_DEP_1)
	v_clz_i32_u32_e32 v88, v23
	v_min_u32_e32 v88, 32, v88
	s_delay_alu instid0(VALU_DEP_1) | instskip(SKIP_1) | instid1(VALU_DEP_2)
	v_subrev_nc_u32_e32 v90, 28, v88
	v_sub_nc_u32_e32 v88, 29, v88
	v_lshlrev_b32_e32 v79, v90, v79
	v_bfe_u32 v90, v19, 27, 4
	v_and_b32_e32 v19, 0x80000000, v19
	s_delay_alu instid0(VALU_DEP_2) | instskip(NEXT) | instid1(VALU_DEP_4)
	v_cmp_eq_u32_e32 vcc_lo, 0, v90
	v_dual_cndmask_b32 v88, v90, v88 :: v_dual_and_b32 v79, 7, v79
	s_delay_alu instid0(VALU_DEP_1) | instskip(NEXT) | instid1(VALU_DEP_2)
	v_cndmask_b32_e32 v23, v23, v79, vcc_lo
	v_lshl_add_u32 v79, v88, 23, 0x3b800000
	s_delay_alu instid0(VALU_DEP_2) | instskip(NEXT) | instid1(VALU_DEP_1)
	v_lshlrev_b32_e32 v23, 20, v23
	v_or3_b32 v23, v19, v79, v23
.LBB6_1777:                             ;   in Loop: Header=BB6_394 Depth=4
	s_or_b32 exec_lo, exec_lo, s36
	s_delay_alu instid0(VALU_DEP_1) | instskip(SKIP_1) | instid1(VALU_DEP_1)
	v_max_f32_e32 v19, v23, v23
	v_max_f32_e32 v23, v89, v89
	v_min_f32_e32 v89, v23, v19
.LBB6_1778:                             ;   in Loop: Header=BB6_394 Depth=4
	s_delay_alu instid0(VALU_DEP_1) | instskip(NEXT) | instid1(VALU_DEP_1)
	v_and_b32_e32 v19, 0x7f800000, v89
	v_cmp_ne_u32_e32 vcc_lo, 0x7f800000, v19
	v_mov_b32_e32 v19, 0x8000
	s_and_saveexec_b32 s36, vcc_lo
	s_cbranch_execz .LBB6_1786
; %bb.1779:                             ;   in Loop: Header=BB6_394 Depth=4
	v_mov_b32_e32 v19, 0
	s_mov_b32 s37, exec_lo
	v_cmpx_ne_u32_e32 0, v89
	s_cbranch_execz .LBB6_1785
; %bb.1780:                             ;   in Loop: Header=BB6_394 Depth=4
	v_bfe_u32 v19, v89, 23, 8
	v_and_b32_e32 v23, 0x7fffff, v89
	s_delay_alu instid0(VALU_DEP_2) | instskip(SKIP_1) | instid1(VALU_DEP_3)
	v_sub_nc_u32_e32 v79, 0x78, v19
	v_cmp_gt_u32_e32 vcc_lo, 0x79, v19
	v_or_b32_e32 v88, 0x800000, v23
	s_delay_alu instid0(VALU_DEP_3) | instskip(SKIP_2) | instid1(VALU_DEP_3)
	v_cndmask_b32_e32 v79, 0, v79, vcc_lo
	v_cmp_eq_u32_e32 vcc_lo, 0, v19
	v_add_nc_u32_e32 v19, 0xffffff89, v19
	v_cndmask_b32_e64 v79, v79, 0x77, vcc_lo
	v_cndmask_b32_e32 v23, v88, v23, vcc_lo
	s_delay_alu instid0(VALU_DEP_3) | instskip(NEXT) | instid1(VALU_DEP_3)
	v_cndmask_b32_e64 v19, v19, 0xffffff8a, vcc_lo
	v_lshl_add_u32 v88, 0x100000, v79, -1
	s_delay_alu instid0(VALU_DEP_3) | instskip(SKIP_1) | instid1(VALU_DEP_4)
	v_lshrrev_b32_e32 v90, v79, v23
	v_lshlrev_b32_e64 v92, v79, 0x80000
	v_add_nc_u32_e32 v79, v79, v19
	s_delay_alu instid0(VALU_DEP_4) | instskip(NEXT) | instid1(VALU_DEP_4)
	v_and_b32_e32 v23, v88, v23
	v_bfe_u32 v91, v90, 20, 1
	s_delay_alu instid0(VALU_DEP_2) | instskip(NEXT) | instid1(VALU_DEP_2)
	v_cmp_eq_u32_e64 s13, v23, v92
	v_add_nc_u32_e32 v88, -1, v91
	s_delay_alu instid0(VALU_DEP_1) | instskip(SKIP_2) | instid1(VALU_DEP_2)
	v_cndmask_b32_e64 v23, 0, v88, s13
	v_lshrrev_b32_e32 v88, 23, v90
	s_mov_b32 s13, exec_lo
	v_add_nc_u32_e32 v23, v23, v90
	s_delay_alu instid0(VALU_DEP_2) | instskip(NEXT) | instid1(VALU_DEP_2)
	v_xor_b32_e32 v88, 1, v88
	v_and_b32_e32 v19, 0xfffff, v23
	s_delay_alu instid0(VALU_DEP_1) | instskip(NEXT) | instid1(VALU_DEP_3)
	v_add_nc_u32_e32 v23, v19, v90
                                        ; implicit-def: $vgpr19
	v_cmpx_ne_u32_e64 v79, v88
	s_xor_b32 s13, exec_lo, s13
; %bb.1781:                             ;   in Loop: Header=BB6_394 Depth=4
	s_delay_alu instid0(VALU_DEP_2) | instskip(SKIP_2) | instid1(VALU_DEP_2)
	v_cmp_lt_u32_e32 vcc_lo, 0xffffff, v23
	v_sub_nc_u32_e32 v19, v79, v88
	v_cndmask_b32_e64 v79, 0, 1, vcc_lo
	v_add_co_ci_u32_e32 v19, vcc_lo, 0, v19, vcc_lo
	s_delay_alu instid0(VALU_DEP_2)
	v_lshrrev_b32_e32 v23, v79, v23
; %bb.1782:                             ;   in Loop: Header=BB6_394 Depth=4
	s_and_not1_saveexec_b32 s13, s13
; %bb.1783:                             ;   in Loop: Header=BB6_394 Depth=4
	s_delay_alu instid0(VALU_DEP_1)
	v_bfe_u32 v19, v23, 23, 1
; %bb.1784:                             ;   in Loop: Header=BB6_394 Depth=4
	s_or_b32 exec_lo, exec_lo, s13
	v_lshrrev_b32_e32 v23, 20, v23
	s_delay_alu instid0(VALU_DEP_2) | instskip(SKIP_2) | instid1(VALU_DEP_3)
	v_min_i32_e32 v79, 15, v19
	v_cmp_gt_i32_e32 vcc_lo, 16, v19
	v_lshrrev_b32_e32 v88, 24, v89
	v_lshlrev_b32_e32 v79, 3, v79
	s_delay_alu instid0(VALU_DEP_2) | instskip(NEXT) | instid1(VALU_DEP_2)
	v_dual_cndmask_b32 v23, 7, v23 :: v_dual_and_b32 v88, 0x80, v88
	v_and_b32_e32 v79, 0xf8, v79
	s_delay_alu instid0(VALU_DEP_2) | instskip(SKIP_1) | instid1(VALU_DEP_2)
	v_and_b32_e32 v89, 7, v23
	v_or_b32_e32 v19, v19, v23
	v_or3_b32 v79, v88, v79, v89
	s_delay_alu instid0(VALU_DEP_2) | instskip(NEXT) | instid1(VALU_DEP_2)
	v_cmp_ne_u32_e32 vcc_lo, 0, v19
	v_lshlrev_b32_e32 v23, 8, v79
	s_delay_alu instid0(VALU_DEP_1)
	v_cndmask_b32_e32 v19, 0, v23, vcc_lo
.LBB6_1785:                             ;   in Loop: Header=BB6_394 Depth=4
	s_or_b32 exec_lo, exec_lo, s37
.LBB6_1786:                             ;   in Loop: Header=BB6_394 Depth=4
	s_delay_alu instid0(SALU_CYCLE_1) | instskip(SKIP_2) | instid1(VALU_DEP_1)
	s_or_b32 exec_lo, exec_lo, s36
	v_and_b32_e32 v23, 0xff, v12
	s_and_not1_b32 vcc_lo, exec_lo, s35
	v_cmp_lt_i16_e64 s13, 0x7f, v23
	s_cbranch_vccnz .LBB6_1796
; %bb.1787:                             ;   in Loop: Header=BB6_394 Depth=4
	s_mov_b32 s36, 0
                                        ; implicit-def: $sgpr37
	s_delay_alu instid0(VALU_DEP_1) | instskip(NEXT) | instid1(SALU_CYCLE_1)
	s_and_saveexec_b32 vcc_lo, s13
	s_xor_b32 s13, exec_lo, vcc_lo
	s_cbranch_execnz .LBB6_3016
; %bb.1788:                             ;   in Loop: Header=BB6_394 Depth=4
	s_or_saveexec_b32 s13, s13
	v_mov_b32_e32 v79, s37
	s_xor_b32 exec_lo, exec_lo, s13
	s_cbranch_execnz .LBB6_3019
.LBB6_1789:                             ;   in Loop: Header=BB6_394 Depth=4
	s_or_b32 exec_lo, exec_lo, s13
	s_and_saveexec_b32 s13, s36
	s_cbranch_execz .LBB6_1791
.LBB6_1790:                             ;   in Loop: Header=BB6_394 Depth=4
	v_and_b32_e32 v79, 7, v12
	v_bfe_u32 v90, v12, 3, 4
	v_lshlrev_b32_e32 v91, 24, v12
	s_delay_alu instid0(VALU_DEP_3) | instskip(NEXT) | instid1(VALU_DEP_3)
	v_clz_i32_u32_e32 v88, v79
	v_cmp_eq_u32_e32 vcc_lo, 0, v90
	s_delay_alu instid0(VALU_DEP_2) | instskip(NEXT) | instid1(VALU_DEP_1)
	v_min_u32_e32 v88, 32, v88
	v_subrev_nc_u32_e32 v89, 28, v88
	v_sub_nc_u32_e32 v88, 29, v88
	s_delay_alu instid0(VALU_DEP_2) | instskip(NEXT) | instid1(VALU_DEP_1)
	v_lshlrev_b32_e32 v89, v89, v12
	v_dual_cndmask_b32 v88, v90, v88 :: v_dual_and_b32 v89, 7, v89
	s_delay_alu instid0(VALU_DEP_1) | instskip(NEXT) | instid1(VALU_DEP_2)
	v_lshl_add_u32 v88, v88, 23, 0x3b800000
	v_cndmask_b32_e32 v79, v79, v89, vcc_lo
	v_and_b32_e32 v89, 0x80000000, v91
	s_delay_alu instid0(VALU_DEP_2) | instskip(NEXT) | instid1(VALU_DEP_1)
	v_lshlrev_b32_e32 v79, 20, v79
	v_or3_b32 v79, v89, v88, v79
.LBB6_1791:                             ;   in Loop: Header=BB6_394 Depth=4
	s_or_b32 exec_lo, exec_lo, s13
	s_waitcnt vmcnt(0)
	v_and_b32_e32 v89, 0xff, v8
	s_mov_b32 s13, 0
	s_mov_b32 s37, exec_lo
                                        ; implicit-def: $sgpr36
	s_delay_alu instid0(VALU_DEP_1)
	v_cmpx_lt_i16_e32 0x7f, v89
	s_xor_b32 s37, exec_lo, s37
	s_cbranch_execnz .LBB6_3020
; %bb.1792:                             ;   in Loop: Header=BB6_394 Depth=4
	s_or_saveexec_b32 s37, s37
	v_mov_b32_e32 v88, s36
	s_xor_b32 exec_lo, exec_lo, s37
	s_cbranch_execnz .LBB6_3023
.LBB6_1793:                             ;   in Loop: Header=BB6_394 Depth=4
	s_or_b32 exec_lo, exec_lo, s37
	s_and_saveexec_b32 s36, s13
	s_cbranch_execz .LBB6_1795
.LBB6_1794:                             ;   in Loop: Header=BB6_394 Depth=4
	v_bfe_u32 v91, v8, 3, 4
	v_lshlrev_b32_e32 v92, 24, v8
	s_delay_alu instid0(VALU_DEP_2) | instskip(SKIP_1) | instid1(VALU_DEP_1)
	v_cmp_eq_u32_e32 vcc_lo, 0, v91
	v_and_b32_e32 v88, 7, v8
	v_clz_i32_u32_e32 v89, v88
	s_delay_alu instid0(VALU_DEP_1) | instskip(NEXT) | instid1(VALU_DEP_1)
	v_min_u32_e32 v89, 32, v89
	v_subrev_nc_u32_e32 v90, 28, v89
	v_sub_nc_u32_e32 v89, 29, v89
	s_delay_alu instid0(VALU_DEP_1) | instskip(NEXT) | instid1(VALU_DEP_1)
	v_dual_cndmask_b32 v89, v91, v89 :: v_dual_lshlrev_b32 v90, v90, v8
	v_and_b32_e32 v90, 7, v90
	s_delay_alu instid0(VALU_DEP_2) | instskip(NEXT) | instid1(VALU_DEP_2)
	v_lshl_add_u32 v89, v89, 23, 0x3b800000
	v_cndmask_b32_e32 v88, v88, v90, vcc_lo
	v_and_b32_e32 v90, 0x80000000, v92
	s_delay_alu instid0(VALU_DEP_2) | instskip(NEXT) | instid1(VALU_DEP_1)
	v_lshlrev_b32_e32 v88, 20, v88
	v_or3_b32 v88, v90, v89, v88
.LBB6_1795:                             ;   in Loop: Header=BB6_394 Depth=4
	s_or_b32 exec_lo, exec_lo, s36
	s_delay_alu instid0(VALU_DEP_1) | instskip(SKIP_1) | instid1(VALU_DEP_1)
	v_dual_max_f32 v88, v88, v88 :: v_dual_max_f32 v79, v79, v79
	s_mov_b32 s13, 0
	v_max_f32_e32 v79, v79, v88
	s_branch .LBB6_1797
.LBB6_1796:                             ;   in Loop: Header=BB6_394 Depth=4
	s_mov_b32 s13, -1
                                        ; implicit-def: $vgpr79
.LBB6_1797:                             ;   in Loop: Header=BB6_394 Depth=4
	s_delay_alu instid0(SALU_CYCLE_1)
	s_and_b32 vcc_lo, exec_lo, s13
	s_cbranch_vccz .LBB6_1807
; %bb.1798:                             ;   in Loop: Header=BB6_394 Depth=4
	s_mov_b32 s13, 0
	s_mov_b32 s37, exec_lo
                                        ; implicit-def: $sgpr36
	v_cmpx_lt_i16_e32 0x7f, v23
	s_xor_b32 s37, exec_lo, s37
	s_cbranch_execnz .LBB6_3024
; %bb.1799:                             ;   in Loop: Header=BB6_394 Depth=4
	s_or_saveexec_b32 s37, s37
	v_mov_b32_e32 v79, s36
	s_xor_b32 exec_lo, exec_lo, s37
	s_cbranch_execnz .LBB6_3027
.LBB6_1800:                             ;   in Loop: Header=BB6_394 Depth=4
	s_or_b32 exec_lo, exec_lo, s37
	s_and_saveexec_b32 s36, s13
	s_cbranch_execz .LBB6_1802
.LBB6_1801:                             ;   in Loop: Header=BB6_394 Depth=4
	v_and_b32_e32 v23, 7, v12
	v_bfe_u32 v89, v12, 3, 4
	v_lshlrev_b32_e32 v90, 24, v12
	s_delay_alu instid0(VALU_DEP_3) | instskip(NEXT) | instid1(VALU_DEP_3)
	v_clz_i32_u32_e32 v79, v23
	v_cmp_eq_u32_e32 vcc_lo, 0, v89
	s_delay_alu instid0(VALU_DEP_2) | instskip(NEXT) | instid1(VALU_DEP_1)
	v_min_u32_e32 v79, 32, v79
	v_subrev_nc_u32_e32 v88, 28, v79
	v_sub_nc_u32_e32 v79, 29, v79
	s_delay_alu instid0(VALU_DEP_1) | instskip(NEXT) | instid1(VALU_DEP_1)
	v_dual_cndmask_b32 v79, v89, v79 :: v_dual_lshlrev_b32 v88, v88, v12
	v_and_b32_e32 v88, 7, v88
	s_delay_alu instid0(VALU_DEP_2) | instskip(NEXT) | instid1(VALU_DEP_2)
	v_lshl_add_u32 v79, v79, 23, 0x3b800000
	v_dual_cndmask_b32 v23, v23, v88 :: v_dual_and_b32 v88, 0x80000000, v90
	s_delay_alu instid0(VALU_DEP_1) | instskip(NEXT) | instid1(VALU_DEP_1)
	v_lshlrev_b32_e32 v23, 20, v23
	v_or3_b32 v79, v88, v79, v23
.LBB6_1802:                             ;   in Loop: Header=BB6_394 Depth=4
	s_or_b32 exec_lo, exec_lo, s36
	s_waitcnt vmcnt(0)
	v_and_b32_e32 v88, 0xff, v8
	s_mov_b32 s13, 0
	s_mov_b32 s37, exec_lo
                                        ; implicit-def: $sgpr36
	s_delay_alu instid0(VALU_DEP_1)
	v_cmpx_lt_i16_e32 0x7f, v88
	s_xor_b32 s37, exec_lo, s37
	s_cbranch_execnz .LBB6_3028
; %bb.1803:                             ;   in Loop: Header=BB6_394 Depth=4
	s_or_saveexec_b32 s37, s37
	v_mov_b32_e32 v23, s36
	s_xor_b32 exec_lo, exec_lo, s37
	s_cbranch_execnz .LBB6_3031
.LBB6_1804:                             ;   in Loop: Header=BB6_394 Depth=4
	s_or_b32 exec_lo, exec_lo, s37
	s_and_saveexec_b32 s36, s13
	s_cbranch_execz .LBB6_1806
.LBB6_1805:                             ;   in Loop: Header=BB6_394 Depth=4
	v_and_b32_e32 v23, 7, v8
	v_bfe_u32 v90, v8, 3, 4
	v_lshlrev_b32_e32 v91, 24, v8
	s_delay_alu instid0(VALU_DEP_3) | instskip(NEXT) | instid1(VALU_DEP_3)
	v_clz_i32_u32_e32 v88, v23
	v_cmp_eq_u32_e32 vcc_lo, 0, v90
	s_delay_alu instid0(VALU_DEP_2) | instskip(NEXT) | instid1(VALU_DEP_1)
	v_min_u32_e32 v88, 32, v88
	v_subrev_nc_u32_e32 v89, 28, v88
	v_sub_nc_u32_e32 v88, 29, v88
	s_delay_alu instid0(VALU_DEP_2) | instskip(NEXT) | instid1(VALU_DEP_1)
	v_lshlrev_b32_e32 v89, v89, v8
	v_dual_cndmask_b32 v88, v90, v88 :: v_dual_and_b32 v89, 7, v89
	s_delay_alu instid0(VALU_DEP_1) | instskip(NEXT) | instid1(VALU_DEP_2)
	v_lshl_add_u32 v88, v88, 23, 0x3b800000
	v_cndmask_b32_e32 v23, v23, v89, vcc_lo
	v_and_b32_e32 v89, 0x80000000, v91
	s_delay_alu instid0(VALU_DEP_2) | instskip(NEXT) | instid1(VALU_DEP_1)
	v_lshlrev_b32_e32 v23, 20, v23
	v_or3_b32 v23, v89, v88, v23
.LBB6_1806:                             ;   in Loop: Header=BB6_394 Depth=4
	s_or_b32 exec_lo, exec_lo, s36
	s_delay_alu instid0(VALU_DEP_1) | instskip(SKIP_1) | instid1(VALU_DEP_1)
	v_max_f32_e32 v23, v23, v23
	v_max_f32_e32 v79, v79, v79
	v_min_f32_e32 v79, v79, v23
.LBB6_1807:                             ;   in Loop: Header=BB6_394 Depth=4
	s_delay_alu instid0(VALU_DEP_1) | instskip(NEXT) | instid1(VALU_DEP_1)
	v_and_b32_e32 v23, 0x7f800000, v79
	v_cmp_ne_u32_e32 vcc_lo, 0x7f800000, v23
	v_mov_b32_e32 v23, 0x80
	s_and_saveexec_b32 s36, vcc_lo
	s_cbranch_execz .LBB6_1815
; %bb.1808:                             ;   in Loop: Header=BB6_394 Depth=4
	v_mov_b32_e32 v23, 0
	s_mov_b32 s37, exec_lo
	v_cmpx_ne_u32_e32 0, v79
	s_cbranch_execz .LBB6_1814
; %bb.1809:                             ;   in Loop: Header=BB6_394 Depth=4
	v_bfe_u32 v23, v79, 23, 8
	s_delay_alu instid0(VALU_DEP_1) | instskip(SKIP_1) | instid1(VALU_DEP_2)
	v_sub_nc_u32_e32 v89, 0x78, v23
	v_cmp_gt_u32_e32 vcc_lo, 0x79, v23
	v_dual_cndmask_b32 v89, 0, v89 :: v_dual_and_b32 v88, 0x7fffff, v79
	s_delay_alu instid0(VALU_DEP_1) | instskip(SKIP_2) | instid1(VALU_DEP_4)
	v_or_b32_e32 v90, 0x800000, v88
	v_cmp_eq_u32_e32 vcc_lo, 0, v23
	v_add_nc_u32_e32 v23, 0xffffff89, v23
	v_cndmask_b32_e64 v89, v89, 0x77, vcc_lo
	s_delay_alu instid0(VALU_DEP_4) | instskip(NEXT) | instid1(VALU_DEP_3)
	v_cndmask_b32_e32 v88, v90, v88, vcc_lo
	v_cndmask_b32_e64 v23, v23, 0xffffff8a, vcc_lo
	s_delay_alu instid0(VALU_DEP_3) | instskip(NEXT) | instid1(VALU_DEP_3)
	v_lshl_add_u32 v90, 0x100000, v89, -1
	v_lshrrev_b32_e32 v91, v89, v88
	v_lshlrev_b32_e64 v93, v89, 0x80000
	s_delay_alu instid0(VALU_DEP_4) | instskip(NEXT) | instid1(VALU_DEP_4)
	v_add_nc_u32_e32 v89, v89, v23
	v_and_b32_e32 v88, v90, v88
	s_delay_alu instid0(VALU_DEP_4) | instskip(NEXT) | instid1(VALU_DEP_2)
	v_bfe_u32 v92, v91, 20, 1
	v_cmp_eq_u32_e64 s13, v88, v93
	s_delay_alu instid0(VALU_DEP_2) | instskip(NEXT) | instid1(VALU_DEP_1)
	v_add_nc_u32_e32 v90, -1, v92
	v_cndmask_b32_e64 v88, 0, v90, s13
	v_lshrrev_b32_e32 v90, 23, v91
	s_mov_b32 s13, exec_lo
	s_delay_alu instid0(VALU_DEP_2) | instskip(NEXT) | instid1(VALU_DEP_2)
	v_add_nc_u32_e32 v88, v88, v91
	v_xor_b32_e32 v90, 1, v90
	s_delay_alu instid0(VALU_DEP_2) | instskip(NEXT) | instid1(VALU_DEP_1)
	v_and_b32_e32 v23, 0xfffff, v88
	v_add_nc_u32_e32 v88, v23, v91
                                        ; implicit-def: $vgpr23
	s_delay_alu instid0(VALU_DEP_3)
	v_cmpx_ne_u32_e64 v89, v90
	s_xor_b32 s13, exec_lo, s13
; %bb.1810:                             ;   in Loop: Header=BB6_394 Depth=4
	s_delay_alu instid0(VALU_DEP_2) | instskip(SKIP_2) | instid1(VALU_DEP_2)
	v_cmp_lt_u32_e32 vcc_lo, 0xffffff, v88
	v_sub_nc_u32_e32 v23, v89, v90
	v_cndmask_b32_e64 v89, 0, 1, vcc_lo
	v_add_co_ci_u32_e32 v23, vcc_lo, 0, v23, vcc_lo
	s_delay_alu instid0(VALU_DEP_2)
	v_lshrrev_b32_e32 v88, v89, v88
; %bb.1811:                             ;   in Loop: Header=BB6_394 Depth=4
	s_and_not1_saveexec_b32 s13, s13
; %bb.1812:                             ;   in Loop: Header=BB6_394 Depth=4
	s_delay_alu instid0(VALU_DEP_1)
	v_bfe_u32 v23, v88, 23, 1
; %bb.1813:                             ;   in Loop: Header=BB6_394 Depth=4
	s_or_b32 exec_lo, exec_lo, s13
	v_lshrrev_b32_e32 v88, 20, v88
	s_delay_alu instid0(VALU_DEP_2) | instskip(SKIP_2) | instid1(VALU_DEP_2)
	v_cmp_gt_i32_e32 vcc_lo, 16, v23
	v_lshrrev_b32_e32 v79, 24, v79
	v_min_i32_e32 v89, 15, v23
	v_dual_cndmask_b32 v88, 7, v88 :: v_dual_and_b32 v79, 0x80, v79
	s_delay_alu instid0(VALU_DEP_2) | instskip(NEXT) | instid1(VALU_DEP_2)
	v_lshlrev_b32_e32 v89, 3, v89
	v_or_b32_e32 v23, v23, v88
	s_delay_alu instid0(VALU_DEP_1) | instskip(SKIP_1) | instid1(VALU_DEP_1)
	v_cmp_ne_u32_e32 vcc_lo, 0, v23
	v_and_b32_e32 v90, 7, v88
	v_or3_b32 v79, v89, v79, v90
	s_delay_alu instid0(VALU_DEP_1)
	v_cndmask_b32_e32 v23, 0, v79, vcc_lo
.LBB6_1814:                             ;   in Loop: Header=BB6_394 Depth=4
	s_or_b32 exec_lo, exec_lo, s37
.LBB6_1815:                             ;   in Loop: Header=BB6_394 Depth=4
	s_delay_alu instid0(SALU_CYCLE_1) | instskip(SKIP_4) | instid1(VALU_DEP_2)
	s_or_b32 exec_lo, exec_lo, s36
	v_lshrrev_b16 v88, 8, v12
	s_waitcnt vmcnt(0)
	v_lshrrev_b16 v79, 8, v8
	s_and_not1_b32 vcc_lo, exec_lo, s35
	v_cmp_lt_i16_e64 s13, 0x7f, v88
	s_cbranch_vccnz .LBB6_1825
; %bb.1816:                             ;   in Loop: Header=BB6_394 Depth=4
	s_mov_b32 s36, 0
                                        ; implicit-def: $sgpr37
	s_delay_alu instid0(VALU_DEP_1) | instskip(NEXT) | instid1(SALU_CYCLE_1)
	s_and_saveexec_b32 vcc_lo, s13
	s_xor_b32 s13, exec_lo, vcc_lo
	s_cbranch_execnz .LBB6_3032
; %bb.1817:                             ;   in Loop: Header=BB6_394 Depth=4
	s_or_saveexec_b32 s13, s13
	v_mov_b32_e32 v89, s37
	s_xor_b32 exec_lo, exec_lo, s13
	s_cbranch_execnz .LBB6_3035
.LBB6_1818:                             ;   in Loop: Header=BB6_394 Depth=4
	s_or_b32 exec_lo, exec_lo, s13
	s_and_saveexec_b32 s13, s36
	s_cbranch_execz .LBB6_1820
.LBB6_1819:                             ;   in Loop: Header=BB6_394 Depth=4
	v_and_b32_e32 v89, 0xffff, v88
	v_lshlrev_b32_e32 v93, 16, v12
	s_delay_alu instid0(VALU_DEP_2) | instskip(NEXT) | instid1(VALU_DEP_1)
	v_and_b32_e32 v90, 7, v89
	v_clz_i32_u32_e32 v91, v90
	s_delay_alu instid0(VALU_DEP_1) | instskip(NEXT) | instid1(VALU_DEP_1)
	v_min_u32_e32 v91, 32, v91
	v_subrev_nc_u32_e32 v92, 28, v91
	v_sub_nc_u32_e32 v91, 29, v91
	s_delay_alu instid0(VALU_DEP_2) | instskip(SKIP_1) | instid1(VALU_DEP_2)
	v_lshlrev_b32_e32 v92, v92, v89
	v_bfe_u32 v89, v89, 3, 4
	v_and_b32_e32 v92, 7, v92
	s_delay_alu instid0(VALU_DEP_2) | instskip(NEXT) | instid1(VALU_DEP_2)
	v_cmp_eq_u32_e32 vcc_lo, 0, v89
	v_dual_cndmask_b32 v89, v89, v91 :: v_dual_cndmask_b32 v90, v90, v92
	v_and_b32_e32 v91, 0x80000000, v93
	s_delay_alu instid0(VALU_DEP_2) | instskip(NEXT) | instid1(VALU_DEP_3)
	v_lshl_add_u32 v89, v89, 23, 0x3b800000
	v_lshlrev_b32_e32 v90, 20, v90
	s_delay_alu instid0(VALU_DEP_1)
	v_or3_b32 v89, v91, v89, v90
.LBB6_1820:                             ;   in Loop: Header=BB6_394 Depth=4
	s_or_b32 exec_lo, exec_lo, s13
	s_mov_b32 s13, 0
	s_mov_b32 s37, exec_lo
                                        ; implicit-def: $sgpr36
	v_cmpx_lt_i16_e32 0x7f, v79
	s_xor_b32 s37, exec_lo, s37
	s_cbranch_execnz .LBB6_3036
; %bb.1821:                             ;   in Loop: Header=BB6_394 Depth=4
	s_or_saveexec_b32 s37, s37
	v_mov_b32_e32 v90, s36
	s_xor_b32 exec_lo, exec_lo, s37
	s_cbranch_execnz .LBB6_3039
.LBB6_1822:                             ;   in Loop: Header=BB6_394 Depth=4
	s_or_b32 exec_lo, exec_lo, s37
	s_and_saveexec_b32 s36, s13
	s_cbranch_execz .LBB6_1824
.LBB6_1823:                             ;   in Loop: Header=BB6_394 Depth=4
	v_and_b32_e32 v90, 0xffff, v79
	v_lshlrev_b32_e32 v94, 16, v8
	s_delay_alu instid0(VALU_DEP_2) | instskip(NEXT) | instid1(VALU_DEP_1)
	v_and_b32_e32 v91, 7, v90
	v_clz_i32_u32_e32 v92, v91
	s_delay_alu instid0(VALU_DEP_1) | instskip(NEXT) | instid1(VALU_DEP_1)
	v_min_u32_e32 v92, 32, v92
	v_subrev_nc_u32_e32 v93, 28, v92
	v_sub_nc_u32_e32 v92, 29, v92
	s_delay_alu instid0(VALU_DEP_2) | instskip(SKIP_1) | instid1(VALU_DEP_2)
	v_lshlrev_b32_e32 v93, v93, v90
	v_bfe_u32 v90, v90, 3, 4
	v_and_b32_e32 v93, 7, v93
	s_delay_alu instid0(VALU_DEP_2) | instskip(NEXT) | instid1(VALU_DEP_2)
	v_cmp_eq_u32_e32 vcc_lo, 0, v90
	v_dual_cndmask_b32 v90, v90, v92 :: v_dual_cndmask_b32 v91, v91, v93
	v_and_b32_e32 v92, 0x80000000, v94
	s_delay_alu instid0(VALU_DEP_2) | instskip(NEXT) | instid1(VALU_DEP_3)
	v_lshl_add_u32 v90, v90, 23, 0x3b800000
	v_lshlrev_b32_e32 v91, 20, v91
	s_delay_alu instid0(VALU_DEP_1)
	v_or3_b32 v90, v92, v90, v91
.LBB6_1824:                             ;   in Loop: Header=BB6_394 Depth=4
	s_or_b32 exec_lo, exec_lo, s36
	s_delay_alu instid0(VALU_DEP_1) | instskip(SKIP_1) | instid1(VALU_DEP_1)
	v_dual_max_f32 v90, v90, v90 :: v_dual_max_f32 v89, v89, v89
	s_mov_b32 s13, 0
	v_max_f32_e32 v89, v89, v90
	s_branch .LBB6_1826
.LBB6_1825:                             ;   in Loop: Header=BB6_394 Depth=4
	s_mov_b32 s13, -1
                                        ; implicit-def: $vgpr89
.LBB6_1826:                             ;   in Loop: Header=BB6_394 Depth=4
	s_delay_alu instid0(SALU_CYCLE_1)
	s_and_b32 vcc_lo, exec_lo, s13
	s_cbranch_vccz .LBB6_1836
; %bb.1827:                             ;   in Loop: Header=BB6_394 Depth=4
	s_mov_b32 s13, 0
	s_mov_b32 s37, exec_lo
                                        ; implicit-def: $sgpr36
	v_cmpx_lt_i16_e32 0x7f, v88
	s_xor_b32 s37, exec_lo, s37
	s_cbranch_execnz .LBB6_3040
; %bb.1828:                             ;   in Loop: Header=BB6_394 Depth=4
	s_or_saveexec_b32 s37, s37
	v_mov_b32_e32 v89, s36
	s_xor_b32 exec_lo, exec_lo, s37
	s_cbranch_execnz .LBB6_3043
.LBB6_1829:                             ;   in Loop: Header=BB6_394 Depth=4
	s_or_b32 exec_lo, exec_lo, s37
	s_and_saveexec_b32 s36, s13
	s_cbranch_execz .LBB6_1831
.LBB6_1830:                             ;   in Loop: Header=BB6_394 Depth=4
	v_and_b32_e32 v88, 0xffff, v88
	v_lshlrev_b32_e32 v92, 16, v12
	s_delay_alu instid0(VALU_DEP_2) | instskip(NEXT) | instid1(VALU_DEP_1)
	v_and_b32_e32 v89, 7, v88
	v_clz_i32_u32_e32 v90, v89
	s_delay_alu instid0(VALU_DEP_1) | instskip(NEXT) | instid1(VALU_DEP_1)
	v_min_u32_e32 v90, 32, v90
	v_subrev_nc_u32_e32 v91, 28, v90
	v_sub_nc_u32_e32 v90, 29, v90
	s_delay_alu instid0(VALU_DEP_2) | instskip(SKIP_1) | instid1(VALU_DEP_2)
	v_lshlrev_b32_e32 v91, v91, v88
	v_bfe_u32 v88, v88, 3, 4
	v_and_b32_e32 v91, 7, v91
	s_delay_alu instid0(VALU_DEP_2) | instskip(NEXT) | instid1(VALU_DEP_2)
	v_cmp_eq_u32_e32 vcc_lo, 0, v88
	v_dual_cndmask_b32 v88, v88, v90 :: v_dual_cndmask_b32 v89, v89, v91
	v_and_b32_e32 v90, 0x80000000, v92
	s_delay_alu instid0(VALU_DEP_2) | instskip(NEXT) | instid1(VALU_DEP_3)
	v_lshl_add_u32 v88, v88, 23, 0x3b800000
	v_lshlrev_b32_e32 v89, 20, v89
	s_delay_alu instid0(VALU_DEP_1)
	v_or3_b32 v89, v90, v88, v89
.LBB6_1831:                             ;   in Loop: Header=BB6_394 Depth=4
	s_or_b32 exec_lo, exec_lo, s36
	s_mov_b32 s13, 0
	s_mov_b32 s37, exec_lo
                                        ; implicit-def: $sgpr36
	v_cmpx_lt_i16_e32 0x7f, v79
	s_xor_b32 s37, exec_lo, s37
	s_cbranch_execnz .LBB6_3044
; %bb.1832:                             ;   in Loop: Header=BB6_394 Depth=4
	s_or_saveexec_b32 s37, s37
	v_mov_b32_e32 v88, s36
	s_xor_b32 exec_lo, exec_lo, s37
	s_cbranch_execnz .LBB6_3047
.LBB6_1833:                             ;   in Loop: Header=BB6_394 Depth=4
	s_or_b32 exec_lo, exec_lo, s37
	s_and_saveexec_b32 s36, s13
	s_cbranch_execz .LBB6_1835
.LBB6_1834:                             ;   in Loop: Header=BB6_394 Depth=4
	v_and_b32_e32 v79, 0xffff, v79
	v_lshlrev_b32_e32 v92, 16, v8
	s_delay_alu instid0(VALU_DEP_2) | instskip(NEXT) | instid1(VALU_DEP_1)
	v_and_b32_e32 v88, 7, v79
	v_clz_i32_u32_e32 v90, v88
	s_delay_alu instid0(VALU_DEP_1) | instskip(NEXT) | instid1(VALU_DEP_1)
	v_min_u32_e32 v90, 32, v90
	v_subrev_nc_u32_e32 v91, 28, v90
	v_sub_nc_u32_e32 v90, 29, v90
	s_delay_alu instid0(VALU_DEP_2) | instskip(SKIP_1) | instid1(VALU_DEP_2)
	v_lshlrev_b32_e32 v91, v91, v79
	v_bfe_u32 v79, v79, 3, 4
	v_and_b32_e32 v91, 7, v91
	s_delay_alu instid0(VALU_DEP_2) | instskip(NEXT) | instid1(VALU_DEP_2)
	v_cmp_eq_u32_e32 vcc_lo, 0, v79
	v_dual_cndmask_b32 v79, v79, v90 :: v_dual_cndmask_b32 v88, v88, v91
	v_and_b32_e32 v90, 0x80000000, v92
	s_delay_alu instid0(VALU_DEP_2) | instskip(NEXT) | instid1(VALU_DEP_3)
	v_lshl_add_u32 v79, v79, 23, 0x3b800000
	v_lshlrev_b32_e32 v88, 20, v88
	s_delay_alu instid0(VALU_DEP_1)
	v_or3_b32 v88, v90, v79, v88
.LBB6_1835:                             ;   in Loop: Header=BB6_394 Depth=4
	s_or_b32 exec_lo, exec_lo, s36
	s_delay_alu instid0(VALU_DEP_1) | instskip(NEXT) | instid1(VALU_DEP_1)
	v_dual_max_f32 v79, v88, v88 :: v_dual_max_f32 v88, v89, v89
	v_min_f32_e32 v89, v88, v79
.LBB6_1836:                             ;   in Loop: Header=BB6_394 Depth=4
	s_delay_alu instid0(VALU_DEP_1) | instskip(NEXT) | instid1(VALU_DEP_1)
	v_and_b32_e32 v79, 0x7f800000, v89
	v_cmp_ne_u32_e32 vcc_lo, 0x7f800000, v79
	v_mov_b32_e32 v79, 0x80
	s_and_saveexec_b32 s36, vcc_lo
	s_cbranch_execz .LBB6_1844
; %bb.1837:                             ;   in Loop: Header=BB6_394 Depth=4
	v_mov_b32_e32 v79, 0
	s_mov_b32 s37, exec_lo
	v_cmpx_ne_u32_e32 0, v89
	s_cbranch_execz .LBB6_1843
; %bb.1838:                             ;   in Loop: Header=BB6_394 Depth=4
	v_bfe_u32 v79, v89, 23, 8
	v_and_b32_e32 v88, 0x7fffff, v89
	s_delay_alu instid0(VALU_DEP_2) | instskip(SKIP_1) | instid1(VALU_DEP_3)
	v_sub_nc_u32_e32 v90, 0x78, v79
	v_cmp_gt_u32_e32 vcc_lo, 0x79, v79
	v_or_b32_e32 v91, 0x800000, v88
	s_delay_alu instid0(VALU_DEP_3) | instskip(SKIP_2) | instid1(VALU_DEP_3)
	v_cndmask_b32_e32 v90, 0, v90, vcc_lo
	v_cmp_eq_u32_e32 vcc_lo, 0, v79
	v_add_nc_u32_e32 v79, 0xffffff89, v79
	v_cndmask_b32_e64 v90, v90, 0x77, vcc_lo
	v_cndmask_b32_e32 v88, v91, v88, vcc_lo
	s_delay_alu instid0(VALU_DEP_3) | instskip(NEXT) | instid1(VALU_DEP_3)
	v_cndmask_b32_e64 v79, v79, 0xffffff8a, vcc_lo
	v_lshl_add_u32 v91, 0x100000, v90, -1
	s_delay_alu instid0(VALU_DEP_3) | instskip(SKIP_1) | instid1(VALU_DEP_4)
	v_lshrrev_b32_e32 v92, v90, v88
	v_lshlrev_b32_e64 v94, v90, 0x80000
	v_add_nc_u32_e32 v90, v90, v79
	s_delay_alu instid0(VALU_DEP_4) | instskip(NEXT) | instid1(VALU_DEP_4)
	v_and_b32_e32 v88, v91, v88
	v_bfe_u32 v93, v92, 20, 1
	s_delay_alu instid0(VALU_DEP_2) | instskip(NEXT) | instid1(VALU_DEP_2)
	v_cmp_eq_u32_e64 s13, v88, v94
	v_add_nc_u32_e32 v91, -1, v93
	s_delay_alu instid0(VALU_DEP_1) | instskip(SKIP_2) | instid1(VALU_DEP_2)
	v_cndmask_b32_e64 v88, 0, v91, s13
	v_lshrrev_b32_e32 v91, 23, v92
	s_mov_b32 s13, exec_lo
	v_add_nc_u32_e32 v88, v88, v92
	s_delay_alu instid0(VALU_DEP_2) | instskip(NEXT) | instid1(VALU_DEP_2)
	v_xor_b32_e32 v91, 1, v91
	v_and_b32_e32 v79, 0xfffff, v88
	s_delay_alu instid0(VALU_DEP_1) | instskip(NEXT) | instid1(VALU_DEP_3)
	v_add_nc_u32_e32 v88, v79, v92
                                        ; implicit-def: $vgpr79
	v_cmpx_ne_u32_e64 v90, v91
	s_xor_b32 s13, exec_lo, s13
; %bb.1839:                             ;   in Loop: Header=BB6_394 Depth=4
	s_delay_alu instid0(VALU_DEP_2) | instskip(SKIP_2) | instid1(VALU_DEP_2)
	v_cmp_lt_u32_e32 vcc_lo, 0xffffff, v88
	v_sub_nc_u32_e32 v79, v90, v91
	v_cndmask_b32_e64 v90, 0, 1, vcc_lo
	v_add_co_ci_u32_e32 v79, vcc_lo, 0, v79, vcc_lo
	s_delay_alu instid0(VALU_DEP_2)
	v_lshrrev_b32_e32 v88, v90, v88
; %bb.1840:                             ;   in Loop: Header=BB6_394 Depth=4
	s_and_not1_saveexec_b32 s13, s13
; %bb.1841:                             ;   in Loop: Header=BB6_394 Depth=4
	s_delay_alu instid0(VALU_DEP_1)
	v_bfe_u32 v79, v88, 23, 1
; %bb.1842:                             ;   in Loop: Header=BB6_394 Depth=4
	s_or_b32 exec_lo, exec_lo, s13
	v_lshrrev_b32_e32 v88, 20, v88
	s_delay_alu instid0(VALU_DEP_2) | instskip(SKIP_2) | instid1(VALU_DEP_2)
	v_cmp_gt_i32_e32 vcc_lo, 16, v79
	v_lshrrev_b32_e32 v89, 24, v89
	v_min_i32_e32 v90, 15, v79
	v_dual_cndmask_b32 v88, 7, v88 :: v_dual_and_b32 v89, 0x80, v89
	s_delay_alu instid0(VALU_DEP_1) | instskip(SKIP_1) | instid1(VALU_DEP_2)
	v_or_b32_e32 v79, v79, v88
	v_and_b32_e32 v91, 7, v88
	v_cmp_ne_u32_e32 vcc_lo, 0, v79
	v_lshlrev_b32_e32 v90, 3, v90
	s_delay_alu instid0(VALU_DEP_1) | instskip(NEXT) | instid1(VALU_DEP_1)
	v_or3_b32 v88, v90, v89, v91
	v_cndmask_b32_e32 v79, 0, v88, vcc_lo
.LBB6_1843:                             ;   in Loop: Header=BB6_394 Depth=4
	s_or_b32 exec_lo, exec_lo, s37
.LBB6_1844:                             ;   in Loop: Header=BB6_394 Depth=4
	s_delay_alu instid0(SALU_CYCLE_1) | instskip(SKIP_3) | instid1(VALU_DEP_2)
	s_or_b32 exec_lo, exec_lo, s36
	v_lshrrev_b32_e32 v89, 16, v12
	v_lshrrev_b32_e32 v88, 16, v8
	s_and_not1_b32 vcc_lo, exec_lo, s35
	v_and_b32_e32 v90, 0xff, v89
	s_delay_alu instid0(VALU_DEP_1)
	v_cmp_lt_i16_e64 s13, 0x7f, v90
	s_cbranch_vccnz .LBB6_1854
; %bb.1845:                             ;   in Loop: Header=BB6_394 Depth=4
	s_mov_b32 s36, 0
                                        ; implicit-def: $sgpr37
	s_delay_alu instid0(VALU_DEP_1) | instskip(NEXT) | instid1(SALU_CYCLE_1)
	s_and_saveexec_b32 vcc_lo, s13
	s_xor_b32 s13, exec_lo, vcc_lo
	s_cbranch_execnz .LBB6_3048
; %bb.1846:                             ;   in Loop: Header=BB6_394 Depth=4
	s_or_saveexec_b32 s13, s13
	v_mov_b32_e32 v91, s37
	s_xor_b32 exec_lo, exec_lo, s13
	s_cbranch_execnz .LBB6_3051
.LBB6_1847:                             ;   in Loop: Header=BB6_394 Depth=4
	s_or_b32 exec_lo, exec_lo, s13
	s_and_saveexec_b32 s13, s36
	s_cbranch_execz .LBB6_1849
.LBB6_1848:                             ;   in Loop: Header=BB6_394 Depth=4
	v_bfe_u32 v91, v12, 16, 3
	v_bfe_u32 v94, v12, 19, 4
	v_lshlrev_b32_e32 v95, 24, v89
	s_delay_alu instid0(VALU_DEP_3) | instskip(NEXT) | instid1(VALU_DEP_3)
	v_clz_i32_u32_e32 v92, v91
	v_cmp_eq_u32_e32 vcc_lo, 0, v94
	s_delay_alu instid0(VALU_DEP_2) | instskip(NEXT) | instid1(VALU_DEP_1)
	v_min_u32_e32 v92, 32, v92
	v_subrev_nc_u32_e32 v93, 28, v92
	v_sub_nc_u32_e32 v92, 29, v92
	s_delay_alu instid0(VALU_DEP_1) | instskip(NEXT) | instid1(VALU_DEP_1)
	v_dual_cndmask_b32 v92, v94, v92 :: v_dual_lshlrev_b32 v93, v93, v89
	v_and_b32_e32 v93, 7, v93
	s_delay_alu instid0(VALU_DEP_2) | instskip(NEXT) | instid1(VALU_DEP_2)
	v_lshl_add_u32 v92, v92, 23, 0x3b800000
	v_cndmask_b32_e32 v91, v91, v93, vcc_lo
	v_and_b32_e32 v93, 0x80000000, v95
	s_delay_alu instid0(VALU_DEP_2) | instskip(NEXT) | instid1(VALU_DEP_1)
	v_lshlrev_b32_e32 v91, 20, v91
	v_or3_b32 v91, v93, v92, v91
.LBB6_1849:                             ;   in Loop: Header=BB6_394 Depth=4
	s_or_b32 exec_lo, exec_lo, s13
	v_and_b32_e32 v93, 0xff, v88
	s_mov_b32 s13, 0
	s_mov_b32 s37, exec_lo
                                        ; implicit-def: $sgpr36
	s_delay_alu instid0(VALU_DEP_1)
	v_cmpx_lt_i16_e32 0x7f, v93
	s_xor_b32 s37, exec_lo, s37
	s_cbranch_execnz .LBB6_3052
; %bb.1850:                             ;   in Loop: Header=BB6_394 Depth=4
	s_or_saveexec_b32 s37, s37
	v_mov_b32_e32 v92, s36
	s_xor_b32 exec_lo, exec_lo, s37
	s_cbranch_execnz .LBB6_3055
.LBB6_1851:                             ;   in Loop: Header=BB6_394 Depth=4
	s_or_b32 exec_lo, exec_lo, s37
	s_and_saveexec_b32 s36, s13
	s_cbranch_execz .LBB6_1853
.LBB6_1852:                             ;   in Loop: Header=BB6_394 Depth=4
	v_bfe_u32 v92, v8, 16, 3
	v_bfe_u32 v95, v8, 19, 4
	v_lshlrev_b32_e32 v104, 24, v88
	s_delay_alu instid0(VALU_DEP_3) | instskip(NEXT) | instid1(VALU_DEP_3)
	v_clz_i32_u32_e32 v93, v92
	v_cmp_eq_u32_e32 vcc_lo, 0, v95
	s_delay_alu instid0(VALU_DEP_2) | instskip(NEXT) | instid1(VALU_DEP_1)
	v_min_u32_e32 v93, 32, v93
	v_subrev_nc_u32_e32 v94, 28, v93
	v_sub_nc_u32_e32 v93, 29, v93
	s_delay_alu instid0(VALU_DEP_1) | instskip(NEXT) | instid1(VALU_DEP_1)
	v_dual_cndmask_b32 v93, v95, v93 :: v_dual_lshlrev_b32 v94, v94, v88
	v_and_b32_e32 v94, 7, v94
	s_delay_alu instid0(VALU_DEP_2) | instskip(NEXT) | instid1(VALU_DEP_2)
	v_lshl_add_u32 v93, v93, 23, 0x3b800000
	v_cndmask_b32_e32 v92, v92, v94, vcc_lo
	v_and_b32_e32 v94, 0x80000000, v104
	s_delay_alu instid0(VALU_DEP_2) | instskip(NEXT) | instid1(VALU_DEP_1)
	v_lshlrev_b32_e32 v92, 20, v92
	v_or3_b32 v92, v94, v93, v92
.LBB6_1853:                             ;   in Loop: Header=BB6_394 Depth=4
	s_or_b32 exec_lo, exec_lo, s36
	s_delay_alu instid0(VALU_DEP_1) | instskip(SKIP_1) | instid1(VALU_DEP_1)
	v_dual_max_f32 v92, v92, v92 :: v_dual_max_f32 v91, v91, v91
	s_mov_b32 s13, 0
	v_max_f32_e32 v91, v91, v92
	s_branch .LBB6_1855
.LBB6_1854:                             ;   in Loop: Header=BB6_394 Depth=4
	s_mov_b32 s13, -1
                                        ; implicit-def: $vgpr91
.LBB6_1855:                             ;   in Loop: Header=BB6_394 Depth=4
	s_delay_alu instid0(SALU_CYCLE_1)
	s_and_b32 vcc_lo, exec_lo, s13
	s_cbranch_vccz .LBB6_1865
; %bb.1856:                             ;   in Loop: Header=BB6_394 Depth=4
	s_mov_b32 s13, 0
	s_mov_b32 s37, exec_lo
                                        ; implicit-def: $sgpr36
	v_cmpx_lt_i16_e32 0x7f, v90
	s_xor_b32 s37, exec_lo, s37
	s_cbranch_execnz .LBB6_3056
; %bb.1857:                             ;   in Loop: Header=BB6_394 Depth=4
	s_or_saveexec_b32 s37, s37
	v_mov_b32_e32 v91, s36
	s_xor_b32 exec_lo, exec_lo, s37
	s_cbranch_execnz .LBB6_3059
.LBB6_1858:                             ;   in Loop: Header=BB6_394 Depth=4
	s_or_b32 exec_lo, exec_lo, s37
	s_and_saveexec_b32 s36, s13
	s_cbranch_execz .LBB6_1860
.LBB6_1859:                             ;   in Loop: Header=BB6_394 Depth=4
	v_bfe_u32 v90, v12, 16, 3
	v_bfe_u32 v93, v12, 19, 4
	s_delay_alu instid0(VALU_DEP_2) | instskip(NEXT) | instid1(VALU_DEP_2)
	v_clz_i32_u32_e32 v91, v90
	v_cmp_eq_u32_e32 vcc_lo, 0, v93
	s_delay_alu instid0(VALU_DEP_2) | instskip(NEXT) | instid1(VALU_DEP_1)
	v_min_u32_e32 v91, 32, v91
	v_subrev_nc_u32_e32 v92, 28, v91
	v_sub_nc_u32_e32 v91, 29, v91
	s_delay_alu instid0(VALU_DEP_1) | instskip(NEXT) | instid1(VALU_DEP_1)
	v_dual_cndmask_b32 v91, v93, v91 :: v_dual_lshlrev_b32 v92, v92, v89
	v_and_b32_e32 v92, 7, v92
	v_lshlrev_b32_e32 v89, 24, v89
	s_delay_alu instid0(VALU_DEP_3) | instskip(NEXT) | instid1(VALU_DEP_2)
	v_lshl_add_u32 v91, v91, 23, 0x3b800000
	v_dual_cndmask_b32 v90, v90, v92 :: v_dual_and_b32 v89, 0x80000000, v89
	s_delay_alu instid0(VALU_DEP_1) | instskip(NEXT) | instid1(VALU_DEP_1)
	v_lshlrev_b32_e32 v90, 20, v90
	v_or3_b32 v91, v89, v91, v90
.LBB6_1860:                             ;   in Loop: Header=BB6_394 Depth=4
	s_or_b32 exec_lo, exec_lo, s36
	v_and_b32_e32 v90, 0xff, v88
	s_mov_b32 s13, 0
	s_mov_b32 s37, exec_lo
                                        ; implicit-def: $sgpr36
	s_delay_alu instid0(VALU_DEP_1)
	v_cmpx_lt_i16_e32 0x7f, v90
	s_xor_b32 s37, exec_lo, s37
	s_cbranch_execnz .LBB6_3060
; %bb.1861:                             ;   in Loop: Header=BB6_394 Depth=4
	s_or_saveexec_b32 s37, s37
	v_mov_b32_e32 v89, s36
	s_xor_b32 exec_lo, exec_lo, s37
	s_cbranch_execnz .LBB6_3063
.LBB6_1862:                             ;   in Loop: Header=BB6_394 Depth=4
	s_or_b32 exec_lo, exec_lo, s37
	s_and_saveexec_b32 s36, s13
	s_cbranch_execz .LBB6_1864
.LBB6_1863:                             ;   in Loop: Header=BB6_394 Depth=4
	v_bfe_u32 v89, v8, 16, 3
	v_bfe_u32 v93, v8, 19, 4
	s_delay_alu instid0(VALU_DEP_2) | instskip(NEXT) | instid1(VALU_DEP_2)
	v_clz_i32_u32_e32 v90, v89
	v_cmp_eq_u32_e32 vcc_lo, 0, v93
	s_delay_alu instid0(VALU_DEP_2) | instskip(NEXT) | instid1(VALU_DEP_1)
	v_min_u32_e32 v90, 32, v90
	v_subrev_nc_u32_e32 v92, 28, v90
	v_sub_nc_u32_e32 v90, 29, v90
	s_delay_alu instid0(VALU_DEP_2) | instskip(SKIP_1) | instid1(VALU_DEP_2)
	v_lshlrev_b32_e32 v92, v92, v88
	v_lshlrev_b32_e32 v88, 24, v88
	v_and_b32_e32 v92, 7, v92
	s_delay_alu instid0(VALU_DEP_2) | instskip(NEXT) | instid1(VALU_DEP_2)
	v_and_b32_e32 v88, 0x80000000, v88
	v_cndmask_b32_e32 v89, v89, v92, vcc_lo
	s_delay_alu instid0(VALU_DEP_1) | instskip(NEXT) | instid1(VALU_DEP_1)
	v_dual_cndmask_b32 v90, v93, v90 :: v_dual_lshlrev_b32 v89, 20, v89
	v_lshl_add_u32 v90, v90, 23, 0x3b800000
	s_delay_alu instid0(VALU_DEP_1)
	v_or3_b32 v89, v88, v90, v89
.LBB6_1864:                             ;   in Loop: Header=BB6_394 Depth=4
	s_or_b32 exec_lo, exec_lo, s36
	s_delay_alu instid0(VALU_DEP_1) | instskip(NEXT) | instid1(VALU_DEP_1)
	v_dual_max_f32 v88, v89, v89 :: v_dual_max_f32 v89, v91, v91
	v_min_f32_e32 v91, v89, v88
.LBB6_1865:                             ;   in Loop: Header=BB6_394 Depth=4
	s_delay_alu instid0(VALU_DEP_1) | instskip(NEXT) | instid1(VALU_DEP_1)
	v_and_b32_e32 v88, 0x7f800000, v91
	v_cmp_ne_u32_e32 vcc_lo, 0x7f800000, v88
	v_mov_b32_e32 v88, 0x80
	s_and_saveexec_b32 s36, vcc_lo
	s_cbranch_execz .LBB6_1873
; %bb.1866:                             ;   in Loop: Header=BB6_394 Depth=4
	v_mov_b32_e32 v88, 0
	s_mov_b32 s37, exec_lo
	v_cmpx_ne_u32_e32 0, v91
	s_cbranch_execz .LBB6_1872
; %bb.1867:                             ;   in Loop: Header=BB6_394 Depth=4
	v_bfe_u32 v88, v91, 23, 8
	s_delay_alu instid0(VALU_DEP_1) | instskip(SKIP_1) | instid1(VALU_DEP_2)
	v_sub_nc_u32_e32 v90, 0x78, v88
	v_cmp_gt_u32_e32 vcc_lo, 0x79, v88
	v_dual_cndmask_b32 v90, 0, v90 :: v_dual_and_b32 v89, 0x7fffff, v91
	s_delay_alu instid0(VALU_DEP_1) | instskip(SKIP_2) | instid1(VALU_DEP_4)
	v_or_b32_e32 v92, 0x800000, v89
	v_cmp_eq_u32_e32 vcc_lo, 0, v88
	v_add_nc_u32_e32 v88, 0xffffff89, v88
	v_cndmask_b32_e64 v90, v90, 0x77, vcc_lo
	s_delay_alu instid0(VALU_DEP_4) | instskip(NEXT) | instid1(VALU_DEP_3)
	v_cndmask_b32_e32 v89, v92, v89, vcc_lo
	v_cndmask_b32_e64 v88, v88, 0xffffff8a, vcc_lo
	s_delay_alu instid0(VALU_DEP_3) | instskip(NEXT) | instid1(VALU_DEP_3)
	v_lshl_add_u32 v92, 0x100000, v90, -1
	v_lshrrev_b32_e32 v93, v90, v89
	v_lshlrev_b32_e64 v95, v90, 0x80000
	s_delay_alu instid0(VALU_DEP_4) | instskip(NEXT) | instid1(VALU_DEP_4)
	v_add_nc_u32_e32 v90, v90, v88
	v_and_b32_e32 v89, v92, v89
	s_delay_alu instid0(VALU_DEP_4) | instskip(NEXT) | instid1(VALU_DEP_2)
	v_bfe_u32 v94, v93, 20, 1
	v_cmp_eq_u32_e64 s13, v89, v95
	s_delay_alu instid0(VALU_DEP_2) | instskip(NEXT) | instid1(VALU_DEP_1)
	v_add_nc_u32_e32 v92, -1, v94
	v_cndmask_b32_e64 v89, 0, v92, s13
	v_lshrrev_b32_e32 v92, 23, v93
	s_mov_b32 s13, exec_lo
	s_delay_alu instid0(VALU_DEP_2) | instskip(NEXT) | instid1(VALU_DEP_2)
	v_add_nc_u32_e32 v89, v89, v93
	v_xor_b32_e32 v92, 1, v92
	s_delay_alu instid0(VALU_DEP_2) | instskip(NEXT) | instid1(VALU_DEP_1)
	v_and_b32_e32 v88, 0xfffff, v89
	v_add_nc_u32_e32 v89, v88, v93
                                        ; implicit-def: $vgpr88
	s_delay_alu instid0(VALU_DEP_3)
	v_cmpx_ne_u32_e64 v90, v92
	s_xor_b32 s13, exec_lo, s13
; %bb.1868:                             ;   in Loop: Header=BB6_394 Depth=4
	s_delay_alu instid0(VALU_DEP_2) | instskip(SKIP_2) | instid1(VALU_DEP_2)
	v_cmp_lt_u32_e32 vcc_lo, 0xffffff, v89
	v_sub_nc_u32_e32 v88, v90, v92
	v_cndmask_b32_e64 v90, 0, 1, vcc_lo
	v_add_co_ci_u32_e32 v88, vcc_lo, 0, v88, vcc_lo
	s_delay_alu instid0(VALU_DEP_2)
	v_lshrrev_b32_e32 v89, v90, v89
; %bb.1869:                             ;   in Loop: Header=BB6_394 Depth=4
	s_and_not1_saveexec_b32 s13, s13
; %bb.1870:                             ;   in Loop: Header=BB6_394 Depth=4
	s_delay_alu instid0(VALU_DEP_1)
	v_bfe_u32 v88, v89, 23, 1
; %bb.1871:                             ;   in Loop: Header=BB6_394 Depth=4
	s_or_b32 exec_lo, exec_lo, s13
	v_lshrrev_b32_e32 v89, 20, v89
	s_delay_alu instid0(VALU_DEP_2) | instskip(SKIP_2) | instid1(VALU_DEP_2)
	v_cmp_gt_i32_e32 vcc_lo, 16, v88
	v_lshrrev_b32_e32 v90, 24, v91
	v_min_i32_e32 v91, 15, v88
	v_dual_cndmask_b32 v89, 7, v89 :: v_dual_and_b32 v90, 0x80, v90
	s_delay_alu instid0(VALU_DEP_1) | instskip(SKIP_1) | instid1(VALU_DEP_2)
	v_or_b32_e32 v88, v88, v89
	v_and_b32_e32 v92, 7, v89
	v_cmp_ne_u32_e32 vcc_lo, 0, v88
	v_lshlrev_b32_e32 v91, 3, v91
	s_delay_alu instid0(VALU_DEP_1) | instskip(NEXT) | instid1(VALU_DEP_1)
	v_or3_b32 v89, v91, v90, v92
	v_cndmask_b32_e32 v88, 0, v89, vcc_lo
.LBB6_1872:                             ;   in Loop: Header=BB6_394 Depth=4
	s_or_b32 exec_lo, exec_lo, s37
.LBB6_1873:                             ;   in Loop: Header=BB6_394 Depth=4
	s_delay_alu instid0(SALU_CYCLE_1) | instskip(SKIP_3) | instid1(VALU_DEP_2)
	s_or_b32 exec_lo, exec_lo, s36
	v_lshrrev_b32_e32 v90, 24, v12
	v_lshrrev_b32_e32 v89, 24, v8
	s_and_not1_b32 vcc_lo, exec_lo, s35
	v_cmp_lt_i16_e64 s13, 0x7f, v90
	s_cbranch_vccnz .LBB6_1883
; %bb.1874:                             ;   in Loop: Header=BB6_394 Depth=4
	s_mov_b32 s36, 0
                                        ; implicit-def: $sgpr37
	s_delay_alu instid0(VALU_DEP_1) | instskip(NEXT) | instid1(SALU_CYCLE_1)
	s_and_saveexec_b32 vcc_lo, s13
	s_xor_b32 s13, exec_lo, vcc_lo
	s_cbranch_execnz .LBB6_3064
; %bb.1875:                             ;   in Loop: Header=BB6_394 Depth=4
	s_or_saveexec_b32 s13, s13
	v_mov_b32_e32 v91, s37
	s_xor_b32 exec_lo, exec_lo, s13
	s_cbranch_execnz .LBB6_3067
.LBB6_1876:                             ;   in Loop: Header=BB6_394 Depth=4
	s_or_b32 exec_lo, exec_lo, s13
	s_and_saveexec_b32 s13, s36
	s_cbranch_execz .LBB6_1878
.LBB6_1877:                             ;   in Loop: Header=BB6_394 Depth=4
	v_bfe_u32 v91, v12, 24, 3
	v_bfe_u32 v94, v12, 27, 4
	s_delay_alu instid0(VALU_DEP_2) | instskip(NEXT) | instid1(VALU_DEP_2)
	v_clz_i32_u32_e32 v92, v91
	v_cmp_eq_u32_e32 vcc_lo, 0, v94
	s_delay_alu instid0(VALU_DEP_2) | instskip(NEXT) | instid1(VALU_DEP_1)
	v_min_u32_e32 v92, 32, v92
	v_subrev_nc_u32_e32 v93, 28, v92
	v_sub_nc_u32_e32 v92, 29, v92
	s_delay_alu instid0(VALU_DEP_1) | instskip(NEXT) | instid1(VALU_DEP_1)
	v_dual_cndmask_b32 v92, v94, v92 :: v_dual_lshlrev_b32 v93, v93, v90
	v_and_b32_e32 v93, 7, v93
	s_delay_alu instid0(VALU_DEP_2) | instskip(NEXT) | instid1(VALU_DEP_2)
	v_lshl_add_u32 v92, v92, 23, 0x3b800000
	v_cndmask_b32_e32 v91, v91, v93, vcc_lo
	v_and_b32_e32 v93, 0x80000000, v12
	s_delay_alu instid0(VALU_DEP_2) | instskip(NEXT) | instid1(VALU_DEP_1)
	v_lshlrev_b32_e32 v91, 20, v91
	v_or3_b32 v91, v93, v92, v91
.LBB6_1878:                             ;   in Loop: Header=BB6_394 Depth=4
	s_or_b32 exec_lo, exec_lo, s13
	s_mov_b32 s13, 0
	s_mov_b32 s37, exec_lo
                                        ; implicit-def: $sgpr36
	v_cmpx_lt_i16_e32 0x7f, v89
	s_xor_b32 s37, exec_lo, s37
	s_cbranch_execnz .LBB6_3068
; %bb.1879:                             ;   in Loop: Header=BB6_394 Depth=4
	s_or_saveexec_b32 s37, s37
	v_mov_b32_e32 v92, s36
	s_xor_b32 exec_lo, exec_lo, s37
	s_cbranch_execnz .LBB6_3071
.LBB6_1880:                             ;   in Loop: Header=BB6_394 Depth=4
	s_or_b32 exec_lo, exec_lo, s37
	s_and_saveexec_b32 s36, s13
	s_cbranch_execz .LBB6_1882
.LBB6_1881:                             ;   in Loop: Header=BB6_394 Depth=4
	v_bfe_u32 v92, v8, 24, 3
	v_bfe_u32 v95, v8, 27, 4
	s_delay_alu instid0(VALU_DEP_2) | instskip(NEXT) | instid1(VALU_DEP_2)
	v_clz_i32_u32_e32 v93, v92
	v_cmp_eq_u32_e32 vcc_lo, 0, v95
	s_delay_alu instid0(VALU_DEP_2) | instskip(NEXT) | instid1(VALU_DEP_1)
	v_min_u32_e32 v93, 32, v93
	v_subrev_nc_u32_e32 v94, 28, v93
	v_sub_nc_u32_e32 v93, 29, v93
	s_delay_alu instid0(VALU_DEP_2) | instskip(NEXT) | instid1(VALU_DEP_1)
	v_lshlrev_b32_e32 v94, v94, v89
	v_dual_cndmask_b32 v93, v95, v93 :: v_dual_and_b32 v94, 7, v94
	s_delay_alu instid0(VALU_DEP_1) | instskip(NEXT) | instid1(VALU_DEP_2)
	v_lshl_add_u32 v93, v93, 23, 0x3b800000
	v_cndmask_b32_e32 v92, v92, v94, vcc_lo
	v_and_b32_e32 v94, 0x80000000, v8
	s_delay_alu instid0(VALU_DEP_2) | instskip(NEXT) | instid1(VALU_DEP_1)
	v_lshlrev_b32_e32 v92, 20, v92
	v_or3_b32 v92, v94, v93, v92
.LBB6_1882:                             ;   in Loop: Header=BB6_394 Depth=4
	s_or_b32 exec_lo, exec_lo, s36
	s_delay_alu instid0(VALU_DEP_1) | instskip(SKIP_1) | instid1(VALU_DEP_1)
	v_dual_max_f32 v92, v92, v92 :: v_dual_max_f32 v91, v91, v91
	s_mov_b32 s13, 0
	v_max_f32_e32 v91, v91, v92
	s_branch .LBB6_1884
.LBB6_1883:                             ;   in Loop: Header=BB6_394 Depth=4
	s_mov_b32 s13, -1
                                        ; implicit-def: $vgpr91
.LBB6_1884:                             ;   in Loop: Header=BB6_394 Depth=4
	s_delay_alu instid0(SALU_CYCLE_1)
	s_and_b32 vcc_lo, exec_lo, s13
	s_cbranch_vccz .LBB6_1894
; %bb.1885:                             ;   in Loop: Header=BB6_394 Depth=4
	s_mov_b32 s13, 0
	s_mov_b32 s37, exec_lo
                                        ; implicit-def: $sgpr36
	v_cmpx_lt_i16_e32 0x7f, v90
	s_xor_b32 s37, exec_lo, s37
	s_cbranch_execnz .LBB6_3072
; %bb.1886:                             ;   in Loop: Header=BB6_394 Depth=4
	s_or_saveexec_b32 s37, s37
	v_mov_b32_e32 v91, s36
	s_xor_b32 exec_lo, exec_lo, s37
	s_cbranch_execnz .LBB6_3075
.LBB6_1887:                             ;   in Loop: Header=BB6_394 Depth=4
	s_or_b32 exec_lo, exec_lo, s37
	s_and_saveexec_b32 s36, s13
	s_cbranch_execz .LBB6_1889
.LBB6_1888:                             ;   in Loop: Header=BB6_394 Depth=4
	v_bfe_u32 v91, v12, 24, 3
	s_delay_alu instid0(VALU_DEP_1) | instskip(NEXT) | instid1(VALU_DEP_1)
	v_clz_i32_u32_e32 v92, v91
	v_min_u32_e32 v92, 32, v92
	s_delay_alu instid0(VALU_DEP_1) | instskip(SKIP_1) | instid1(VALU_DEP_2)
	v_subrev_nc_u32_e32 v93, 28, v92
	v_sub_nc_u32_e32 v92, 29, v92
	v_lshlrev_b32_e32 v90, v93, v90
	v_bfe_u32 v93, v12, 27, 4
	v_and_b32_e32 v12, 0x80000000, v12
	s_delay_alu instid0(VALU_DEP_3) | instskip(NEXT) | instid1(VALU_DEP_3)
	v_and_b32_e32 v90, 7, v90
	v_cmp_eq_u32_e32 vcc_lo, 0, v93
	v_cndmask_b32_e32 v92, v93, v92, vcc_lo
	s_delay_alu instid0(VALU_DEP_3) | instskip(NEXT) | instid1(VALU_DEP_2)
	v_cndmask_b32_e32 v90, v91, v90, vcc_lo
	v_lshl_add_u32 v91, v92, 23, 0x3b800000
	s_delay_alu instid0(VALU_DEP_2) | instskip(NEXT) | instid1(VALU_DEP_1)
	v_lshlrev_b32_e32 v90, 20, v90
	v_or3_b32 v91, v12, v91, v90
.LBB6_1889:                             ;   in Loop: Header=BB6_394 Depth=4
	s_or_b32 exec_lo, exec_lo, s36
	s_mov_b32 s13, 0
	s_mov_b32 s37, exec_lo
                                        ; implicit-def: $sgpr36
	v_cmpx_lt_i16_e32 0x7f, v89
	s_xor_b32 s37, exec_lo, s37
	s_cbranch_execnz .LBB6_3076
; %bb.1890:                             ;   in Loop: Header=BB6_394 Depth=4
	s_or_saveexec_b32 s37, s37
	v_mov_b32_e32 v12, s36
	s_xor_b32 exec_lo, exec_lo, s37
	s_cbranch_execnz .LBB6_3079
.LBB6_1891:                             ;   in Loop: Header=BB6_394 Depth=4
	s_or_b32 exec_lo, exec_lo, s37
	s_and_saveexec_b32 s36, s13
	s_cbranch_execz .LBB6_1893
.LBB6_1892:                             ;   in Loop: Header=BB6_394 Depth=4
	v_bfe_u32 v12, v8, 24, 3
	s_delay_alu instid0(VALU_DEP_1) | instskip(NEXT) | instid1(VALU_DEP_1)
	v_clz_i32_u32_e32 v90, v12
	v_min_u32_e32 v90, 32, v90
	s_delay_alu instid0(VALU_DEP_1) | instskip(SKIP_1) | instid1(VALU_DEP_2)
	v_subrev_nc_u32_e32 v92, 28, v90
	v_sub_nc_u32_e32 v90, 29, v90
	v_lshlrev_b32_e32 v89, v92, v89
	v_bfe_u32 v92, v8, 27, 4
	v_and_b32_e32 v8, 0x80000000, v8
	s_delay_alu instid0(VALU_DEP_2) | instskip(NEXT) | instid1(VALU_DEP_4)
	v_cmp_eq_u32_e32 vcc_lo, 0, v92
	v_dual_cndmask_b32 v90, v92, v90 :: v_dual_and_b32 v89, 7, v89
	s_delay_alu instid0(VALU_DEP_1) | instskip(NEXT) | instid1(VALU_DEP_2)
	v_cndmask_b32_e32 v12, v12, v89, vcc_lo
	v_lshl_add_u32 v89, v90, 23, 0x3b800000
	s_delay_alu instid0(VALU_DEP_2) | instskip(NEXT) | instid1(VALU_DEP_1)
	v_lshlrev_b32_e32 v12, 20, v12
	v_or3_b32 v12, v8, v89, v12
.LBB6_1893:                             ;   in Loop: Header=BB6_394 Depth=4
	s_or_b32 exec_lo, exec_lo, s36
	s_delay_alu instid0(VALU_DEP_1) | instskip(SKIP_1) | instid1(VALU_DEP_1)
	v_max_f32_e32 v8, v12, v12
	v_max_f32_e32 v12, v91, v91
	v_min_f32_e32 v91, v12, v8
.LBB6_1894:                             ;   in Loop: Header=BB6_394 Depth=4
	s_delay_alu instid0(VALU_DEP_1) | instskip(NEXT) | instid1(VALU_DEP_1)
	v_and_b32_e32 v8, 0x7f800000, v91
	v_cmp_ne_u32_e32 vcc_lo, 0x7f800000, v8
	v_mov_b32_e32 v8, 0x80
	s_and_saveexec_b32 s36, vcc_lo
	s_cbranch_execz .LBB6_1902
; %bb.1895:                             ;   in Loop: Header=BB6_394 Depth=4
	v_mov_b32_e32 v8, 0
	s_mov_b32 s37, exec_lo
	v_cmpx_ne_u32_e32 0, v91
	s_cbranch_execz .LBB6_1901
; %bb.1896:                             ;   in Loop: Header=BB6_394 Depth=4
	v_bfe_u32 v8, v91, 23, 8
	s_delay_alu instid0(VALU_DEP_1) | instskip(SKIP_1) | instid1(VALU_DEP_2)
	v_sub_nc_u32_e32 v89, 0x78, v8
	v_cmp_gt_u32_e32 vcc_lo, 0x79, v8
	v_dual_cndmask_b32 v89, 0, v89 :: v_dual_and_b32 v12, 0x7fffff, v91
	s_delay_alu instid0(VALU_DEP_1) | instskip(SKIP_2) | instid1(VALU_DEP_4)
	v_or_b32_e32 v90, 0x800000, v12
	v_cmp_eq_u32_e32 vcc_lo, 0, v8
	v_add_nc_u32_e32 v8, 0xffffff89, v8
	v_cndmask_b32_e64 v89, v89, 0x77, vcc_lo
	s_delay_alu instid0(VALU_DEP_4) | instskip(NEXT) | instid1(VALU_DEP_3)
	v_cndmask_b32_e32 v12, v90, v12, vcc_lo
	v_cndmask_b32_e64 v8, v8, 0xffffff8a, vcc_lo
	s_delay_alu instid0(VALU_DEP_3) | instskip(NEXT) | instid1(VALU_DEP_3)
	v_lshl_add_u32 v90, 0x100000, v89, -1
	v_lshrrev_b32_e32 v92, v89, v12
	v_lshlrev_b32_e64 v94, v89, 0x80000
	s_delay_alu instid0(VALU_DEP_4) | instskip(NEXT) | instid1(VALU_DEP_4)
	v_add_nc_u32_e32 v89, v89, v8
	v_and_b32_e32 v12, v90, v12
	s_delay_alu instid0(VALU_DEP_4) | instskip(NEXT) | instid1(VALU_DEP_2)
	v_bfe_u32 v93, v92, 20, 1
	v_cmp_eq_u32_e64 s13, v12, v94
	s_delay_alu instid0(VALU_DEP_2) | instskip(NEXT) | instid1(VALU_DEP_1)
	v_add_nc_u32_e32 v90, -1, v93
	v_cndmask_b32_e64 v12, 0, v90, s13
	v_lshrrev_b32_e32 v90, 23, v92
	s_mov_b32 s13, exec_lo
	s_delay_alu instid0(VALU_DEP_2) | instskip(NEXT) | instid1(VALU_DEP_2)
	v_add_nc_u32_e32 v12, v12, v92
	v_xor_b32_e32 v90, 1, v90
	s_delay_alu instid0(VALU_DEP_2) | instskip(NEXT) | instid1(VALU_DEP_1)
	v_and_b32_e32 v8, 0xfffff, v12
	v_add_nc_u32_e32 v12, v8, v92
                                        ; implicit-def: $vgpr8
	s_delay_alu instid0(VALU_DEP_3)
	v_cmpx_ne_u32_e64 v89, v90
	s_xor_b32 s13, exec_lo, s13
; %bb.1897:                             ;   in Loop: Header=BB6_394 Depth=4
	s_delay_alu instid0(VALU_DEP_2) | instskip(SKIP_2) | instid1(VALU_DEP_2)
	v_cmp_lt_u32_e32 vcc_lo, 0xffffff, v12
	v_sub_nc_u32_e32 v8, v89, v90
	v_cndmask_b32_e64 v89, 0, 1, vcc_lo
	v_add_co_ci_u32_e32 v8, vcc_lo, 0, v8, vcc_lo
	s_delay_alu instid0(VALU_DEP_2)
	v_lshrrev_b32_e32 v12, v89, v12
; %bb.1898:                             ;   in Loop: Header=BB6_394 Depth=4
	s_and_not1_saveexec_b32 s13, s13
; %bb.1899:                             ;   in Loop: Header=BB6_394 Depth=4
	s_delay_alu instid0(VALU_DEP_1)
	v_bfe_u32 v8, v12, 23, 1
; %bb.1900:                             ;   in Loop: Header=BB6_394 Depth=4
	s_or_b32 exec_lo, exec_lo, s13
	v_lshrrev_b32_e32 v12, 20, v12
	s_delay_alu instid0(VALU_DEP_2) | instskip(SKIP_2) | instid1(VALU_DEP_2)
	v_cmp_gt_i32_e32 vcc_lo, 16, v8
	v_lshrrev_b32_e32 v89, 24, v91
	v_min_i32_e32 v90, 15, v8
	v_dual_cndmask_b32 v12, 7, v12 :: v_dual_and_b32 v89, 0x80, v89
	s_delay_alu instid0(VALU_DEP_2) | instskip(NEXT) | instid1(VALU_DEP_2)
	v_lshlrev_b32_e32 v90, 3, v90
	v_and_b32_e32 v91, 7, v12
	v_or_b32_e32 v8, v8, v12
	s_delay_alu instid0(VALU_DEP_2) | instskip(NEXT) | instid1(VALU_DEP_2)
	v_or3_b32 v12, v90, v89, v91
	v_cmp_ne_u32_e32 vcc_lo, 0, v8
	s_delay_alu instid0(VALU_DEP_2)
	v_cndmask_b32_e32 v8, 0, v12, vcc_lo
.LBB6_1901:                             ;   in Loop: Header=BB6_394 Depth=4
	s_or_b32 exec_lo, exec_lo, s37
.LBB6_1902:                             ;   in Loop: Header=BB6_394 Depth=4
	s_delay_alu instid0(SALU_CYCLE_1) | instskip(SKIP_2) | instid1(VALU_DEP_1)
	s_or_b32 exec_lo, exec_lo, s36
	v_and_b32_e32 v12, 0xff, v13
	s_and_not1_b32 vcc_lo, exec_lo, s35
	v_cmp_lt_i16_e64 s13, 0x7f, v12
	s_cbranch_vccnz .LBB6_1912
; %bb.1903:                             ;   in Loop: Header=BB6_394 Depth=4
	s_mov_b32 s36, 0
                                        ; implicit-def: $sgpr37
	s_delay_alu instid0(VALU_DEP_1) | instskip(NEXT) | instid1(SALU_CYCLE_1)
	s_and_saveexec_b32 vcc_lo, s13
	s_xor_b32 s13, exec_lo, vcc_lo
	s_cbranch_execnz .LBB6_3080
; %bb.1904:                             ;   in Loop: Header=BB6_394 Depth=4
	s_or_saveexec_b32 s13, s13
	v_mov_b32_e32 v89, s37
	s_xor_b32 exec_lo, exec_lo, s13
	s_cbranch_execnz .LBB6_3083
.LBB6_1905:                             ;   in Loop: Header=BB6_394 Depth=4
	s_or_b32 exec_lo, exec_lo, s13
	s_and_saveexec_b32 s13, s36
	s_cbranch_execz .LBB6_1907
.LBB6_1906:                             ;   in Loop: Header=BB6_394 Depth=4
	v_bfe_u32 v92, v13, 3, 4
	v_lshlrev_b32_e32 v93, 24, v13
	s_delay_alu instid0(VALU_DEP_2) | instskip(SKIP_1) | instid1(VALU_DEP_1)
	v_cmp_eq_u32_e32 vcc_lo, 0, v92
	v_and_b32_e32 v89, 7, v13
	v_clz_i32_u32_e32 v90, v89
	s_delay_alu instid0(VALU_DEP_1) | instskip(NEXT) | instid1(VALU_DEP_1)
	v_min_u32_e32 v90, 32, v90
	v_subrev_nc_u32_e32 v91, 28, v90
	v_sub_nc_u32_e32 v90, 29, v90
	s_delay_alu instid0(VALU_DEP_1) | instskip(NEXT) | instid1(VALU_DEP_1)
	v_dual_cndmask_b32 v90, v92, v90 :: v_dual_lshlrev_b32 v91, v91, v13
	v_and_b32_e32 v91, 7, v91
	s_delay_alu instid0(VALU_DEP_2) | instskip(NEXT) | instid1(VALU_DEP_2)
	v_lshl_add_u32 v90, v90, 23, 0x3b800000
	v_cndmask_b32_e32 v89, v89, v91, vcc_lo
	v_and_b32_e32 v91, 0x80000000, v93
	s_delay_alu instid0(VALU_DEP_2) | instskip(NEXT) | instid1(VALU_DEP_1)
	v_lshlrev_b32_e32 v89, 20, v89
	v_or3_b32 v89, v91, v90, v89
.LBB6_1907:                             ;   in Loop: Header=BB6_394 Depth=4
	s_or_b32 exec_lo, exec_lo, s13
	v_and_b32_e32 v91, 0xff, v9
	s_mov_b32 s13, 0
	s_mov_b32 s37, exec_lo
                                        ; implicit-def: $sgpr36
	s_delay_alu instid0(VALU_DEP_1)
	v_cmpx_lt_i16_e32 0x7f, v91
	s_xor_b32 s37, exec_lo, s37
	s_cbranch_execnz .LBB6_3084
; %bb.1908:                             ;   in Loop: Header=BB6_394 Depth=4
	s_or_saveexec_b32 s37, s37
	v_mov_b32_e32 v90, s36
	s_xor_b32 exec_lo, exec_lo, s37
	s_cbranch_execnz .LBB6_3087
.LBB6_1909:                             ;   in Loop: Header=BB6_394 Depth=4
	s_or_b32 exec_lo, exec_lo, s37
	s_and_saveexec_b32 s36, s13
	s_cbranch_execz .LBB6_1911
.LBB6_1910:                             ;   in Loop: Header=BB6_394 Depth=4
	v_bfe_u32 v93, v9, 3, 4
	v_lshlrev_b32_e32 v94, 24, v9
	s_delay_alu instid0(VALU_DEP_2) | instskip(SKIP_1) | instid1(VALU_DEP_1)
	v_cmp_eq_u32_e32 vcc_lo, 0, v93
	v_and_b32_e32 v90, 7, v9
	v_clz_i32_u32_e32 v91, v90
	s_delay_alu instid0(VALU_DEP_1) | instskip(NEXT) | instid1(VALU_DEP_1)
	v_min_u32_e32 v91, 32, v91
	v_subrev_nc_u32_e32 v92, 28, v91
	v_sub_nc_u32_e32 v91, 29, v91
	s_delay_alu instid0(VALU_DEP_1) | instskip(NEXT) | instid1(VALU_DEP_1)
	v_dual_cndmask_b32 v91, v93, v91 :: v_dual_lshlrev_b32 v92, v92, v9
	v_and_b32_e32 v92, 7, v92
	s_delay_alu instid0(VALU_DEP_2) | instskip(NEXT) | instid1(VALU_DEP_2)
	v_lshl_add_u32 v91, v91, 23, 0x3b800000
	v_cndmask_b32_e32 v90, v90, v92, vcc_lo
	v_and_b32_e32 v92, 0x80000000, v94
	s_delay_alu instid0(VALU_DEP_2) | instskip(NEXT) | instid1(VALU_DEP_1)
	v_lshlrev_b32_e32 v90, 20, v90
	v_or3_b32 v90, v92, v91, v90
.LBB6_1911:                             ;   in Loop: Header=BB6_394 Depth=4
	s_or_b32 exec_lo, exec_lo, s36
	s_delay_alu instid0(VALU_DEP_1) | instskip(SKIP_1) | instid1(VALU_DEP_1)
	v_dual_max_f32 v90, v90, v90 :: v_dual_max_f32 v89, v89, v89
	s_mov_b32 s13, 0
	v_max_f32_e32 v89, v89, v90
	s_branch .LBB6_1913
.LBB6_1912:                             ;   in Loop: Header=BB6_394 Depth=4
	s_mov_b32 s13, -1
                                        ; implicit-def: $vgpr89
.LBB6_1913:                             ;   in Loop: Header=BB6_394 Depth=4
	s_delay_alu instid0(SALU_CYCLE_1)
	s_and_b32 vcc_lo, exec_lo, s13
	s_cbranch_vccz .LBB6_1923
; %bb.1914:                             ;   in Loop: Header=BB6_394 Depth=4
	s_mov_b32 s13, 0
	s_mov_b32 s37, exec_lo
                                        ; implicit-def: $sgpr36
	v_cmpx_lt_i16_e32 0x7f, v12
	s_xor_b32 s37, exec_lo, s37
	s_cbranch_execnz .LBB6_3088
; %bb.1915:                             ;   in Loop: Header=BB6_394 Depth=4
	s_or_saveexec_b32 s37, s37
	v_mov_b32_e32 v89, s36
	s_xor_b32 exec_lo, exec_lo, s37
	s_cbranch_execnz .LBB6_3091
.LBB6_1916:                             ;   in Loop: Header=BB6_394 Depth=4
	s_or_b32 exec_lo, exec_lo, s37
	s_and_saveexec_b32 s36, s13
	s_cbranch_execz .LBB6_1918
.LBB6_1917:                             ;   in Loop: Header=BB6_394 Depth=4
	v_and_b32_e32 v12, 7, v13
	v_bfe_u32 v91, v13, 3, 4
	v_lshlrev_b32_e32 v92, 24, v13
	s_delay_alu instid0(VALU_DEP_3) | instskip(NEXT) | instid1(VALU_DEP_3)
	v_clz_i32_u32_e32 v89, v12
	v_cmp_eq_u32_e32 vcc_lo, 0, v91
	s_delay_alu instid0(VALU_DEP_2) | instskip(NEXT) | instid1(VALU_DEP_1)
	v_min_u32_e32 v89, 32, v89
	v_subrev_nc_u32_e32 v90, 28, v89
	v_sub_nc_u32_e32 v89, 29, v89
	s_delay_alu instid0(VALU_DEP_2) | instskip(NEXT) | instid1(VALU_DEP_1)
	v_lshlrev_b32_e32 v90, v90, v13
	v_dual_cndmask_b32 v89, v91, v89 :: v_dual_and_b32 v90, 7, v90
	s_delay_alu instid0(VALU_DEP_1) | instskip(NEXT) | instid1(VALU_DEP_2)
	v_lshl_add_u32 v89, v89, 23, 0x3b800000
	v_cndmask_b32_e32 v12, v12, v90, vcc_lo
	v_and_b32_e32 v90, 0x80000000, v92
	s_delay_alu instid0(VALU_DEP_2) | instskip(NEXT) | instid1(VALU_DEP_1)
	v_lshlrev_b32_e32 v12, 20, v12
	v_or3_b32 v89, v90, v89, v12
.LBB6_1918:                             ;   in Loop: Header=BB6_394 Depth=4
	s_or_b32 exec_lo, exec_lo, s36
	v_and_b32_e32 v90, 0xff, v9
	s_mov_b32 s13, 0
	s_mov_b32 s37, exec_lo
                                        ; implicit-def: $sgpr36
	s_delay_alu instid0(VALU_DEP_1)
	v_cmpx_lt_i16_e32 0x7f, v90
	s_xor_b32 s37, exec_lo, s37
	s_cbranch_execnz .LBB6_3092
; %bb.1919:                             ;   in Loop: Header=BB6_394 Depth=4
	s_or_saveexec_b32 s37, s37
	v_mov_b32_e32 v12, s36
	s_xor_b32 exec_lo, exec_lo, s37
	s_cbranch_execnz .LBB6_3095
.LBB6_1920:                             ;   in Loop: Header=BB6_394 Depth=4
	s_or_b32 exec_lo, exec_lo, s37
	s_and_saveexec_b32 s36, s13
	s_cbranch_execz .LBB6_1922
.LBB6_1921:                             ;   in Loop: Header=BB6_394 Depth=4
	v_and_b32_e32 v12, 7, v9
	v_bfe_u32 v92, v9, 3, 4
	s_delay_alu instid0(VALU_DEP_2) | instskip(NEXT) | instid1(VALU_DEP_2)
	v_clz_i32_u32_e32 v90, v12
	v_cmp_eq_u32_e32 vcc_lo, 0, v92
	s_delay_alu instid0(VALU_DEP_2) | instskip(NEXT) | instid1(VALU_DEP_1)
	v_min_u32_e32 v90, 32, v90
	v_subrev_nc_u32_e32 v91, 28, v90
	v_sub_nc_u32_e32 v90, 29, v90
	s_delay_alu instid0(VALU_DEP_1) | instskip(NEXT) | instid1(VALU_DEP_1)
	v_dual_cndmask_b32 v90, v92, v90 :: v_dual_lshlrev_b32 v91, v91, v9
	v_and_b32_e32 v91, 7, v91
	v_lshlrev_b32_e32 v93, 24, v9
	s_delay_alu instid0(VALU_DEP_3) | instskip(NEXT) | instid1(VALU_DEP_2)
	v_lshl_add_u32 v90, v90, 23, 0x3b800000
	v_dual_cndmask_b32 v12, v12, v91 :: v_dual_and_b32 v91, 0x80000000, v93
	s_delay_alu instid0(VALU_DEP_1) | instskip(NEXT) | instid1(VALU_DEP_1)
	v_lshlrev_b32_e32 v12, 20, v12
	v_or3_b32 v12, v91, v90, v12
.LBB6_1922:                             ;   in Loop: Header=BB6_394 Depth=4
	s_or_b32 exec_lo, exec_lo, s36
	s_delay_alu instid0(VALU_DEP_1) | instskip(NEXT) | instid1(VALU_DEP_1)
	v_dual_max_f32 v12, v12, v12 :: v_dual_max_f32 v89, v89, v89
	v_min_f32_e32 v89, v89, v12
.LBB6_1923:                             ;   in Loop: Header=BB6_394 Depth=4
	s_delay_alu instid0(VALU_DEP_1) | instskip(NEXT) | instid1(VALU_DEP_1)
	v_and_b32_e32 v12, 0x7f800000, v89
	v_cmp_ne_u32_e32 vcc_lo, 0x7f800000, v12
	v_mov_b32_e32 v12, 0x80
	s_and_saveexec_b32 s36, vcc_lo
	s_cbranch_execz .LBB6_1931
; %bb.1924:                             ;   in Loop: Header=BB6_394 Depth=4
	v_mov_b32_e32 v12, 0
	s_mov_b32 s37, exec_lo
	v_cmpx_ne_u32_e32 0, v89
	s_cbranch_execz .LBB6_1930
; %bb.1925:                             ;   in Loop: Header=BB6_394 Depth=4
	v_bfe_u32 v12, v89, 23, 8
	s_delay_alu instid0(VALU_DEP_1) | instskip(SKIP_1) | instid1(VALU_DEP_2)
	v_sub_nc_u32_e32 v91, 0x78, v12
	v_cmp_gt_u32_e32 vcc_lo, 0x79, v12
	v_dual_cndmask_b32 v91, 0, v91 :: v_dual_and_b32 v90, 0x7fffff, v89
	s_delay_alu instid0(VALU_DEP_1) | instskip(SKIP_2) | instid1(VALU_DEP_4)
	v_or_b32_e32 v92, 0x800000, v90
	v_cmp_eq_u32_e32 vcc_lo, 0, v12
	v_add_nc_u32_e32 v12, 0xffffff89, v12
	v_cndmask_b32_e64 v91, v91, 0x77, vcc_lo
	s_delay_alu instid0(VALU_DEP_2) | instskip(SKIP_1) | instid1(VALU_DEP_3)
	v_cndmask_b32_e64 v12, v12, 0xffffff8a, vcc_lo
	v_cndmask_b32_e32 v90, v92, v90, vcc_lo
	v_lshl_add_u32 v92, 0x100000, v91, -1
	v_lshlrev_b32_e64 v95, v91, 0x80000
	s_delay_alu instid0(VALU_DEP_3) | instskip(SKIP_1) | instid1(VALU_DEP_4)
	v_lshrrev_b32_e32 v93, v91, v90
	v_add_nc_u32_e32 v91, v91, v12
	v_and_b32_e32 v90, v92, v90
	s_delay_alu instid0(VALU_DEP_3) | instskip(NEXT) | instid1(VALU_DEP_2)
	v_bfe_u32 v94, v93, 20, 1
	v_cmp_eq_u32_e64 s13, v90, v95
	s_delay_alu instid0(VALU_DEP_2) | instskip(NEXT) | instid1(VALU_DEP_1)
	v_add_nc_u32_e32 v92, -1, v94
	v_cndmask_b32_e64 v90, 0, v92, s13
	v_lshrrev_b32_e32 v92, 23, v93
	s_mov_b32 s13, exec_lo
	s_delay_alu instid0(VALU_DEP_2) | instskip(NEXT) | instid1(VALU_DEP_2)
	v_add_nc_u32_e32 v90, v90, v93
	v_xor_b32_e32 v92, 1, v92
	s_delay_alu instid0(VALU_DEP_2) | instskip(NEXT) | instid1(VALU_DEP_1)
	v_and_b32_e32 v12, 0xfffff, v90
	v_add_nc_u32_e32 v90, v12, v93
                                        ; implicit-def: $vgpr12
	s_delay_alu instid0(VALU_DEP_3)
	v_cmpx_ne_u32_e64 v91, v92
	s_xor_b32 s13, exec_lo, s13
; %bb.1926:                             ;   in Loop: Header=BB6_394 Depth=4
	s_delay_alu instid0(VALU_DEP_2) | instskip(SKIP_2) | instid1(VALU_DEP_2)
	v_cmp_lt_u32_e32 vcc_lo, 0xffffff, v90
	v_sub_nc_u32_e32 v12, v91, v92
	v_cndmask_b32_e64 v91, 0, 1, vcc_lo
	v_add_co_ci_u32_e32 v12, vcc_lo, 0, v12, vcc_lo
	s_delay_alu instid0(VALU_DEP_2)
	v_lshrrev_b32_e32 v90, v91, v90
; %bb.1927:                             ;   in Loop: Header=BB6_394 Depth=4
	s_and_not1_saveexec_b32 s13, s13
; %bb.1928:                             ;   in Loop: Header=BB6_394 Depth=4
	s_delay_alu instid0(VALU_DEP_1)
	v_bfe_u32 v12, v90, 23, 1
; %bb.1929:                             ;   in Loop: Header=BB6_394 Depth=4
	s_or_b32 exec_lo, exec_lo, s13
	v_lshrrev_b32_e32 v90, 20, v90
	s_delay_alu instid0(VALU_DEP_2) | instskip(SKIP_2) | instid1(VALU_DEP_2)
	v_cmp_gt_i32_e32 vcc_lo, 16, v12
	v_lshrrev_b32_e32 v89, 24, v89
	v_min_i32_e32 v91, 15, v12
	v_dual_cndmask_b32 v90, 7, v90 :: v_dual_and_b32 v89, 0x80, v89
	s_delay_alu instid0(VALU_DEP_1) | instskip(SKIP_1) | instid1(VALU_DEP_2)
	v_or_b32_e32 v12, v12, v90
	v_and_b32_e32 v92, 7, v90
	v_cmp_ne_u32_e32 vcc_lo, 0, v12
	v_lshlrev_b32_e32 v91, 3, v91
	s_delay_alu instid0(VALU_DEP_1) | instskip(NEXT) | instid1(VALU_DEP_1)
	v_or3_b32 v89, v91, v89, v92
	v_cndmask_b32_e32 v12, 0, v89, vcc_lo
.LBB6_1930:                             ;   in Loop: Header=BB6_394 Depth=4
	s_or_b32 exec_lo, exec_lo, s37
.LBB6_1931:                             ;   in Loop: Header=BB6_394 Depth=4
	s_delay_alu instid0(SALU_CYCLE_1) | instskip(SKIP_3) | instid1(VALU_DEP_2)
	s_or_b32 exec_lo, exec_lo, s36
	v_lshrrev_b16 v90, 8, v13
	v_lshrrev_b16 v89, 8, v9
	s_and_not1_b32 vcc_lo, exec_lo, s35
	v_cmp_lt_i16_e64 s13, 0x7f, v90
	s_cbranch_vccnz .LBB6_1941
; %bb.1932:                             ;   in Loop: Header=BB6_394 Depth=4
	s_mov_b32 s36, 0
                                        ; implicit-def: $sgpr37
	s_delay_alu instid0(VALU_DEP_1) | instskip(NEXT) | instid1(SALU_CYCLE_1)
	s_and_saveexec_b32 vcc_lo, s13
	s_xor_b32 s13, exec_lo, vcc_lo
	s_cbranch_execnz .LBB6_3096
; %bb.1933:                             ;   in Loop: Header=BB6_394 Depth=4
	s_or_saveexec_b32 s13, s13
	v_mov_b32_e32 v91, s37
	s_xor_b32 exec_lo, exec_lo, s13
	s_cbranch_execnz .LBB6_3099
.LBB6_1934:                             ;   in Loop: Header=BB6_394 Depth=4
	s_or_b32 exec_lo, exec_lo, s13
	s_and_saveexec_b32 s13, s36
	s_cbranch_execz .LBB6_1936
.LBB6_1935:                             ;   in Loop: Header=BB6_394 Depth=4
	v_and_b32_e32 v91, 0xffff, v90
	s_delay_alu instid0(VALU_DEP_1) | instskip(NEXT) | instid1(VALU_DEP_1)
	v_and_b32_e32 v92, 7, v91
	v_clz_i32_u32_e32 v93, v92
	s_delay_alu instid0(VALU_DEP_1) | instskip(NEXT) | instid1(VALU_DEP_1)
	v_min_u32_e32 v93, 32, v93
	v_subrev_nc_u32_e32 v94, 28, v93
	v_sub_nc_u32_e32 v93, 29, v93
	s_delay_alu instid0(VALU_DEP_2) | instskip(SKIP_1) | instid1(VALU_DEP_2)
	v_lshlrev_b32_e32 v94, v94, v91
	v_bfe_u32 v91, v91, 3, 4
	v_and_b32_e32 v94, 7, v94
	s_delay_alu instid0(VALU_DEP_2) | instskip(SKIP_1) | instid1(VALU_DEP_3)
	v_cmp_eq_u32_e32 vcc_lo, 0, v91
	v_cndmask_b32_e32 v91, v91, v93, vcc_lo
	v_dual_cndmask_b32 v92, v92, v94 :: v_dual_lshlrev_b32 v95, 16, v13
	s_delay_alu instid0(VALU_DEP_2) | instskip(NEXT) | instid1(VALU_DEP_2)
	v_lshl_add_u32 v91, v91, 23, 0x3b800000
	v_and_b32_e32 v93, 0x80000000, v95
	s_delay_alu instid0(VALU_DEP_3) | instskip(NEXT) | instid1(VALU_DEP_1)
	v_lshlrev_b32_e32 v92, 20, v92
	v_or3_b32 v91, v93, v91, v92
.LBB6_1936:                             ;   in Loop: Header=BB6_394 Depth=4
	s_or_b32 exec_lo, exec_lo, s13
	s_mov_b32 s13, 0
	s_mov_b32 s37, exec_lo
                                        ; implicit-def: $sgpr36
	v_cmpx_lt_i16_e32 0x7f, v89
	s_xor_b32 s37, exec_lo, s37
	s_cbranch_execnz .LBB6_3100
; %bb.1937:                             ;   in Loop: Header=BB6_394 Depth=4
	s_or_saveexec_b32 s37, s37
	v_mov_b32_e32 v92, s36
	s_xor_b32 exec_lo, exec_lo, s37
	s_cbranch_execnz .LBB6_3103
.LBB6_1938:                             ;   in Loop: Header=BB6_394 Depth=4
	s_or_b32 exec_lo, exec_lo, s37
	s_and_saveexec_b32 s36, s13
	s_cbranch_execz .LBB6_1940
.LBB6_1939:                             ;   in Loop: Header=BB6_394 Depth=4
	v_and_b32_e32 v92, 0xffff, v89
	v_lshlrev_b32_e32 v104, 16, v9
	s_delay_alu instid0(VALU_DEP_2) | instskip(NEXT) | instid1(VALU_DEP_1)
	v_and_b32_e32 v93, 7, v92
	v_clz_i32_u32_e32 v94, v93
	s_delay_alu instid0(VALU_DEP_1) | instskip(NEXT) | instid1(VALU_DEP_1)
	v_min_u32_e32 v94, 32, v94
	v_subrev_nc_u32_e32 v95, 28, v94
	v_sub_nc_u32_e32 v94, 29, v94
	s_delay_alu instid0(VALU_DEP_2) | instskip(SKIP_1) | instid1(VALU_DEP_2)
	v_lshlrev_b32_e32 v95, v95, v92
	v_bfe_u32 v92, v92, 3, 4
	v_and_b32_e32 v95, 7, v95
	s_delay_alu instid0(VALU_DEP_2) | instskip(NEXT) | instid1(VALU_DEP_2)
	v_cmp_eq_u32_e32 vcc_lo, 0, v92
	v_dual_cndmask_b32 v92, v92, v94 :: v_dual_cndmask_b32 v93, v93, v95
	v_and_b32_e32 v94, 0x80000000, v104
	s_delay_alu instid0(VALU_DEP_2) | instskip(NEXT) | instid1(VALU_DEP_3)
	v_lshl_add_u32 v92, v92, 23, 0x3b800000
	v_lshlrev_b32_e32 v93, 20, v93
	s_delay_alu instid0(VALU_DEP_1)
	v_or3_b32 v92, v94, v92, v93
.LBB6_1940:                             ;   in Loop: Header=BB6_394 Depth=4
	s_or_b32 exec_lo, exec_lo, s36
	s_delay_alu instid0(VALU_DEP_1) | instskip(SKIP_1) | instid1(VALU_DEP_1)
	v_dual_max_f32 v92, v92, v92 :: v_dual_max_f32 v91, v91, v91
	s_mov_b32 s13, 0
	v_max_f32_e32 v91, v91, v92
	s_branch .LBB6_1942
.LBB6_1941:                             ;   in Loop: Header=BB6_394 Depth=4
	s_mov_b32 s13, -1
                                        ; implicit-def: $vgpr91
.LBB6_1942:                             ;   in Loop: Header=BB6_394 Depth=4
	s_delay_alu instid0(SALU_CYCLE_1)
	s_and_b32 vcc_lo, exec_lo, s13
	s_cbranch_vccz .LBB6_1952
; %bb.1943:                             ;   in Loop: Header=BB6_394 Depth=4
	s_mov_b32 s13, 0
	s_mov_b32 s37, exec_lo
                                        ; implicit-def: $sgpr36
	v_cmpx_lt_i16_e32 0x7f, v90
	s_xor_b32 s37, exec_lo, s37
	s_cbranch_execnz .LBB6_3104
; %bb.1944:                             ;   in Loop: Header=BB6_394 Depth=4
	s_or_saveexec_b32 s37, s37
	v_mov_b32_e32 v91, s36
	s_xor_b32 exec_lo, exec_lo, s37
	s_cbranch_execnz .LBB6_3107
.LBB6_1945:                             ;   in Loop: Header=BB6_394 Depth=4
	s_or_b32 exec_lo, exec_lo, s37
	s_and_saveexec_b32 s36, s13
	s_cbranch_execz .LBB6_1947
.LBB6_1946:                             ;   in Loop: Header=BB6_394 Depth=4
	v_and_b32_e32 v90, 0xffff, v90
	v_lshlrev_b32_e32 v94, 16, v13
	s_delay_alu instid0(VALU_DEP_2) | instskip(NEXT) | instid1(VALU_DEP_1)
	v_and_b32_e32 v91, 7, v90
	v_clz_i32_u32_e32 v92, v91
	s_delay_alu instid0(VALU_DEP_1) | instskip(NEXT) | instid1(VALU_DEP_1)
	v_min_u32_e32 v92, 32, v92
	v_subrev_nc_u32_e32 v93, 28, v92
	v_sub_nc_u32_e32 v92, 29, v92
	s_delay_alu instid0(VALU_DEP_2) | instskip(SKIP_1) | instid1(VALU_DEP_2)
	v_lshlrev_b32_e32 v93, v93, v90
	v_bfe_u32 v90, v90, 3, 4
	v_and_b32_e32 v93, 7, v93
	s_delay_alu instid0(VALU_DEP_2) | instskip(NEXT) | instid1(VALU_DEP_2)
	v_cmp_eq_u32_e32 vcc_lo, 0, v90
	v_dual_cndmask_b32 v90, v90, v92 :: v_dual_cndmask_b32 v91, v91, v93
	v_and_b32_e32 v92, 0x80000000, v94
	s_delay_alu instid0(VALU_DEP_2) | instskip(NEXT) | instid1(VALU_DEP_3)
	v_lshl_add_u32 v90, v90, 23, 0x3b800000
	v_lshlrev_b32_e32 v91, 20, v91
	s_delay_alu instid0(VALU_DEP_1)
	v_or3_b32 v91, v92, v90, v91
.LBB6_1947:                             ;   in Loop: Header=BB6_394 Depth=4
	s_or_b32 exec_lo, exec_lo, s36
	s_mov_b32 s13, 0
	s_mov_b32 s37, exec_lo
                                        ; implicit-def: $sgpr36
	v_cmpx_lt_i16_e32 0x7f, v89
	s_xor_b32 s37, exec_lo, s37
	s_cbranch_execnz .LBB6_3108
; %bb.1948:                             ;   in Loop: Header=BB6_394 Depth=4
	s_or_saveexec_b32 s37, s37
	v_mov_b32_e32 v90, s36
	s_xor_b32 exec_lo, exec_lo, s37
	s_cbranch_execnz .LBB6_3111
.LBB6_1949:                             ;   in Loop: Header=BB6_394 Depth=4
	s_or_b32 exec_lo, exec_lo, s37
	s_and_saveexec_b32 s36, s13
	s_cbranch_execz .LBB6_1951
.LBB6_1950:                             ;   in Loop: Header=BB6_394 Depth=4
	v_and_b32_e32 v89, 0xffff, v89
	v_lshlrev_b32_e32 v94, 16, v9
	s_delay_alu instid0(VALU_DEP_2) | instskip(NEXT) | instid1(VALU_DEP_1)
	v_and_b32_e32 v90, 7, v89
	v_clz_i32_u32_e32 v92, v90
	s_delay_alu instid0(VALU_DEP_1) | instskip(NEXT) | instid1(VALU_DEP_1)
	v_min_u32_e32 v92, 32, v92
	v_subrev_nc_u32_e32 v93, 28, v92
	v_sub_nc_u32_e32 v92, 29, v92
	s_delay_alu instid0(VALU_DEP_2) | instskip(SKIP_1) | instid1(VALU_DEP_2)
	v_lshlrev_b32_e32 v93, v93, v89
	v_bfe_u32 v89, v89, 3, 4
	v_and_b32_e32 v93, 7, v93
	s_delay_alu instid0(VALU_DEP_2) | instskip(NEXT) | instid1(VALU_DEP_2)
	v_cmp_eq_u32_e32 vcc_lo, 0, v89
	v_dual_cndmask_b32 v89, v89, v92 :: v_dual_cndmask_b32 v90, v90, v93
	v_and_b32_e32 v92, 0x80000000, v94
	s_delay_alu instid0(VALU_DEP_2) | instskip(NEXT) | instid1(VALU_DEP_3)
	v_lshl_add_u32 v89, v89, 23, 0x3b800000
	v_lshlrev_b32_e32 v90, 20, v90
	s_delay_alu instid0(VALU_DEP_1)
	v_or3_b32 v90, v92, v89, v90
.LBB6_1951:                             ;   in Loop: Header=BB6_394 Depth=4
	s_or_b32 exec_lo, exec_lo, s36
	s_delay_alu instid0(VALU_DEP_1) | instskip(NEXT) | instid1(VALU_DEP_1)
	v_dual_max_f32 v89, v90, v90 :: v_dual_max_f32 v90, v91, v91
	v_min_f32_e32 v91, v90, v89
.LBB6_1952:                             ;   in Loop: Header=BB6_394 Depth=4
	s_delay_alu instid0(VALU_DEP_1) | instskip(NEXT) | instid1(VALU_DEP_1)
	v_and_b32_e32 v89, 0x7f800000, v91
	v_cmp_ne_u32_e32 vcc_lo, 0x7f800000, v89
	v_mov_b32_e32 v89, 0x80
	s_and_saveexec_b32 s36, vcc_lo
	s_cbranch_execz .LBB6_1960
; %bb.1953:                             ;   in Loop: Header=BB6_394 Depth=4
	v_mov_b32_e32 v89, 0
	s_mov_b32 s37, exec_lo
	v_cmpx_ne_u32_e32 0, v91
	s_cbranch_execz .LBB6_1959
; %bb.1954:                             ;   in Loop: Header=BB6_394 Depth=4
	v_bfe_u32 v89, v91, 23, 8
	v_and_b32_e32 v90, 0x7fffff, v91
	s_delay_alu instid0(VALU_DEP_2) | instskip(SKIP_1) | instid1(VALU_DEP_3)
	v_sub_nc_u32_e32 v92, 0x78, v89
	v_cmp_gt_u32_e32 vcc_lo, 0x79, v89
	v_or_b32_e32 v93, 0x800000, v90
	s_delay_alu instid0(VALU_DEP_3) | instskip(SKIP_2) | instid1(VALU_DEP_3)
	v_cndmask_b32_e32 v92, 0, v92, vcc_lo
	v_cmp_eq_u32_e32 vcc_lo, 0, v89
	v_add_nc_u32_e32 v89, 0xffffff89, v89
	v_cndmask_b32_e64 v92, v92, 0x77, vcc_lo
	v_cndmask_b32_e32 v90, v93, v90, vcc_lo
	s_delay_alu instid0(VALU_DEP_3) | instskip(NEXT) | instid1(VALU_DEP_3)
	v_cndmask_b32_e64 v89, v89, 0xffffff8a, vcc_lo
	v_lshl_add_u32 v93, 0x100000, v92, -1
	s_delay_alu instid0(VALU_DEP_3) | instskip(SKIP_1) | instid1(VALU_DEP_4)
	v_lshrrev_b32_e32 v94, v92, v90
	v_lshlrev_b32_e64 v104, v92, 0x80000
	v_add_nc_u32_e32 v92, v92, v89
	s_delay_alu instid0(VALU_DEP_4) | instskip(NEXT) | instid1(VALU_DEP_4)
	v_and_b32_e32 v90, v93, v90
	v_bfe_u32 v95, v94, 20, 1
	s_delay_alu instid0(VALU_DEP_2) | instskip(NEXT) | instid1(VALU_DEP_2)
	v_cmp_eq_u32_e64 s13, v90, v104
	v_add_nc_u32_e32 v93, -1, v95
	s_delay_alu instid0(VALU_DEP_1) | instskip(SKIP_2) | instid1(VALU_DEP_2)
	v_cndmask_b32_e64 v90, 0, v93, s13
	v_lshrrev_b32_e32 v93, 23, v94
	s_mov_b32 s13, exec_lo
	v_add_nc_u32_e32 v90, v90, v94
	s_delay_alu instid0(VALU_DEP_2) | instskip(NEXT) | instid1(VALU_DEP_2)
	v_xor_b32_e32 v93, 1, v93
	v_and_b32_e32 v89, 0xfffff, v90
	s_delay_alu instid0(VALU_DEP_1) | instskip(NEXT) | instid1(VALU_DEP_3)
	v_add_nc_u32_e32 v90, v89, v94
                                        ; implicit-def: $vgpr89
	v_cmpx_ne_u32_e64 v92, v93
	s_xor_b32 s13, exec_lo, s13
; %bb.1955:                             ;   in Loop: Header=BB6_394 Depth=4
	s_delay_alu instid0(VALU_DEP_2) | instskip(SKIP_2) | instid1(VALU_DEP_2)
	v_cmp_lt_u32_e32 vcc_lo, 0xffffff, v90
	v_sub_nc_u32_e32 v89, v92, v93
	v_cndmask_b32_e64 v92, 0, 1, vcc_lo
	v_add_co_ci_u32_e32 v89, vcc_lo, 0, v89, vcc_lo
	s_delay_alu instid0(VALU_DEP_2)
	v_lshrrev_b32_e32 v90, v92, v90
; %bb.1956:                             ;   in Loop: Header=BB6_394 Depth=4
	s_and_not1_saveexec_b32 s13, s13
; %bb.1957:                             ;   in Loop: Header=BB6_394 Depth=4
	s_delay_alu instid0(VALU_DEP_1)
	v_bfe_u32 v89, v90, 23, 1
; %bb.1958:                             ;   in Loop: Header=BB6_394 Depth=4
	s_or_b32 exec_lo, exec_lo, s13
	v_lshrrev_b32_e32 v90, 20, v90
	s_delay_alu instid0(VALU_DEP_2) | instskip(SKIP_2) | instid1(VALU_DEP_2)
	v_cmp_gt_i32_e32 vcc_lo, 16, v89
	v_lshrrev_b32_e32 v91, 24, v91
	v_min_i32_e32 v92, 15, v89
	v_dual_cndmask_b32 v90, 7, v90 :: v_dual_and_b32 v91, 0x80, v91
	s_delay_alu instid0(VALU_DEP_1) | instskip(SKIP_1) | instid1(VALU_DEP_2)
	v_or_b32_e32 v89, v89, v90
	v_and_b32_e32 v93, 7, v90
	v_cmp_ne_u32_e32 vcc_lo, 0, v89
	v_lshlrev_b32_e32 v92, 3, v92
	s_delay_alu instid0(VALU_DEP_1) | instskip(NEXT) | instid1(VALU_DEP_1)
	v_or3_b32 v90, v92, v91, v93
	v_cndmask_b32_e32 v89, 0, v90, vcc_lo
.LBB6_1959:                             ;   in Loop: Header=BB6_394 Depth=4
	s_or_b32 exec_lo, exec_lo, s37
.LBB6_1960:                             ;   in Loop: Header=BB6_394 Depth=4
	s_delay_alu instid0(SALU_CYCLE_1) | instskip(SKIP_3) | instid1(VALU_DEP_2)
	s_or_b32 exec_lo, exec_lo, s36
	v_lshrrev_b32_e32 v91, 16, v13
	v_lshrrev_b32_e32 v90, 16, v9
	s_and_not1_b32 vcc_lo, exec_lo, s35
	v_and_b32_e32 v92, 0xff, v91
	s_delay_alu instid0(VALU_DEP_1)
	v_cmp_lt_i16_e64 s13, 0x7f, v92
	s_cbranch_vccnz .LBB6_1970
; %bb.1961:                             ;   in Loop: Header=BB6_394 Depth=4
	s_mov_b32 s36, 0
                                        ; implicit-def: $sgpr37
	s_delay_alu instid0(VALU_DEP_1) | instskip(NEXT) | instid1(SALU_CYCLE_1)
	s_and_saveexec_b32 vcc_lo, s13
	s_xor_b32 s13, exec_lo, vcc_lo
	s_cbranch_execnz .LBB6_3112
; %bb.1962:                             ;   in Loop: Header=BB6_394 Depth=4
	s_or_saveexec_b32 s13, s13
	v_mov_b32_e32 v93, s37
	s_xor_b32 exec_lo, exec_lo, s13
	s_cbranch_execnz .LBB6_3115
.LBB6_1963:                             ;   in Loop: Header=BB6_394 Depth=4
	s_or_b32 exec_lo, exec_lo, s13
	s_and_saveexec_b32 s13, s36
	s_cbranch_execz .LBB6_1965
.LBB6_1964:                             ;   in Loop: Header=BB6_394 Depth=4
	v_bfe_u32 v93, v13, 16, 3
	v_bfe_u32 v104, v13, 19, 4
	v_lshlrev_b32_e32 v105, 24, v91
	s_delay_alu instid0(VALU_DEP_3) | instskip(NEXT) | instid1(VALU_DEP_3)
	v_clz_i32_u32_e32 v94, v93
	v_cmp_eq_u32_e32 vcc_lo, 0, v104
	s_delay_alu instid0(VALU_DEP_2) | instskip(NEXT) | instid1(VALU_DEP_1)
	v_min_u32_e32 v94, 32, v94
	v_subrev_nc_u32_e32 v95, 28, v94
	v_sub_nc_u32_e32 v94, 29, v94
	s_delay_alu instid0(VALU_DEP_1) | instskip(NEXT) | instid1(VALU_DEP_1)
	v_dual_cndmask_b32 v94, v104, v94 :: v_dual_lshlrev_b32 v95, v95, v91
	v_and_b32_e32 v95, 7, v95
	s_delay_alu instid0(VALU_DEP_2) | instskip(NEXT) | instid1(VALU_DEP_2)
	v_lshl_add_u32 v94, v94, 23, 0x3b800000
	v_cndmask_b32_e32 v93, v93, v95, vcc_lo
	v_and_b32_e32 v95, 0x80000000, v105
	s_delay_alu instid0(VALU_DEP_2) | instskip(NEXT) | instid1(VALU_DEP_1)
	v_lshlrev_b32_e32 v93, 20, v93
	v_or3_b32 v93, v95, v94, v93
.LBB6_1965:                             ;   in Loop: Header=BB6_394 Depth=4
	s_or_b32 exec_lo, exec_lo, s13
	v_and_b32_e32 v95, 0xff, v90
	s_mov_b32 s13, 0
	s_mov_b32 s37, exec_lo
                                        ; implicit-def: $sgpr36
	s_delay_alu instid0(VALU_DEP_1)
	v_cmpx_lt_i16_e32 0x7f, v95
	s_xor_b32 s37, exec_lo, s37
	s_cbranch_execnz .LBB6_3116
; %bb.1966:                             ;   in Loop: Header=BB6_394 Depth=4
	s_or_saveexec_b32 s37, s37
	v_mov_b32_e32 v94, s36
	s_xor_b32 exec_lo, exec_lo, s37
	s_cbranch_execnz .LBB6_3119
.LBB6_1967:                             ;   in Loop: Header=BB6_394 Depth=4
	s_or_b32 exec_lo, exec_lo, s37
	s_and_saveexec_b32 s36, s13
	s_cbranch_execz .LBB6_1969
.LBB6_1968:                             ;   in Loop: Header=BB6_394 Depth=4
	v_bfe_u32 v94, v9, 16, 3
	v_bfe_u32 v105, v9, 19, 4
	v_lshlrev_b32_e32 v106, 24, v90
	s_delay_alu instid0(VALU_DEP_3) | instskip(NEXT) | instid1(VALU_DEP_3)
	v_clz_i32_u32_e32 v95, v94
	v_cmp_eq_u32_e32 vcc_lo, 0, v105
	s_delay_alu instid0(VALU_DEP_2) | instskip(NEXT) | instid1(VALU_DEP_1)
	v_min_u32_e32 v95, 32, v95
	v_subrev_nc_u32_e32 v104, 28, v95
	v_sub_nc_u32_e32 v95, 29, v95
	s_delay_alu instid0(VALU_DEP_1) | instskip(NEXT) | instid1(VALU_DEP_1)
	v_dual_cndmask_b32 v95, v105, v95 :: v_dual_lshlrev_b32 v104, v104, v90
	v_and_b32_e32 v104, 7, v104
	s_delay_alu instid0(VALU_DEP_2) | instskip(NEXT) | instid1(VALU_DEP_2)
	v_lshl_add_u32 v95, v95, 23, 0x3b800000
	v_cndmask_b32_e32 v94, v94, v104, vcc_lo
	v_and_b32_e32 v104, 0x80000000, v106
	s_delay_alu instid0(VALU_DEP_2) | instskip(NEXT) | instid1(VALU_DEP_1)
	v_lshlrev_b32_e32 v94, 20, v94
	v_or3_b32 v94, v104, v95, v94
.LBB6_1969:                             ;   in Loop: Header=BB6_394 Depth=4
	s_or_b32 exec_lo, exec_lo, s36
	s_delay_alu instid0(VALU_DEP_1) | instskip(SKIP_1) | instid1(VALU_DEP_1)
	v_dual_max_f32 v94, v94, v94 :: v_dual_max_f32 v93, v93, v93
	s_mov_b32 s13, 0
	v_max_f32_e32 v93, v93, v94
	s_branch .LBB6_1971
.LBB6_1970:                             ;   in Loop: Header=BB6_394 Depth=4
	s_mov_b32 s13, -1
                                        ; implicit-def: $vgpr93
.LBB6_1971:                             ;   in Loop: Header=BB6_394 Depth=4
	s_delay_alu instid0(SALU_CYCLE_1)
	s_and_b32 vcc_lo, exec_lo, s13
	s_cbranch_vccz .LBB6_1981
; %bb.1972:                             ;   in Loop: Header=BB6_394 Depth=4
	s_mov_b32 s13, 0
	s_mov_b32 s37, exec_lo
                                        ; implicit-def: $sgpr36
	v_cmpx_lt_i16_e32 0x7f, v92
	s_xor_b32 s37, exec_lo, s37
	s_cbranch_execnz .LBB6_3120
; %bb.1973:                             ;   in Loop: Header=BB6_394 Depth=4
	s_or_saveexec_b32 s37, s37
	v_mov_b32_e32 v93, s36
	s_xor_b32 exec_lo, exec_lo, s37
	s_cbranch_execnz .LBB6_3123
.LBB6_1974:                             ;   in Loop: Header=BB6_394 Depth=4
	s_or_b32 exec_lo, exec_lo, s37
	s_and_saveexec_b32 s36, s13
	s_cbranch_execz .LBB6_1976
.LBB6_1975:                             ;   in Loop: Header=BB6_394 Depth=4
	v_bfe_u32 v92, v13, 16, 3
	v_bfe_u32 v95, v13, 19, 4
	s_delay_alu instid0(VALU_DEP_2) | instskip(NEXT) | instid1(VALU_DEP_2)
	v_clz_i32_u32_e32 v93, v92
	v_cmp_eq_u32_e32 vcc_lo, 0, v95
	s_delay_alu instid0(VALU_DEP_2) | instskip(NEXT) | instid1(VALU_DEP_1)
	v_min_u32_e32 v93, 32, v93
	v_subrev_nc_u32_e32 v94, 28, v93
	v_sub_nc_u32_e32 v93, 29, v93
	s_delay_alu instid0(VALU_DEP_1) | instskip(NEXT) | instid1(VALU_DEP_1)
	v_dual_cndmask_b32 v93, v95, v93 :: v_dual_lshlrev_b32 v94, v94, v91
	v_and_b32_e32 v94, 7, v94
	v_lshlrev_b32_e32 v91, 24, v91
	s_delay_alu instid0(VALU_DEP_3) | instskip(NEXT) | instid1(VALU_DEP_2)
	v_lshl_add_u32 v93, v93, 23, 0x3b800000
	v_dual_cndmask_b32 v92, v92, v94 :: v_dual_and_b32 v91, 0x80000000, v91
	s_delay_alu instid0(VALU_DEP_1) | instskip(NEXT) | instid1(VALU_DEP_1)
	v_lshlrev_b32_e32 v92, 20, v92
	v_or3_b32 v93, v91, v93, v92
.LBB6_1976:                             ;   in Loop: Header=BB6_394 Depth=4
	s_or_b32 exec_lo, exec_lo, s36
	v_and_b32_e32 v92, 0xff, v90
	s_mov_b32 s13, 0
	s_mov_b32 s37, exec_lo
                                        ; implicit-def: $sgpr36
	s_delay_alu instid0(VALU_DEP_1)
	v_cmpx_lt_i16_e32 0x7f, v92
	s_xor_b32 s37, exec_lo, s37
	s_cbranch_execnz .LBB6_3124
; %bb.1977:                             ;   in Loop: Header=BB6_394 Depth=4
	s_or_saveexec_b32 s37, s37
	v_mov_b32_e32 v91, s36
	s_xor_b32 exec_lo, exec_lo, s37
	s_cbranch_execnz .LBB6_3127
.LBB6_1978:                             ;   in Loop: Header=BB6_394 Depth=4
	s_or_b32 exec_lo, exec_lo, s37
	s_and_saveexec_b32 s36, s13
	s_cbranch_execz .LBB6_1980
.LBB6_1979:                             ;   in Loop: Header=BB6_394 Depth=4
	v_bfe_u32 v91, v9, 16, 3
	v_bfe_u32 v95, v9, 19, 4
	s_delay_alu instid0(VALU_DEP_2) | instskip(NEXT) | instid1(VALU_DEP_2)
	v_clz_i32_u32_e32 v92, v91
	v_cmp_eq_u32_e32 vcc_lo, 0, v95
	s_delay_alu instid0(VALU_DEP_2) | instskip(NEXT) | instid1(VALU_DEP_1)
	v_min_u32_e32 v92, 32, v92
	v_subrev_nc_u32_e32 v94, 28, v92
	v_sub_nc_u32_e32 v92, 29, v92
	s_delay_alu instid0(VALU_DEP_2) | instskip(SKIP_1) | instid1(VALU_DEP_2)
	v_lshlrev_b32_e32 v94, v94, v90
	v_lshlrev_b32_e32 v90, 24, v90
	v_and_b32_e32 v94, 7, v94
	s_delay_alu instid0(VALU_DEP_2) | instskip(NEXT) | instid1(VALU_DEP_2)
	v_and_b32_e32 v90, 0x80000000, v90
	v_cndmask_b32_e32 v91, v91, v94, vcc_lo
	s_delay_alu instid0(VALU_DEP_1) | instskip(NEXT) | instid1(VALU_DEP_1)
	v_dual_cndmask_b32 v92, v95, v92 :: v_dual_lshlrev_b32 v91, 20, v91
	v_lshl_add_u32 v92, v92, 23, 0x3b800000
	s_delay_alu instid0(VALU_DEP_1)
	v_or3_b32 v91, v90, v92, v91
.LBB6_1980:                             ;   in Loop: Header=BB6_394 Depth=4
	s_or_b32 exec_lo, exec_lo, s36
	s_delay_alu instid0(VALU_DEP_1) | instskip(NEXT) | instid1(VALU_DEP_1)
	v_dual_max_f32 v90, v91, v91 :: v_dual_max_f32 v91, v93, v93
	v_min_f32_e32 v93, v91, v90
.LBB6_1981:                             ;   in Loop: Header=BB6_394 Depth=4
	s_delay_alu instid0(VALU_DEP_1) | instskip(NEXT) | instid1(VALU_DEP_1)
	v_and_b32_e32 v90, 0x7f800000, v93
	v_cmp_ne_u32_e32 vcc_lo, 0x7f800000, v90
	v_mov_b32_e32 v90, 0x80
	s_and_saveexec_b32 s36, vcc_lo
	s_cbranch_execz .LBB6_1989
; %bb.1982:                             ;   in Loop: Header=BB6_394 Depth=4
	v_mov_b32_e32 v90, 0
	s_mov_b32 s37, exec_lo
	v_cmpx_ne_u32_e32 0, v93
	s_cbranch_execz .LBB6_1988
; %bb.1983:                             ;   in Loop: Header=BB6_394 Depth=4
	v_bfe_u32 v90, v93, 23, 8
	s_delay_alu instid0(VALU_DEP_1) | instskip(SKIP_1) | instid1(VALU_DEP_2)
	v_sub_nc_u32_e32 v92, 0x78, v90
	v_cmp_gt_u32_e32 vcc_lo, 0x79, v90
	v_dual_cndmask_b32 v92, 0, v92 :: v_dual_and_b32 v91, 0x7fffff, v93
	s_delay_alu instid0(VALU_DEP_1) | instskip(SKIP_2) | instid1(VALU_DEP_4)
	v_or_b32_e32 v94, 0x800000, v91
	v_cmp_eq_u32_e32 vcc_lo, 0, v90
	v_add_nc_u32_e32 v90, 0xffffff89, v90
	v_cndmask_b32_e64 v92, v92, 0x77, vcc_lo
	s_delay_alu instid0(VALU_DEP_4) | instskip(NEXT) | instid1(VALU_DEP_3)
	v_cndmask_b32_e32 v91, v94, v91, vcc_lo
	v_cndmask_b32_e64 v90, v90, 0xffffff8a, vcc_lo
	s_delay_alu instid0(VALU_DEP_3) | instskip(NEXT) | instid1(VALU_DEP_3)
	v_lshl_add_u32 v94, 0x100000, v92, -1
	v_lshrrev_b32_e32 v95, v92, v91
	v_lshlrev_b32_e64 v105, v92, 0x80000
	s_delay_alu instid0(VALU_DEP_4) | instskip(NEXT) | instid1(VALU_DEP_4)
	v_add_nc_u32_e32 v92, v92, v90
	v_and_b32_e32 v91, v94, v91
	s_delay_alu instid0(VALU_DEP_4) | instskip(NEXT) | instid1(VALU_DEP_2)
	v_bfe_u32 v104, v95, 20, 1
	v_cmp_eq_u32_e64 s13, v91, v105
	s_delay_alu instid0(VALU_DEP_2) | instskip(NEXT) | instid1(VALU_DEP_1)
	v_add_nc_u32_e32 v94, -1, v104
	v_cndmask_b32_e64 v91, 0, v94, s13
	v_lshrrev_b32_e32 v94, 23, v95
	s_mov_b32 s13, exec_lo
	s_delay_alu instid0(VALU_DEP_2) | instskip(NEXT) | instid1(VALU_DEP_2)
	v_add_nc_u32_e32 v91, v91, v95
	v_xor_b32_e32 v94, 1, v94
	s_delay_alu instid0(VALU_DEP_2) | instskip(NEXT) | instid1(VALU_DEP_1)
	v_and_b32_e32 v90, 0xfffff, v91
	v_add_nc_u32_e32 v91, v90, v95
                                        ; implicit-def: $vgpr90
	s_delay_alu instid0(VALU_DEP_3)
	v_cmpx_ne_u32_e64 v92, v94
	s_xor_b32 s13, exec_lo, s13
; %bb.1984:                             ;   in Loop: Header=BB6_394 Depth=4
	s_delay_alu instid0(VALU_DEP_2) | instskip(SKIP_2) | instid1(VALU_DEP_2)
	v_cmp_lt_u32_e32 vcc_lo, 0xffffff, v91
	v_sub_nc_u32_e32 v90, v92, v94
	v_cndmask_b32_e64 v92, 0, 1, vcc_lo
	v_add_co_ci_u32_e32 v90, vcc_lo, 0, v90, vcc_lo
	s_delay_alu instid0(VALU_DEP_2)
	v_lshrrev_b32_e32 v91, v92, v91
; %bb.1985:                             ;   in Loop: Header=BB6_394 Depth=4
	s_and_not1_saveexec_b32 s13, s13
; %bb.1986:                             ;   in Loop: Header=BB6_394 Depth=4
	s_delay_alu instid0(VALU_DEP_1)
	v_bfe_u32 v90, v91, 23, 1
; %bb.1987:                             ;   in Loop: Header=BB6_394 Depth=4
	s_or_b32 exec_lo, exec_lo, s13
	v_lshrrev_b32_e32 v91, 20, v91
	s_delay_alu instid0(VALU_DEP_2) | instskip(SKIP_2) | instid1(VALU_DEP_2)
	v_cmp_gt_i32_e32 vcc_lo, 16, v90
	v_min_i32_e32 v92, 15, v90
	v_lshrrev_b32_e32 v93, 24, v93
	v_dual_cndmask_b32 v91, 7, v91 :: v_dual_lshlrev_b32 v92, 3, v92
	s_delay_alu instid0(VALU_DEP_1) | instskip(SKIP_1) | instid1(VALU_DEP_3)
	v_or_b32_e32 v90, v90, v91
	v_and_b32_e32 v94, 7, v91
	v_and_b32_e32 v92, 0xf8, v92
	s_delay_alu instid0(VALU_DEP_3) | instskip(SKIP_1) | instid1(VALU_DEP_1)
	v_cmp_ne_u32_e32 vcc_lo, 0, v90
	v_and_b32_e32 v93, 0x80, v93
	v_or3_b32 v91, v92, v93, v94
	s_delay_alu instid0(VALU_DEP_1)
	v_cndmask_b32_e32 v90, 0, v91, vcc_lo
.LBB6_1988:                             ;   in Loop: Header=BB6_394 Depth=4
	s_or_b32 exec_lo, exec_lo, s37
.LBB6_1989:                             ;   in Loop: Header=BB6_394 Depth=4
	s_delay_alu instid0(SALU_CYCLE_1) | instskip(SKIP_3) | instid1(VALU_DEP_2)
	s_or_b32 exec_lo, exec_lo, s36
	v_lshrrev_b32_e32 v92, 24, v13
	v_lshrrev_b32_e32 v91, 24, v9
	s_and_not1_b32 vcc_lo, exec_lo, s35
	v_cmp_lt_i16_e64 s13, 0x7f, v92
	s_cbranch_vccnz .LBB6_1999
; %bb.1990:                             ;   in Loop: Header=BB6_394 Depth=4
	s_mov_b32 s36, 0
                                        ; implicit-def: $sgpr37
	s_delay_alu instid0(VALU_DEP_1) | instskip(NEXT) | instid1(SALU_CYCLE_1)
	s_and_saveexec_b32 vcc_lo, s13
	s_xor_b32 s13, exec_lo, vcc_lo
	s_cbranch_execnz .LBB6_3128
; %bb.1991:                             ;   in Loop: Header=BB6_394 Depth=4
	s_or_saveexec_b32 s13, s13
	v_mov_b32_e32 v93, s37
	s_xor_b32 exec_lo, exec_lo, s13
	s_cbranch_execnz .LBB6_3131
.LBB6_1992:                             ;   in Loop: Header=BB6_394 Depth=4
	s_or_b32 exec_lo, exec_lo, s13
	s_and_saveexec_b32 s13, s36
	s_cbranch_execz .LBB6_1994
.LBB6_1993:                             ;   in Loop: Header=BB6_394 Depth=4
	v_bfe_u32 v93, v13, 24, 3
	v_bfe_u32 v104, v13, 27, 4
	s_delay_alu instid0(VALU_DEP_2) | instskip(NEXT) | instid1(VALU_DEP_2)
	v_clz_i32_u32_e32 v94, v93
	v_cmp_eq_u32_e32 vcc_lo, 0, v104
	s_delay_alu instid0(VALU_DEP_2) | instskip(NEXT) | instid1(VALU_DEP_1)
	v_min_u32_e32 v94, 32, v94
	v_subrev_nc_u32_e32 v95, 28, v94
	v_sub_nc_u32_e32 v94, 29, v94
	s_delay_alu instid0(VALU_DEP_1) | instskip(NEXT) | instid1(VALU_DEP_1)
	v_dual_cndmask_b32 v94, v104, v94 :: v_dual_lshlrev_b32 v95, v95, v92
	v_and_b32_e32 v95, 7, v95
	s_delay_alu instid0(VALU_DEP_2) | instskip(NEXT) | instid1(VALU_DEP_2)
	v_lshl_add_u32 v94, v94, 23, 0x3b800000
	v_cndmask_b32_e32 v93, v93, v95, vcc_lo
	v_and_b32_e32 v95, 0x80000000, v13
	s_delay_alu instid0(VALU_DEP_2) | instskip(NEXT) | instid1(VALU_DEP_1)
	v_lshlrev_b32_e32 v93, 20, v93
	v_or3_b32 v93, v95, v94, v93
.LBB6_1994:                             ;   in Loop: Header=BB6_394 Depth=4
	s_or_b32 exec_lo, exec_lo, s13
	s_mov_b32 s13, 0
	s_mov_b32 s37, exec_lo
                                        ; implicit-def: $sgpr36
	v_cmpx_lt_i16_e32 0x7f, v91
	s_xor_b32 s37, exec_lo, s37
	s_cbranch_execnz .LBB6_3132
; %bb.1995:                             ;   in Loop: Header=BB6_394 Depth=4
	s_or_saveexec_b32 s37, s37
	v_mov_b32_e32 v94, s36
	s_xor_b32 exec_lo, exec_lo, s37
	s_cbranch_execnz .LBB6_3135
.LBB6_1996:                             ;   in Loop: Header=BB6_394 Depth=4
	s_or_b32 exec_lo, exec_lo, s37
	s_and_saveexec_b32 s36, s13
	s_cbranch_execz .LBB6_1998
.LBB6_1997:                             ;   in Loop: Header=BB6_394 Depth=4
	v_bfe_u32 v94, v9, 24, 3
	v_bfe_u32 v105, v9, 27, 4
	s_delay_alu instid0(VALU_DEP_2) | instskip(NEXT) | instid1(VALU_DEP_2)
	v_clz_i32_u32_e32 v95, v94
	v_cmp_eq_u32_e32 vcc_lo, 0, v105
	s_delay_alu instid0(VALU_DEP_2) | instskip(NEXT) | instid1(VALU_DEP_1)
	v_min_u32_e32 v95, 32, v95
	v_subrev_nc_u32_e32 v104, 28, v95
	v_sub_nc_u32_e32 v95, 29, v95
	s_delay_alu instid0(VALU_DEP_2) | instskip(NEXT) | instid1(VALU_DEP_1)
	v_lshlrev_b32_e32 v104, v104, v91
	v_dual_cndmask_b32 v95, v105, v95 :: v_dual_and_b32 v104, 7, v104
	s_delay_alu instid0(VALU_DEP_1) | instskip(NEXT) | instid1(VALU_DEP_2)
	v_lshl_add_u32 v95, v95, 23, 0x3b800000
	v_cndmask_b32_e32 v94, v94, v104, vcc_lo
	v_and_b32_e32 v104, 0x80000000, v9
	s_delay_alu instid0(VALU_DEP_2) | instskip(NEXT) | instid1(VALU_DEP_1)
	v_lshlrev_b32_e32 v94, 20, v94
	v_or3_b32 v94, v104, v95, v94
.LBB6_1998:                             ;   in Loop: Header=BB6_394 Depth=4
	s_or_b32 exec_lo, exec_lo, s36
	s_delay_alu instid0(VALU_DEP_1) | instskip(SKIP_1) | instid1(VALU_DEP_1)
	v_dual_max_f32 v94, v94, v94 :: v_dual_max_f32 v93, v93, v93
	s_mov_b32 s13, 0
	v_max_f32_e32 v93, v93, v94
	s_branch .LBB6_2000
.LBB6_1999:                             ;   in Loop: Header=BB6_394 Depth=4
	s_mov_b32 s13, -1
                                        ; implicit-def: $vgpr93
.LBB6_2000:                             ;   in Loop: Header=BB6_394 Depth=4
	s_delay_alu instid0(SALU_CYCLE_1)
	s_and_b32 vcc_lo, exec_lo, s13
	s_cbranch_vccz .LBB6_2010
; %bb.2001:                             ;   in Loop: Header=BB6_394 Depth=4
	s_mov_b32 s13, 0
	s_mov_b32 s37, exec_lo
                                        ; implicit-def: $sgpr36
	v_cmpx_lt_i16_e32 0x7f, v92
	s_xor_b32 s37, exec_lo, s37
	s_cbranch_execnz .LBB6_3136
; %bb.2002:                             ;   in Loop: Header=BB6_394 Depth=4
	s_or_saveexec_b32 s37, s37
	v_mov_b32_e32 v93, s36
	s_xor_b32 exec_lo, exec_lo, s37
	s_cbranch_execnz .LBB6_3139
.LBB6_2003:                             ;   in Loop: Header=BB6_394 Depth=4
	s_or_b32 exec_lo, exec_lo, s37
	s_and_saveexec_b32 s36, s13
	s_cbranch_execz .LBB6_2005
.LBB6_2004:                             ;   in Loop: Header=BB6_394 Depth=4
	v_bfe_u32 v93, v13, 24, 3
	s_delay_alu instid0(VALU_DEP_1) | instskip(NEXT) | instid1(VALU_DEP_1)
	v_clz_i32_u32_e32 v94, v93
	v_min_u32_e32 v94, 32, v94
	s_delay_alu instid0(VALU_DEP_1) | instskip(SKIP_1) | instid1(VALU_DEP_2)
	v_subrev_nc_u32_e32 v95, 28, v94
	v_sub_nc_u32_e32 v94, 29, v94
	v_lshlrev_b32_e32 v92, v95, v92
	v_bfe_u32 v95, v13, 27, 4
	v_and_b32_e32 v13, 0x80000000, v13
	s_delay_alu instid0(VALU_DEP_3) | instskip(NEXT) | instid1(VALU_DEP_3)
	v_and_b32_e32 v92, 7, v92
	v_cmp_eq_u32_e32 vcc_lo, 0, v95
	v_cndmask_b32_e32 v94, v95, v94, vcc_lo
	s_delay_alu instid0(VALU_DEP_3) | instskip(NEXT) | instid1(VALU_DEP_2)
	v_cndmask_b32_e32 v92, v93, v92, vcc_lo
	v_lshl_add_u32 v93, v94, 23, 0x3b800000
	s_delay_alu instid0(VALU_DEP_2) | instskip(NEXT) | instid1(VALU_DEP_1)
	v_lshlrev_b32_e32 v92, 20, v92
	v_or3_b32 v93, v13, v93, v92
.LBB6_2005:                             ;   in Loop: Header=BB6_394 Depth=4
	s_or_b32 exec_lo, exec_lo, s36
	s_mov_b32 s13, 0
	s_mov_b32 s37, exec_lo
                                        ; implicit-def: $sgpr36
	v_cmpx_lt_i16_e32 0x7f, v91
	s_xor_b32 s37, exec_lo, s37
	s_cbranch_execnz .LBB6_3140
; %bb.2006:                             ;   in Loop: Header=BB6_394 Depth=4
	s_or_saveexec_b32 s37, s37
	v_mov_b32_e32 v13, s36
	s_xor_b32 exec_lo, exec_lo, s37
	s_cbranch_execnz .LBB6_3143
.LBB6_2007:                             ;   in Loop: Header=BB6_394 Depth=4
	s_or_b32 exec_lo, exec_lo, s37
	s_and_saveexec_b32 s36, s13
	s_cbranch_execz .LBB6_2009
.LBB6_2008:                             ;   in Loop: Header=BB6_394 Depth=4
	v_bfe_u32 v13, v9, 24, 3
	s_delay_alu instid0(VALU_DEP_1) | instskip(NEXT) | instid1(VALU_DEP_1)
	v_clz_i32_u32_e32 v92, v13
	v_min_u32_e32 v92, 32, v92
	s_delay_alu instid0(VALU_DEP_1) | instskip(SKIP_1) | instid1(VALU_DEP_2)
	v_subrev_nc_u32_e32 v94, 28, v92
	v_sub_nc_u32_e32 v92, 29, v92
	v_lshlrev_b32_e32 v91, v94, v91
	v_bfe_u32 v94, v9, 27, 4
	v_and_b32_e32 v9, 0x80000000, v9
	s_delay_alu instid0(VALU_DEP_2) | instskip(NEXT) | instid1(VALU_DEP_4)
	v_cmp_eq_u32_e32 vcc_lo, 0, v94
	v_dual_cndmask_b32 v92, v94, v92 :: v_dual_and_b32 v91, 7, v91
	s_delay_alu instid0(VALU_DEP_1) | instskip(NEXT) | instid1(VALU_DEP_2)
	v_cndmask_b32_e32 v13, v13, v91, vcc_lo
	v_lshl_add_u32 v91, v92, 23, 0x3b800000
	s_delay_alu instid0(VALU_DEP_2) | instskip(NEXT) | instid1(VALU_DEP_1)
	v_lshlrev_b32_e32 v13, 20, v13
	v_or3_b32 v13, v9, v91, v13
.LBB6_2009:                             ;   in Loop: Header=BB6_394 Depth=4
	s_or_b32 exec_lo, exec_lo, s36
	s_delay_alu instid0(VALU_DEP_1) | instskip(SKIP_1) | instid1(VALU_DEP_1)
	v_max_f32_e32 v9, v13, v13
	v_max_f32_e32 v13, v93, v93
	v_min_f32_e32 v93, v13, v9
.LBB6_2010:                             ;   in Loop: Header=BB6_394 Depth=4
	s_delay_alu instid0(VALU_DEP_1) | instskip(NEXT) | instid1(VALU_DEP_1)
	v_and_b32_e32 v9, 0x7f800000, v93
	v_cmp_ne_u32_e32 vcc_lo, 0x7f800000, v9
	v_mov_b32_e32 v9, 0x8000
	s_and_saveexec_b32 s36, vcc_lo
	s_cbranch_execz .LBB6_2018
; %bb.2011:                             ;   in Loop: Header=BB6_394 Depth=4
	v_mov_b32_e32 v9, 0
	s_mov_b32 s37, exec_lo
	v_cmpx_ne_u32_e32 0, v93
	s_cbranch_execz .LBB6_2017
; %bb.2012:                             ;   in Loop: Header=BB6_394 Depth=4
	v_bfe_u32 v9, v93, 23, 8
	v_and_b32_e32 v13, 0x7fffff, v93
	s_delay_alu instid0(VALU_DEP_2) | instskip(SKIP_1) | instid1(VALU_DEP_3)
	v_sub_nc_u32_e32 v91, 0x78, v9
	v_cmp_gt_u32_e32 vcc_lo, 0x79, v9
	v_or_b32_e32 v92, 0x800000, v13
	s_delay_alu instid0(VALU_DEP_3) | instskip(SKIP_2) | instid1(VALU_DEP_3)
	v_cndmask_b32_e32 v91, 0, v91, vcc_lo
	v_cmp_eq_u32_e32 vcc_lo, 0, v9
	v_add_nc_u32_e32 v9, 0xffffff89, v9
	v_cndmask_b32_e64 v91, v91, 0x77, vcc_lo
	v_cndmask_b32_e32 v13, v92, v13, vcc_lo
	s_delay_alu instid0(VALU_DEP_3) | instskip(NEXT) | instid1(VALU_DEP_3)
	v_cndmask_b32_e64 v9, v9, 0xffffff8a, vcc_lo
	v_lshl_add_u32 v92, 0x100000, v91, -1
	s_delay_alu instid0(VALU_DEP_3) | instskip(SKIP_1) | instid1(VALU_DEP_4)
	v_lshrrev_b32_e32 v94, v91, v13
	v_lshlrev_b32_e64 v104, v91, 0x80000
	v_add_nc_u32_e32 v91, v91, v9
	s_delay_alu instid0(VALU_DEP_4) | instskip(NEXT) | instid1(VALU_DEP_4)
	v_and_b32_e32 v13, v92, v13
	v_bfe_u32 v95, v94, 20, 1
	s_delay_alu instid0(VALU_DEP_2) | instskip(NEXT) | instid1(VALU_DEP_2)
	v_cmp_eq_u32_e64 s13, v13, v104
	v_add_nc_u32_e32 v92, -1, v95
	s_delay_alu instid0(VALU_DEP_1) | instskip(SKIP_2) | instid1(VALU_DEP_2)
	v_cndmask_b32_e64 v13, 0, v92, s13
	v_lshrrev_b32_e32 v92, 23, v94
	s_mov_b32 s13, exec_lo
	v_add_nc_u32_e32 v13, v13, v94
	s_delay_alu instid0(VALU_DEP_2) | instskip(NEXT) | instid1(VALU_DEP_2)
	v_xor_b32_e32 v92, 1, v92
	v_and_b32_e32 v9, 0xfffff, v13
	s_delay_alu instid0(VALU_DEP_1) | instskip(NEXT) | instid1(VALU_DEP_3)
	v_add_nc_u32_e32 v13, v9, v94
                                        ; implicit-def: $vgpr9
	v_cmpx_ne_u32_e64 v91, v92
	s_xor_b32 s13, exec_lo, s13
; %bb.2013:                             ;   in Loop: Header=BB6_394 Depth=4
	s_delay_alu instid0(VALU_DEP_2) | instskip(SKIP_2) | instid1(VALU_DEP_2)
	v_cmp_lt_u32_e32 vcc_lo, 0xffffff, v13
	v_sub_nc_u32_e32 v9, v91, v92
	v_cndmask_b32_e64 v91, 0, 1, vcc_lo
	v_add_co_ci_u32_e32 v9, vcc_lo, 0, v9, vcc_lo
	s_delay_alu instid0(VALU_DEP_2)
	v_lshrrev_b32_e32 v13, v91, v13
; %bb.2014:                             ;   in Loop: Header=BB6_394 Depth=4
	s_and_not1_saveexec_b32 s13, s13
; %bb.2015:                             ;   in Loop: Header=BB6_394 Depth=4
	s_delay_alu instid0(VALU_DEP_1)
	v_bfe_u32 v9, v13, 23, 1
; %bb.2016:                             ;   in Loop: Header=BB6_394 Depth=4
	s_or_b32 exec_lo, exec_lo, s13
	v_lshrrev_b32_e32 v13, 20, v13
	s_delay_alu instid0(VALU_DEP_2) | instskip(SKIP_2) | instid1(VALU_DEP_3)
	v_min_i32_e32 v91, 15, v9
	v_cmp_gt_i32_e32 vcc_lo, 16, v9
	v_lshrrev_b32_e32 v92, 24, v93
	v_lshlrev_b32_e32 v91, 3, v91
	s_delay_alu instid0(VALU_DEP_2) | instskip(NEXT) | instid1(VALU_DEP_2)
	v_dual_cndmask_b32 v13, 7, v13 :: v_dual_and_b32 v92, 0x80, v92
	v_and_b32_e32 v91, 0xf8, v91
	s_delay_alu instid0(VALU_DEP_2) | instskip(SKIP_1) | instid1(VALU_DEP_2)
	v_and_b32_e32 v93, 7, v13
	v_or_b32_e32 v9, v9, v13
	v_or3_b32 v91, v92, v91, v93
	s_delay_alu instid0(VALU_DEP_2) | instskip(NEXT) | instid1(VALU_DEP_2)
	v_cmp_ne_u32_e32 vcc_lo, 0, v9
	v_lshlrev_b32_e32 v13, 8, v91
	s_delay_alu instid0(VALU_DEP_1)
	v_cndmask_b32_e32 v9, 0, v13, vcc_lo
.LBB6_2017:                             ;   in Loop: Header=BB6_394 Depth=4
	s_or_b32 exec_lo, exec_lo, s37
.LBB6_2018:                             ;   in Loop: Header=BB6_394 Depth=4
	s_delay_alu instid0(SALU_CYCLE_1) | instskip(SKIP_2) | instid1(VALU_DEP_1)
	s_or_b32 exec_lo, exec_lo, s36
	v_and_b32_e32 v13, 0xff, v14
	s_and_not1_b32 vcc_lo, exec_lo, s35
	v_cmp_lt_i16_e64 s13, 0x7f, v13
	s_cbranch_vccnz .LBB6_2028
; %bb.2019:                             ;   in Loop: Header=BB6_394 Depth=4
	s_mov_b32 s36, 0
                                        ; implicit-def: $sgpr37
	s_delay_alu instid0(VALU_DEP_1) | instskip(NEXT) | instid1(SALU_CYCLE_1)
	s_and_saveexec_b32 vcc_lo, s13
	s_xor_b32 s13, exec_lo, vcc_lo
	s_cbranch_execnz .LBB6_3144
; %bb.2020:                             ;   in Loop: Header=BB6_394 Depth=4
	s_or_saveexec_b32 s13, s13
	v_mov_b32_e32 v91, s37
	s_xor_b32 exec_lo, exec_lo, s13
	s_cbranch_execnz .LBB6_3147
.LBB6_2021:                             ;   in Loop: Header=BB6_394 Depth=4
	s_or_b32 exec_lo, exec_lo, s13
	s_and_saveexec_b32 s13, s36
	s_cbranch_execz .LBB6_2023
.LBB6_2022:                             ;   in Loop: Header=BB6_394 Depth=4
	v_bfe_u32 v94, v14, 3, 4
	v_lshlrev_b32_e32 v95, 24, v14
	s_delay_alu instid0(VALU_DEP_2) | instskip(SKIP_1) | instid1(VALU_DEP_1)
	v_cmp_eq_u32_e32 vcc_lo, 0, v94
	v_and_b32_e32 v91, 7, v14
	v_clz_i32_u32_e32 v92, v91
	s_delay_alu instid0(VALU_DEP_1) | instskip(NEXT) | instid1(VALU_DEP_1)
	v_min_u32_e32 v92, 32, v92
	v_subrev_nc_u32_e32 v93, 28, v92
	v_sub_nc_u32_e32 v92, 29, v92
	s_delay_alu instid0(VALU_DEP_1) | instskip(NEXT) | instid1(VALU_DEP_1)
	v_dual_cndmask_b32 v92, v94, v92 :: v_dual_lshlrev_b32 v93, v93, v14
	v_and_b32_e32 v93, 7, v93
	s_delay_alu instid0(VALU_DEP_2) | instskip(NEXT) | instid1(VALU_DEP_2)
	v_lshl_add_u32 v92, v92, 23, 0x3b800000
	v_cndmask_b32_e32 v91, v91, v93, vcc_lo
	v_and_b32_e32 v93, 0x80000000, v95
	s_delay_alu instid0(VALU_DEP_2) | instskip(NEXT) | instid1(VALU_DEP_1)
	v_lshlrev_b32_e32 v91, 20, v91
	v_or3_b32 v91, v93, v92, v91
.LBB6_2023:                             ;   in Loop: Header=BB6_394 Depth=4
	s_or_b32 exec_lo, exec_lo, s13
	v_and_b32_e32 v93, 0xff, v10
	s_mov_b32 s13, 0
	s_mov_b32 s37, exec_lo
                                        ; implicit-def: $sgpr36
	s_delay_alu instid0(VALU_DEP_1)
	v_cmpx_lt_i16_e32 0x7f, v93
	s_xor_b32 s37, exec_lo, s37
	s_cbranch_execnz .LBB6_3148
; %bb.2024:                             ;   in Loop: Header=BB6_394 Depth=4
	s_or_saveexec_b32 s37, s37
	v_mov_b32_e32 v92, s36
	s_xor_b32 exec_lo, exec_lo, s37
	s_cbranch_execnz .LBB6_3151
.LBB6_2025:                             ;   in Loop: Header=BB6_394 Depth=4
	s_or_b32 exec_lo, exec_lo, s37
	s_and_saveexec_b32 s36, s13
	s_cbranch_execz .LBB6_2027
.LBB6_2026:                             ;   in Loop: Header=BB6_394 Depth=4
	v_bfe_u32 v95, v10, 3, 4
	v_lshlrev_b32_e32 v104, 24, v10
	s_delay_alu instid0(VALU_DEP_2) | instskip(SKIP_1) | instid1(VALU_DEP_1)
	v_cmp_eq_u32_e32 vcc_lo, 0, v95
	v_and_b32_e32 v92, 7, v10
	v_clz_i32_u32_e32 v93, v92
	s_delay_alu instid0(VALU_DEP_1) | instskip(NEXT) | instid1(VALU_DEP_1)
	v_min_u32_e32 v93, 32, v93
	v_subrev_nc_u32_e32 v94, 28, v93
	v_sub_nc_u32_e32 v93, 29, v93
	s_delay_alu instid0(VALU_DEP_1) | instskip(NEXT) | instid1(VALU_DEP_1)
	v_dual_cndmask_b32 v93, v95, v93 :: v_dual_lshlrev_b32 v94, v94, v10
	v_and_b32_e32 v94, 7, v94
	s_delay_alu instid0(VALU_DEP_2) | instskip(NEXT) | instid1(VALU_DEP_2)
	v_lshl_add_u32 v93, v93, 23, 0x3b800000
	v_cndmask_b32_e32 v92, v92, v94, vcc_lo
	v_and_b32_e32 v94, 0x80000000, v104
	s_delay_alu instid0(VALU_DEP_2) | instskip(NEXT) | instid1(VALU_DEP_1)
	v_lshlrev_b32_e32 v92, 20, v92
	v_or3_b32 v92, v94, v93, v92
.LBB6_2027:                             ;   in Loop: Header=BB6_394 Depth=4
	s_or_b32 exec_lo, exec_lo, s36
	s_delay_alu instid0(VALU_DEP_1) | instskip(SKIP_1) | instid1(VALU_DEP_1)
	v_dual_max_f32 v92, v92, v92 :: v_dual_max_f32 v91, v91, v91
	s_mov_b32 s13, 0
	v_max_f32_e32 v91, v91, v92
	s_branch .LBB6_2029
.LBB6_2028:                             ;   in Loop: Header=BB6_394 Depth=4
	s_mov_b32 s13, -1
                                        ; implicit-def: $vgpr91
.LBB6_2029:                             ;   in Loop: Header=BB6_394 Depth=4
	s_delay_alu instid0(SALU_CYCLE_1)
	s_and_b32 vcc_lo, exec_lo, s13
	s_cbranch_vccz .LBB6_2039
; %bb.2030:                             ;   in Loop: Header=BB6_394 Depth=4
	s_mov_b32 s13, 0
	s_mov_b32 s37, exec_lo
                                        ; implicit-def: $sgpr36
	v_cmpx_lt_i16_e32 0x7f, v13
	s_xor_b32 s37, exec_lo, s37
	s_cbranch_execnz .LBB6_3152
; %bb.2031:                             ;   in Loop: Header=BB6_394 Depth=4
	s_or_saveexec_b32 s37, s37
	v_mov_b32_e32 v91, s36
	s_xor_b32 exec_lo, exec_lo, s37
	s_cbranch_execnz .LBB6_3155
.LBB6_2032:                             ;   in Loop: Header=BB6_394 Depth=4
	s_or_b32 exec_lo, exec_lo, s37
	s_and_saveexec_b32 s36, s13
	s_cbranch_execz .LBB6_2034
.LBB6_2033:                             ;   in Loop: Header=BB6_394 Depth=4
	v_and_b32_e32 v13, 7, v14
	v_bfe_u32 v93, v14, 3, 4
	s_delay_alu instid0(VALU_DEP_2) | instskip(NEXT) | instid1(VALU_DEP_2)
	v_clz_i32_u32_e32 v91, v13
	v_cmp_eq_u32_e32 vcc_lo, 0, v93
	s_delay_alu instid0(VALU_DEP_2) | instskip(NEXT) | instid1(VALU_DEP_1)
	v_min_u32_e32 v91, 32, v91
	v_subrev_nc_u32_e32 v92, 28, v91
	v_sub_nc_u32_e32 v91, 29, v91
	s_delay_alu instid0(VALU_DEP_1) | instskip(NEXT) | instid1(VALU_DEP_1)
	v_dual_cndmask_b32 v91, v93, v91 :: v_dual_lshlrev_b32 v92, v92, v14
	v_and_b32_e32 v92, 7, v92
	v_lshlrev_b32_e32 v94, 24, v14
	s_delay_alu instid0(VALU_DEP_3) | instskip(NEXT) | instid1(VALU_DEP_2)
	v_lshl_add_u32 v91, v91, 23, 0x3b800000
	v_dual_cndmask_b32 v13, v13, v92 :: v_dual_and_b32 v92, 0x80000000, v94
	s_delay_alu instid0(VALU_DEP_1) | instskip(NEXT) | instid1(VALU_DEP_1)
	v_lshlrev_b32_e32 v13, 20, v13
	v_or3_b32 v91, v92, v91, v13
.LBB6_2034:                             ;   in Loop: Header=BB6_394 Depth=4
	s_or_b32 exec_lo, exec_lo, s36
	v_and_b32_e32 v92, 0xff, v10
	s_mov_b32 s13, 0
	s_mov_b32 s37, exec_lo
                                        ; implicit-def: $sgpr36
	s_delay_alu instid0(VALU_DEP_1)
	v_cmpx_lt_i16_e32 0x7f, v92
	s_xor_b32 s37, exec_lo, s37
	s_cbranch_execnz .LBB6_3156
; %bb.2035:                             ;   in Loop: Header=BB6_394 Depth=4
	s_or_saveexec_b32 s37, s37
	v_mov_b32_e32 v13, s36
	s_xor_b32 exec_lo, exec_lo, s37
	s_cbranch_execnz .LBB6_3159
.LBB6_2036:                             ;   in Loop: Header=BB6_394 Depth=4
	s_or_b32 exec_lo, exec_lo, s37
	s_and_saveexec_b32 s36, s13
	s_cbranch_execz .LBB6_2038
.LBB6_2037:                             ;   in Loop: Header=BB6_394 Depth=4
	v_bfe_u32 v94, v10, 3, 4
	v_lshlrev_b32_e32 v95, 24, v10
	s_delay_alu instid0(VALU_DEP_2) | instskip(SKIP_1) | instid1(VALU_DEP_1)
	v_cmp_eq_u32_e32 vcc_lo, 0, v94
	v_and_b32_e32 v13, 7, v10
	v_clz_i32_u32_e32 v92, v13
	s_delay_alu instid0(VALU_DEP_1) | instskip(NEXT) | instid1(VALU_DEP_1)
	v_min_u32_e32 v92, 32, v92
	v_subrev_nc_u32_e32 v93, 28, v92
	v_sub_nc_u32_e32 v92, 29, v92
	s_delay_alu instid0(VALU_DEP_1) | instskip(NEXT) | instid1(VALU_DEP_1)
	v_dual_cndmask_b32 v92, v94, v92 :: v_dual_lshlrev_b32 v93, v93, v10
	v_and_b32_e32 v93, 7, v93
	s_delay_alu instid0(VALU_DEP_2) | instskip(NEXT) | instid1(VALU_DEP_2)
	v_lshl_add_u32 v92, v92, 23, 0x3b800000
	v_cndmask_b32_e32 v13, v13, v93, vcc_lo
	v_and_b32_e32 v93, 0x80000000, v95
	s_delay_alu instid0(VALU_DEP_2) | instskip(NEXT) | instid1(VALU_DEP_1)
	v_lshlrev_b32_e32 v13, 20, v13
	v_or3_b32 v13, v93, v92, v13
.LBB6_2038:                             ;   in Loop: Header=BB6_394 Depth=4
	s_or_b32 exec_lo, exec_lo, s36
	s_delay_alu instid0(VALU_DEP_1) | instskip(SKIP_1) | instid1(VALU_DEP_1)
	v_max_f32_e32 v13, v13, v13
	v_max_f32_e32 v91, v91, v91
	v_min_f32_e32 v91, v91, v13
.LBB6_2039:                             ;   in Loop: Header=BB6_394 Depth=4
	s_delay_alu instid0(VALU_DEP_1) | instskip(NEXT) | instid1(VALU_DEP_1)
	v_and_b32_e32 v13, 0x7f800000, v91
	v_cmp_ne_u32_e32 vcc_lo, 0x7f800000, v13
	v_mov_b32_e32 v13, 0x80
	s_and_saveexec_b32 s36, vcc_lo
	s_cbranch_execz .LBB6_2047
; %bb.2040:                             ;   in Loop: Header=BB6_394 Depth=4
	v_mov_b32_e32 v13, 0
	s_mov_b32 s37, exec_lo
	v_cmpx_ne_u32_e32 0, v91
	s_cbranch_execz .LBB6_2046
; %bb.2041:                             ;   in Loop: Header=BB6_394 Depth=4
	v_bfe_u32 v13, v91, 23, 8
	s_delay_alu instid0(VALU_DEP_1) | instskip(SKIP_1) | instid1(VALU_DEP_2)
	v_sub_nc_u32_e32 v93, 0x78, v13
	v_cmp_gt_u32_e32 vcc_lo, 0x79, v13
	v_dual_cndmask_b32 v93, 0, v93 :: v_dual_and_b32 v92, 0x7fffff, v91
	s_delay_alu instid0(VALU_DEP_1) | instskip(SKIP_2) | instid1(VALU_DEP_4)
	v_or_b32_e32 v94, 0x800000, v92
	v_cmp_eq_u32_e32 vcc_lo, 0, v13
	v_add_nc_u32_e32 v13, 0xffffff89, v13
	v_cndmask_b32_e64 v93, v93, 0x77, vcc_lo
	s_delay_alu instid0(VALU_DEP_4) | instskip(NEXT) | instid1(VALU_DEP_3)
	v_cndmask_b32_e32 v92, v94, v92, vcc_lo
	v_cndmask_b32_e64 v13, v13, 0xffffff8a, vcc_lo
	s_delay_alu instid0(VALU_DEP_3) | instskip(NEXT) | instid1(VALU_DEP_3)
	v_lshl_add_u32 v94, 0x100000, v93, -1
	v_lshrrev_b32_e32 v95, v93, v92
	v_lshlrev_b32_e64 v105, v93, 0x80000
	s_delay_alu instid0(VALU_DEP_4) | instskip(NEXT) | instid1(VALU_DEP_4)
	v_add_nc_u32_e32 v93, v93, v13
	v_and_b32_e32 v92, v94, v92
	s_delay_alu instid0(VALU_DEP_4) | instskip(NEXT) | instid1(VALU_DEP_2)
	v_bfe_u32 v104, v95, 20, 1
	v_cmp_eq_u32_e64 s13, v92, v105
	s_delay_alu instid0(VALU_DEP_2) | instskip(NEXT) | instid1(VALU_DEP_1)
	v_add_nc_u32_e32 v94, -1, v104
	v_cndmask_b32_e64 v92, 0, v94, s13
	v_lshrrev_b32_e32 v94, 23, v95
	s_mov_b32 s13, exec_lo
	s_delay_alu instid0(VALU_DEP_2) | instskip(NEXT) | instid1(VALU_DEP_2)
	v_add_nc_u32_e32 v92, v92, v95
	v_xor_b32_e32 v94, 1, v94
	s_delay_alu instid0(VALU_DEP_2) | instskip(NEXT) | instid1(VALU_DEP_1)
	v_and_b32_e32 v13, 0xfffff, v92
	v_add_nc_u32_e32 v92, v13, v95
                                        ; implicit-def: $vgpr13
	s_delay_alu instid0(VALU_DEP_3)
	v_cmpx_ne_u32_e64 v93, v94
	s_xor_b32 s13, exec_lo, s13
; %bb.2042:                             ;   in Loop: Header=BB6_394 Depth=4
	s_delay_alu instid0(VALU_DEP_2) | instskip(SKIP_2) | instid1(VALU_DEP_2)
	v_cmp_lt_u32_e32 vcc_lo, 0xffffff, v92
	v_sub_nc_u32_e32 v13, v93, v94
	v_cndmask_b32_e64 v93, 0, 1, vcc_lo
	v_add_co_ci_u32_e32 v13, vcc_lo, 0, v13, vcc_lo
	s_delay_alu instid0(VALU_DEP_2)
	v_lshrrev_b32_e32 v92, v93, v92
; %bb.2043:                             ;   in Loop: Header=BB6_394 Depth=4
	s_and_not1_saveexec_b32 s13, s13
; %bb.2044:                             ;   in Loop: Header=BB6_394 Depth=4
	s_delay_alu instid0(VALU_DEP_1)
	v_bfe_u32 v13, v92, 23, 1
; %bb.2045:                             ;   in Loop: Header=BB6_394 Depth=4
	s_or_b32 exec_lo, exec_lo, s13
	v_lshrrev_b32_e32 v92, 20, v92
	s_delay_alu instid0(VALU_DEP_2) | instskip(SKIP_2) | instid1(VALU_DEP_2)
	v_cmp_gt_i32_e32 vcc_lo, 16, v13
	v_lshrrev_b32_e32 v91, 24, v91
	v_min_i32_e32 v93, 15, v13
	v_dual_cndmask_b32 v92, 7, v92 :: v_dual_and_b32 v91, 0x80, v91
	s_delay_alu instid0(VALU_DEP_2) | instskip(NEXT) | instid1(VALU_DEP_2)
	v_lshlrev_b32_e32 v93, 3, v93
	v_or_b32_e32 v13, v13, v92
	s_delay_alu instid0(VALU_DEP_1) | instskip(SKIP_1) | instid1(VALU_DEP_1)
	v_cmp_ne_u32_e32 vcc_lo, 0, v13
	v_and_b32_e32 v94, 7, v92
	v_or3_b32 v91, v93, v91, v94
	s_delay_alu instid0(VALU_DEP_1)
	v_cndmask_b32_e32 v13, 0, v91, vcc_lo
.LBB6_2046:                             ;   in Loop: Header=BB6_394 Depth=4
	s_or_b32 exec_lo, exec_lo, s37
.LBB6_2047:                             ;   in Loop: Header=BB6_394 Depth=4
	s_delay_alu instid0(SALU_CYCLE_1) | instskip(SKIP_3) | instid1(VALU_DEP_2)
	s_or_b32 exec_lo, exec_lo, s36
	v_lshrrev_b16 v92, 8, v14
	v_lshrrev_b16 v91, 8, v10
	s_and_not1_b32 vcc_lo, exec_lo, s35
	v_cmp_lt_i16_e64 s13, 0x7f, v92
	s_cbranch_vccnz .LBB6_2057
; %bb.2048:                             ;   in Loop: Header=BB6_394 Depth=4
	s_mov_b32 s36, 0
                                        ; implicit-def: $sgpr37
	s_delay_alu instid0(VALU_DEP_1) | instskip(NEXT) | instid1(SALU_CYCLE_1)
	s_and_saveexec_b32 vcc_lo, s13
	s_xor_b32 s13, exec_lo, vcc_lo
	s_cbranch_execnz .LBB6_3160
; %bb.2049:                             ;   in Loop: Header=BB6_394 Depth=4
	s_or_saveexec_b32 s13, s13
	v_mov_b32_e32 v93, s37
	s_xor_b32 exec_lo, exec_lo, s13
	s_cbranch_execnz .LBB6_3163
.LBB6_2050:                             ;   in Loop: Header=BB6_394 Depth=4
	s_or_b32 exec_lo, exec_lo, s13
	s_and_saveexec_b32 s13, s36
	s_cbranch_execz .LBB6_2052
.LBB6_2051:                             ;   in Loop: Header=BB6_394 Depth=4
	v_and_b32_e32 v93, 0xffff, v92
	s_delay_alu instid0(VALU_DEP_1) | instskip(NEXT) | instid1(VALU_DEP_1)
	v_and_b32_e32 v94, 7, v93
	v_clz_i32_u32_e32 v95, v94
	s_delay_alu instid0(VALU_DEP_1) | instskip(NEXT) | instid1(VALU_DEP_1)
	v_min_u32_e32 v95, 32, v95
	v_subrev_nc_u32_e32 v104, 28, v95
	v_sub_nc_u32_e32 v95, 29, v95
	s_delay_alu instid0(VALU_DEP_2) | instskip(SKIP_1) | instid1(VALU_DEP_2)
	v_lshlrev_b32_e32 v104, v104, v93
	v_bfe_u32 v93, v93, 3, 4
	v_and_b32_e32 v104, 7, v104
	s_delay_alu instid0(VALU_DEP_2) | instskip(SKIP_1) | instid1(VALU_DEP_3)
	v_cmp_eq_u32_e32 vcc_lo, 0, v93
	v_cndmask_b32_e32 v93, v93, v95, vcc_lo
	v_dual_cndmask_b32 v94, v94, v104 :: v_dual_lshlrev_b32 v105, 16, v14
	s_delay_alu instid0(VALU_DEP_2) | instskip(NEXT) | instid1(VALU_DEP_2)
	v_lshl_add_u32 v93, v93, 23, 0x3b800000
	v_and_b32_e32 v95, 0x80000000, v105
	s_delay_alu instid0(VALU_DEP_3) | instskip(NEXT) | instid1(VALU_DEP_1)
	v_lshlrev_b32_e32 v94, 20, v94
	v_or3_b32 v93, v95, v93, v94
.LBB6_2052:                             ;   in Loop: Header=BB6_394 Depth=4
	s_or_b32 exec_lo, exec_lo, s13
	s_mov_b32 s13, 0
	s_mov_b32 s37, exec_lo
                                        ; implicit-def: $sgpr36
	v_cmpx_lt_i16_e32 0x7f, v91
	s_xor_b32 s37, exec_lo, s37
	s_cbranch_execnz .LBB6_3164
; %bb.2053:                             ;   in Loop: Header=BB6_394 Depth=4
	s_or_saveexec_b32 s37, s37
	v_mov_b32_e32 v94, s36
	s_xor_b32 exec_lo, exec_lo, s37
	s_cbranch_execnz .LBB6_3167
.LBB6_2054:                             ;   in Loop: Header=BB6_394 Depth=4
	s_or_b32 exec_lo, exec_lo, s37
	s_and_saveexec_b32 s36, s13
	s_cbranch_execz .LBB6_2056
.LBB6_2055:                             ;   in Loop: Header=BB6_394 Depth=4
	v_and_b32_e32 v94, 0xffff, v91
	v_lshlrev_b32_e32 v106, 16, v10
	s_delay_alu instid0(VALU_DEP_2) | instskip(NEXT) | instid1(VALU_DEP_1)
	v_and_b32_e32 v95, 7, v94
	v_clz_i32_u32_e32 v104, v95
	s_delay_alu instid0(VALU_DEP_1) | instskip(NEXT) | instid1(VALU_DEP_1)
	v_min_u32_e32 v104, 32, v104
	v_subrev_nc_u32_e32 v105, 28, v104
	v_sub_nc_u32_e32 v104, 29, v104
	s_delay_alu instid0(VALU_DEP_2) | instskip(SKIP_1) | instid1(VALU_DEP_2)
	v_lshlrev_b32_e32 v105, v105, v94
	v_bfe_u32 v94, v94, 3, 4
	v_and_b32_e32 v105, 7, v105
	s_delay_alu instid0(VALU_DEP_2) | instskip(NEXT) | instid1(VALU_DEP_2)
	v_cmp_eq_u32_e32 vcc_lo, 0, v94
	v_dual_cndmask_b32 v94, v94, v104 :: v_dual_cndmask_b32 v95, v95, v105
	v_and_b32_e32 v104, 0x80000000, v106
	s_delay_alu instid0(VALU_DEP_2) | instskip(NEXT) | instid1(VALU_DEP_3)
	v_lshl_add_u32 v94, v94, 23, 0x3b800000
	v_lshlrev_b32_e32 v95, 20, v95
	s_delay_alu instid0(VALU_DEP_1)
	v_or3_b32 v94, v104, v94, v95
.LBB6_2056:                             ;   in Loop: Header=BB6_394 Depth=4
	s_or_b32 exec_lo, exec_lo, s36
	s_delay_alu instid0(VALU_DEP_1) | instskip(SKIP_1) | instid1(VALU_DEP_1)
	v_dual_max_f32 v94, v94, v94 :: v_dual_max_f32 v93, v93, v93
	s_mov_b32 s13, 0
	v_max_f32_e32 v93, v93, v94
	s_branch .LBB6_2058
.LBB6_2057:                             ;   in Loop: Header=BB6_394 Depth=4
	s_mov_b32 s13, -1
                                        ; implicit-def: $vgpr93
.LBB6_2058:                             ;   in Loop: Header=BB6_394 Depth=4
	s_delay_alu instid0(SALU_CYCLE_1)
	s_and_b32 vcc_lo, exec_lo, s13
	s_cbranch_vccz .LBB6_2068
; %bb.2059:                             ;   in Loop: Header=BB6_394 Depth=4
	s_mov_b32 s13, 0
	s_mov_b32 s37, exec_lo
                                        ; implicit-def: $sgpr36
	v_cmpx_lt_i16_e32 0x7f, v92
	s_xor_b32 s37, exec_lo, s37
	s_cbranch_execnz .LBB6_3168
; %bb.2060:                             ;   in Loop: Header=BB6_394 Depth=4
	s_or_saveexec_b32 s37, s37
	v_mov_b32_e32 v93, s36
	s_xor_b32 exec_lo, exec_lo, s37
	s_cbranch_execnz .LBB6_3171
.LBB6_2061:                             ;   in Loop: Header=BB6_394 Depth=4
	s_or_b32 exec_lo, exec_lo, s37
	s_and_saveexec_b32 s36, s13
	s_cbranch_execz .LBB6_2063
.LBB6_2062:                             ;   in Loop: Header=BB6_394 Depth=4
	v_and_b32_e32 v92, 0xffff, v92
	v_lshlrev_b32_e32 v104, 16, v14
	s_delay_alu instid0(VALU_DEP_2) | instskip(NEXT) | instid1(VALU_DEP_1)
	v_and_b32_e32 v93, 7, v92
	v_clz_i32_u32_e32 v94, v93
	s_delay_alu instid0(VALU_DEP_1) | instskip(NEXT) | instid1(VALU_DEP_1)
	v_min_u32_e32 v94, 32, v94
	v_subrev_nc_u32_e32 v95, 28, v94
	v_sub_nc_u32_e32 v94, 29, v94
	s_delay_alu instid0(VALU_DEP_2) | instskip(SKIP_1) | instid1(VALU_DEP_2)
	v_lshlrev_b32_e32 v95, v95, v92
	v_bfe_u32 v92, v92, 3, 4
	v_and_b32_e32 v95, 7, v95
	s_delay_alu instid0(VALU_DEP_2) | instskip(NEXT) | instid1(VALU_DEP_2)
	v_cmp_eq_u32_e32 vcc_lo, 0, v92
	v_dual_cndmask_b32 v92, v92, v94 :: v_dual_cndmask_b32 v93, v93, v95
	v_and_b32_e32 v94, 0x80000000, v104
	s_delay_alu instid0(VALU_DEP_2) | instskip(NEXT) | instid1(VALU_DEP_3)
	v_lshl_add_u32 v92, v92, 23, 0x3b800000
	v_lshlrev_b32_e32 v93, 20, v93
	s_delay_alu instid0(VALU_DEP_1)
	v_or3_b32 v93, v94, v92, v93
.LBB6_2063:                             ;   in Loop: Header=BB6_394 Depth=4
	s_or_b32 exec_lo, exec_lo, s36
	s_mov_b32 s13, 0
	s_mov_b32 s37, exec_lo
                                        ; implicit-def: $sgpr36
	v_cmpx_lt_i16_e32 0x7f, v91
	s_xor_b32 s37, exec_lo, s37
	s_cbranch_execnz .LBB6_3172
; %bb.2064:                             ;   in Loop: Header=BB6_394 Depth=4
	s_or_saveexec_b32 s37, s37
	v_mov_b32_e32 v92, s36
	s_xor_b32 exec_lo, exec_lo, s37
	s_cbranch_execnz .LBB6_3175
.LBB6_2065:                             ;   in Loop: Header=BB6_394 Depth=4
	s_or_b32 exec_lo, exec_lo, s37
	s_and_saveexec_b32 s36, s13
	s_cbranch_execz .LBB6_2067
.LBB6_2066:                             ;   in Loop: Header=BB6_394 Depth=4
	v_and_b32_e32 v91, 0xffff, v91
	v_lshlrev_b32_e32 v104, 16, v10
	s_delay_alu instid0(VALU_DEP_2) | instskip(NEXT) | instid1(VALU_DEP_1)
	v_and_b32_e32 v92, 7, v91
	v_clz_i32_u32_e32 v94, v92
	s_delay_alu instid0(VALU_DEP_1) | instskip(NEXT) | instid1(VALU_DEP_1)
	v_min_u32_e32 v94, 32, v94
	v_subrev_nc_u32_e32 v95, 28, v94
	v_sub_nc_u32_e32 v94, 29, v94
	s_delay_alu instid0(VALU_DEP_2) | instskip(SKIP_1) | instid1(VALU_DEP_2)
	v_lshlrev_b32_e32 v95, v95, v91
	v_bfe_u32 v91, v91, 3, 4
	v_and_b32_e32 v95, 7, v95
	s_delay_alu instid0(VALU_DEP_2) | instskip(NEXT) | instid1(VALU_DEP_2)
	v_cmp_eq_u32_e32 vcc_lo, 0, v91
	v_dual_cndmask_b32 v91, v91, v94 :: v_dual_cndmask_b32 v92, v92, v95
	v_and_b32_e32 v94, 0x80000000, v104
	s_delay_alu instid0(VALU_DEP_2) | instskip(NEXT) | instid1(VALU_DEP_3)
	v_lshl_add_u32 v91, v91, 23, 0x3b800000
	v_lshlrev_b32_e32 v92, 20, v92
	s_delay_alu instid0(VALU_DEP_1)
	v_or3_b32 v92, v94, v91, v92
.LBB6_2067:                             ;   in Loop: Header=BB6_394 Depth=4
	s_or_b32 exec_lo, exec_lo, s36
	s_delay_alu instid0(VALU_DEP_1) | instskip(NEXT) | instid1(VALU_DEP_1)
	v_dual_max_f32 v91, v92, v92 :: v_dual_max_f32 v92, v93, v93
	v_min_f32_e32 v93, v92, v91
.LBB6_2068:                             ;   in Loop: Header=BB6_394 Depth=4
	s_delay_alu instid0(VALU_DEP_1) | instskip(NEXT) | instid1(VALU_DEP_1)
	v_and_b32_e32 v91, 0x7f800000, v93
	v_cmp_ne_u32_e32 vcc_lo, 0x7f800000, v91
	v_mov_b32_e32 v91, 0x80
	s_and_saveexec_b32 s36, vcc_lo
	s_cbranch_execz .LBB6_2076
; %bb.2069:                             ;   in Loop: Header=BB6_394 Depth=4
	v_mov_b32_e32 v91, 0
	s_mov_b32 s37, exec_lo
	v_cmpx_ne_u32_e32 0, v93
	s_cbranch_execz .LBB6_2075
; %bb.2070:                             ;   in Loop: Header=BB6_394 Depth=4
	v_bfe_u32 v91, v93, 23, 8
	v_and_b32_e32 v92, 0x7fffff, v93
	s_delay_alu instid0(VALU_DEP_2) | instskip(SKIP_1) | instid1(VALU_DEP_3)
	v_sub_nc_u32_e32 v94, 0x78, v91
	v_cmp_gt_u32_e32 vcc_lo, 0x79, v91
	v_or_b32_e32 v95, 0x800000, v92
	s_delay_alu instid0(VALU_DEP_3) | instskip(SKIP_2) | instid1(VALU_DEP_3)
	v_cndmask_b32_e32 v94, 0, v94, vcc_lo
	v_cmp_eq_u32_e32 vcc_lo, 0, v91
	v_add_nc_u32_e32 v91, 0xffffff89, v91
	v_cndmask_b32_e64 v94, v94, 0x77, vcc_lo
	v_cndmask_b32_e32 v92, v95, v92, vcc_lo
	s_delay_alu instid0(VALU_DEP_3) | instskip(NEXT) | instid1(VALU_DEP_3)
	v_cndmask_b32_e64 v91, v91, 0xffffff8a, vcc_lo
	v_lshl_add_u32 v95, 0x100000, v94, -1
	s_delay_alu instid0(VALU_DEP_3) | instskip(SKIP_1) | instid1(VALU_DEP_4)
	v_lshrrev_b32_e32 v104, v94, v92
	v_lshlrev_b32_e64 v106, v94, 0x80000
	v_add_nc_u32_e32 v94, v94, v91
	s_delay_alu instid0(VALU_DEP_4) | instskip(NEXT) | instid1(VALU_DEP_4)
	v_and_b32_e32 v92, v95, v92
	v_bfe_u32 v105, v104, 20, 1
	s_delay_alu instid0(VALU_DEP_2) | instskip(NEXT) | instid1(VALU_DEP_2)
	v_cmp_eq_u32_e64 s13, v92, v106
	v_add_nc_u32_e32 v95, -1, v105
	s_delay_alu instid0(VALU_DEP_1) | instskip(SKIP_2) | instid1(VALU_DEP_2)
	v_cndmask_b32_e64 v92, 0, v95, s13
	v_lshrrev_b32_e32 v95, 23, v104
	s_mov_b32 s13, exec_lo
	v_add_nc_u32_e32 v92, v92, v104
	s_delay_alu instid0(VALU_DEP_2) | instskip(NEXT) | instid1(VALU_DEP_2)
	v_xor_b32_e32 v95, 1, v95
	v_and_b32_e32 v91, 0xfffff, v92
	s_delay_alu instid0(VALU_DEP_1) | instskip(NEXT) | instid1(VALU_DEP_3)
	v_add_nc_u32_e32 v92, v91, v104
                                        ; implicit-def: $vgpr91
	v_cmpx_ne_u32_e64 v94, v95
	s_xor_b32 s13, exec_lo, s13
; %bb.2071:                             ;   in Loop: Header=BB6_394 Depth=4
	s_delay_alu instid0(VALU_DEP_2) | instskip(SKIP_2) | instid1(VALU_DEP_2)
	v_cmp_lt_u32_e32 vcc_lo, 0xffffff, v92
	v_sub_nc_u32_e32 v91, v94, v95
	v_cndmask_b32_e64 v94, 0, 1, vcc_lo
	v_add_co_ci_u32_e32 v91, vcc_lo, 0, v91, vcc_lo
	s_delay_alu instid0(VALU_DEP_2)
	v_lshrrev_b32_e32 v92, v94, v92
; %bb.2072:                             ;   in Loop: Header=BB6_394 Depth=4
	s_and_not1_saveexec_b32 s13, s13
; %bb.2073:                             ;   in Loop: Header=BB6_394 Depth=4
	s_delay_alu instid0(VALU_DEP_1)
	v_bfe_u32 v91, v92, 23, 1
; %bb.2074:                             ;   in Loop: Header=BB6_394 Depth=4
	s_or_b32 exec_lo, exec_lo, s13
	v_lshrrev_b32_e32 v92, 20, v92
	s_delay_alu instid0(VALU_DEP_2) | instskip(SKIP_2) | instid1(VALU_DEP_2)
	v_cmp_gt_i32_e32 vcc_lo, 16, v91
	v_lshrrev_b32_e32 v93, 24, v93
	v_min_i32_e32 v94, 15, v91
	v_dual_cndmask_b32 v92, 7, v92 :: v_dual_and_b32 v93, 0x80, v93
	s_delay_alu instid0(VALU_DEP_1) | instskip(SKIP_1) | instid1(VALU_DEP_2)
	v_or_b32_e32 v91, v91, v92
	v_and_b32_e32 v95, 7, v92
	v_cmp_ne_u32_e32 vcc_lo, 0, v91
	v_lshlrev_b32_e32 v94, 3, v94
	s_delay_alu instid0(VALU_DEP_1) | instskip(NEXT) | instid1(VALU_DEP_1)
	v_or3_b32 v92, v94, v93, v95
	v_cndmask_b32_e32 v91, 0, v92, vcc_lo
.LBB6_2075:                             ;   in Loop: Header=BB6_394 Depth=4
	s_or_b32 exec_lo, exec_lo, s37
.LBB6_2076:                             ;   in Loop: Header=BB6_394 Depth=4
	s_delay_alu instid0(SALU_CYCLE_1) | instskip(SKIP_3) | instid1(VALU_DEP_2)
	s_or_b32 exec_lo, exec_lo, s36
	v_lshrrev_b32_e32 v93, 16, v14
	v_lshrrev_b32_e32 v92, 16, v10
	s_and_not1_b32 vcc_lo, exec_lo, s35
	v_and_b32_e32 v94, 0xff, v93
	s_delay_alu instid0(VALU_DEP_1)
	v_cmp_lt_i16_e64 s13, 0x7f, v94
	s_cbranch_vccnz .LBB6_2086
; %bb.2077:                             ;   in Loop: Header=BB6_394 Depth=4
	s_mov_b32 s36, 0
                                        ; implicit-def: $sgpr37
	s_delay_alu instid0(VALU_DEP_1) | instskip(NEXT) | instid1(SALU_CYCLE_1)
	s_and_saveexec_b32 vcc_lo, s13
	s_xor_b32 s13, exec_lo, vcc_lo
	s_cbranch_execnz .LBB6_3176
; %bb.2078:                             ;   in Loop: Header=BB6_394 Depth=4
	s_or_saveexec_b32 s13, s13
	v_mov_b32_e32 v95, s37
	s_xor_b32 exec_lo, exec_lo, s13
	s_cbranch_execnz .LBB6_3179
.LBB6_2079:                             ;   in Loop: Header=BB6_394 Depth=4
	s_or_b32 exec_lo, exec_lo, s13
	s_and_saveexec_b32 s13, s36
	s_cbranch_execz .LBB6_2081
.LBB6_2080:                             ;   in Loop: Header=BB6_394 Depth=4
	v_bfe_u32 v95, v14, 16, 3
	v_bfe_u32 v106, v14, 19, 4
	v_lshlrev_b32_e32 v107, 24, v93
	s_delay_alu instid0(VALU_DEP_3) | instskip(NEXT) | instid1(VALU_DEP_3)
	v_clz_i32_u32_e32 v104, v95
	v_cmp_eq_u32_e32 vcc_lo, 0, v106
	s_delay_alu instid0(VALU_DEP_2) | instskip(NEXT) | instid1(VALU_DEP_1)
	v_min_u32_e32 v104, 32, v104
	v_subrev_nc_u32_e32 v105, 28, v104
	v_sub_nc_u32_e32 v104, 29, v104
	s_delay_alu instid0(VALU_DEP_1) | instskip(NEXT) | instid1(VALU_DEP_1)
	v_dual_cndmask_b32 v104, v106, v104 :: v_dual_lshlrev_b32 v105, v105, v93
	v_and_b32_e32 v105, 7, v105
	s_delay_alu instid0(VALU_DEP_2) | instskip(NEXT) | instid1(VALU_DEP_2)
	v_lshl_add_u32 v104, v104, 23, 0x3b800000
	v_cndmask_b32_e32 v95, v95, v105, vcc_lo
	v_and_b32_e32 v105, 0x80000000, v107
	s_delay_alu instid0(VALU_DEP_2) | instskip(NEXT) | instid1(VALU_DEP_1)
	v_lshlrev_b32_e32 v95, 20, v95
	v_or3_b32 v95, v105, v104, v95
.LBB6_2081:                             ;   in Loop: Header=BB6_394 Depth=4
	s_or_b32 exec_lo, exec_lo, s13
	v_and_b32_e32 v105, 0xff, v92
	s_mov_b32 s13, 0
	s_mov_b32 s37, exec_lo
                                        ; implicit-def: $sgpr36
	s_delay_alu instid0(VALU_DEP_1)
	v_cmpx_lt_i16_e32 0x7f, v105
	s_xor_b32 s37, exec_lo, s37
	s_cbranch_execnz .LBB6_3180
; %bb.2082:                             ;   in Loop: Header=BB6_394 Depth=4
	s_or_saveexec_b32 s37, s37
	v_mov_b32_e32 v104, s36
	s_xor_b32 exec_lo, exec_lo, s37
	s_cbranch_execnz .LBB6_3183
.LBB6_2083:                             ;   in Loop: Header=BB6_394 Depth=4
	s_or_b32 exec_lo, exec_lo, s37
	s_and_saveexec_b32 s36, s13
	s_cbranch_execz .LBB6_2085
.LBB6_2084:                             ;   in Loop: Header=BB6_394 Depth=4
	v_bfe_u32 v104, v10, 16, 3
	v_bfe_u32 v107, v10, 19, 4
	v_lshlrev_b32_e32 v108, 24, v92
	s_delay_alu instid0(VALU_DEP_3) | instskip(NEXT) | instid1(VALU_DEP_3)
	v_clz_i32_u32_e32 v105, v104
	v_cmp_eq_u32_e32 vcc_lo, 0, v107
	s_delay_alu instid0(VALU_DEP_2) | instskip(NEXT) | instid1(VALU_DEP_1)
	v_min_u32_e32 v105, 32, v105
	v_subrev_nc_u32_e32 v106, 28, v105
	v_sub_nc_u32_e32 v105, 29, v105
	s_delay_alu instid0(VALU_DEP_1) | instskip(NEXT) | instid1(VALU_DEP_1)
	v_dual_cndmask_b32 v105, v107, v105 :: v_dual_lshlrev_b32 v106, v106, v92
	v_and_b32_e32 v106, 7, v106
	s_delay_alu instid0(VALU_DEP_2) | instskip(NEXT) | instid1(VALU_DEP_2)
	v_lshl_add_u32 v105, v105, 23, 0x3b800000
	v_cndmask_b32_e32 v104, v104, v106, vcc_lo
	v_and_b32_e32 v106, 0x80000000, v108
	s_delay_alu instid0(VALU_DEP_2) | instskip(NEXT) | instid1(VALU_DEP_1)
	v_lshlrev_b32_e32 v104, 20, v104
	v_or3_b32 v104, v106, v105, v104
.LBB6_2085:                             ;   in Loop: Header=BB6_394 Depth=4
	s_or_b32 exec_lo, exec_lo, s36
	s_delay_alu instid0(VALU_DEP_1) | instskip(SKIP_1) | instid1(VALU_DEP_1)
	v_dual_max_f32 v104, v104, v104 :: v_dual_max_f32 v95, v95, v95
	s_mov_b32 s13, 0
	v_max_f32_e32 v95, v95, v104
	s_branch .LBB6_2087
.LBB6_2086:                             ;   in Loop: Header=BB6_394 Depth=4
	s_mov_b32 s13, -1
                                        ; implicit-def: $vgpr95
.LBB6_2087:                             ;   in Loop: Header=BB6_394 Depth=4
	s_delay_alu instid0(SALU_CYCLE_1)
	s_and_b32 vcc_lo, exec_lo, s13
	s_cbranch_vccz .LBB6_2097
; %bb.2088:                             ;   in Loop: Header=BB6_394 Depth=4
	s_mov_b32 s13, 0
	s_mov_b32 s37, exec_lo
                                        ; implicit-def: $sgpr36
	v_cmpx_lt_i16_e32 0x7f, v94
	s_xor_b32 s37, exec_lo, s37
	s_cbranch_execnz .LBB6_3184
; %bb.2089:                             ;   in Loop: Header=BB6_394 Depth=4
	s_or_saveexec_b32 s37, s37
	v_mov_b32_e32 v95, s36
	s_xor_b32 exec_lo, exec_lo, s37
	s_cbranch_execnz .LBB6_3187
.LBB6_2090:                             ;   in Loop: Header=BB6_394 Depth=4
	s_or_b32 exec_lo, exec_lo, s37
	s_and_saveexec_b32 s36, s13
	s_cbranch_execz .LBB6_2092
.LBB6_2091:                             ;   in Loop: Header=BB6_394 Depth=4
	v_bfe_u32 v94, v14, 16, 3
	v_bfe_u32 v105, v14, 19, 4
	s_delay_alu instid0(VALU_DEP_2) | instskip(NEXT) | instid1(VALU_DEP_2)
	v_clz_i32_u32_e32 v95, v94
	v_cmp_eq_u32_e32 vcc_lo, 0, v105
	s_delay_alu instid0(VALU_DEP_2) | instskip(NEXT) | instid1(VALU_DEP_1)
	v_min_u32_e32 v95, 32, v95
	v_subrev_nc_u32_e32 v104, 28, v95
	v_sub_nc_u32_e32 v95, 29, v95
	s_delay_alu instid0(VALU_DEP_1) | instskip(NEXT) | instid1(VALU_DEP_1)
	v_dual_cndmask_b32 v95, v105, v95 :: v_dual_lshlrev_b32 v104, v104, v93
	v_and_b32_e32 v104, 7, v104
	v_lshlrev_b32_e32 v93, 24, v93
	s_delay_alu instid0(VALU_DEP_3) | instskip(NEXT) | instid1(VALU_DEP_2)
	v_lshl_add_u32 v95, v95, 23, 0x3b800000
	v_dual_cndmask_b32 v94, v94, v104 :: v_dual_and_b32 v93, 0x80000000, v93
	s_delay_alu instid0(VALU_DEP_1) | instskip(NEXT) | instid1(VALU_DEP_1)
	v_lshlrev_b32_e32 v94, 20, v94
	v_or3_b32 v95, v93, v95, v94
.LBB6_2092:                             ;   in Loop: Header=BB6_394 Depth=4
	s_or_b32 exec_lo, exec_lo, s36
	v_and_b32_e32 v94, 0xff, v92
	s_mov_b32 s13, 0
	s_mov_b32 s37, exec_lo
                                        ; implicit-def: $sgpr36
	s_delay_alu instid0(VALU_DEP_1)
	v_cmpx_lt_i16_e32 0x7f, v94
	s_xor_b32 s37, exec_lo, s37
	s_cbranch_execnz .LBB6_3188
; %bb.2093:                             ;   in Loop: Header=BB6_394 Depth=4
	s_or_saveexec_b32 s37, s37
	v_mov_b32_e32 v93, s36
	s_xor_b32 exec_lo, exec_lo, s37
	s_cbranch_execnz .LBB6_3191
.LBB6_2094:                             ;   in Loop: Header=BB6_394 Depth=4
	s_or_b32 exec_lo, exec_lo, s37
	s_and_saveexec_b32 s36, s13
	s_cbranch_execz .LBB6_2096
.LBB6_2095:                             ;   in Loop: Header=BB6_394 Depth=4
	v_bfe_u32 v93, v10, 16, 3
	v_bfe_u32 v105, v10, 19, 4
	s_delay_alu instid0(VALU_DEP_2) | instskip(NEXT) | instid1(VALU_DEP_2)
	v_clz_i32_u32_e32 v94, v93
	v_cmp_eq_u32_e32 vcc_lo, 0, v105
	s_delay_alu instid0(VALU_DEP_2) | instskip(NEXT) | instid1(VALU_DEP_1)
	v_min_u32_e32 v94, 32, v94
	v_subrev_nc_u32_e32 v104, 28, v94
	v_sub_nc_u32_e32 v94, 29, v94
	s_delay_alu instid0(VALU_DEP_2) | instskip(SKIP_1) | instid1(VALU_DEP_2)
	v_lshlrev_b32_e32 v104, v104, v92
	v_lshlrev_b32_e32 v92, 24, v92
	v_and_b32_e32 v104, 7, v104
	s_delay_alu instid0(VALU_DEP_2) | instskip(NEXT) | instid1(VALU_DEP_2)
	v_and_b32_e32 v92, 0x80000000, v92
	v_cndmask_b32_e32 v93, v93, v104, vcc_lo
	s_delay_alu instid0(VALU_DEP_1) | instskip(NEXT) | instid1(VALU_DEP_1)
	v_dual_cndmask_b32 v94, v105, v94 :: v_dual_lshlrev_b32 v93, 20, v93
	v_lshl_add_u32 v94, v94, 23, 0x3b800000
	s_delay_alu instid0(VALU_DEP_1)
	v_or3_b32 v93, v92, v94, v93
.LBB6_2096:                             ;   in Loop: Header=BB6_394 Depth=4
	s_or_b32 exec_lo, exec_lo, s36
	s_delay_alu instid0(VALU_DEP_1) | instskip(NEXT) | instid1(VALU_DEP_1)
	v_dual_max_f32 v92, v93, v93 :: v_dual_max_f32 v93, v95, v95
	v_min_f32_e32 v95, v93, v92
.LBB6_2097:                             ;   in Loop: Header=BB6_394 Depth=4
	s_delay_alu instid0(VALU_DEP_1) | instskip(NEXT) | instid1(VALU_DEP_1)
	v_and_b32_e32 v92, 0x7f800000, v95
	v_cmp_ne_u32_e32 vcc_lo, 0x7f800000, v92
	v_mov_b32_e32 v92, 0x80
	s_and_saveexec_b32 s36, vcc_lo
	s_cbranch_execz .LBB6_2105
; %bb.2098:                             ;   in Loop: Header=BB6_394 Depth=4
	v_mov_b32_e32 v92, 0
	s_mov_b32 s37, exec_lo
	v_cmpx_ne_u32_e32 0, v95
	s_cbranch_execz .LBB6_2104
; %bb.2099:                             ;   in Loop: Header=BB6_394 Depth=4
	v_bfe_u32 v92, v95, 23, 8
	s_delay_alu instid0(VALU_DEP_1) | instskip(SKIP_1) | instid1(VALU_DEP_2)
	v_sub_nc_u32_e32 v94, 0x78, v92
	v_cmp_gt_u32_e32 vcc_lo, 0x79, v92
	v_dual_cndmask_b32 v94, 0, v94 :: v_dual_and_b32 v93, 0x7fffff, v95
	s_delay_alu instid0(VALU_DEP_1) | instskip(SKIP_2) | instid1(VALU_DEP_4)
	v_or_b32_e32 v104, 0x800000, v93
	v_cmp_eq_u32_e32 vcc_lo, 0, v92
	v_add_nc_u32_e32 v92, 0xffffff89, v92
	v_cndmask_b32_e64 v94, v94, 0x77, vcc_lo
	s_delay_alu instid0(VALU_DEP_4) | instskip(NEXT) | instid1(VALU_DEP_3)
	v_cndmask_b32_e32 v93, v104, v93, vcc_lo
	v_cndmask_b32_e64 v92, v92, 0xffffff8a, vcc_lo
	s_delay_alu instid0(VALU_DEP_3) | instskip(NEXT) | instid1(VALU_DEP_3)
	v_lshl_add_u32 v104, 0x100000, v94, -1
	v_lshrrev_b32_e32 v105, v94, v93
	v_lshlrev_b32_e64 v107, v94, 0x80000
	s_delay_alu instid0(VALU_DEP_4) | instskip(NEXT) | instid1(VALU_DEP_4)
	v_add_nc_u32_e32 v94, v94, v92
	v_and_b32_e32 v93, v104, v93
	s_delay_alu instid0(VALU_DEP_4) | instskip(NEXT) | instid1(VALU_DEP_2)
	v_bfe_u32 v106, v105, 20, 1
	v_cmp_eq_u32_e64 s13, v93, v107
	s_delay_alu instid0(VALU_DEP_2) | instskip(NEXT) | instid1(VALU_DEP_1)
	v_add_nc_u32_e32 v104, -1, v106
	v_cndmask_b32_e64 v93, 0, v104, s13
	v_lshrrev_b32_e32 v104, 23, v105
	s_mov_b32 s13, exec_lo
	s_delay_alu instid0(VALU_DEP_2) | instskip(NEXT) | instid1(VALU_DEP_2)
	v_add_nc_u32_e32 v93, v93, v105
	v_xor_b32_e32 v104, 1, v104
	s_delay_alu instid0(VALU_DEP_2) | instskip(NEXT) | instid1(VALU_DEP_1)
	v_and_b32_e32 v92, 0xfffff, v93
	v_add_nc_u32_e32 v93, v92, v105
                                        ; implicit-def: $vgpr92
	s_delay_alu instid0(VALU_DEP_3)
	v_cmpx_ne_u32_e64 v94, v104
	s_xor_b32 s13, exec_lo, s13
; %bb.2100:                             ;   in Loop: Header=BB6_394 Depth=4
	s_delay_alu instid0(VALU_DEP_2) | instskip(SKIP_2) | instid1(VALU_DEP_2)
	v_cmp_lt_u32_e32 vcc_lo, 0xffffff, v93
	v_sub_nc_u32_e32 v92, v94, v104
	v_cndmask_b32_e64 v94, 0, 1, vcc_lo
	v_add_co_ci_u32_e32 v92, vcc_lo, 0, v92, vcc_lo
	s_delay_alu instid0(VALU_DEP_2)
	v_lshrrev_b32_e32 v93, v94, v93
; %bb.2101:                             ;   in Loop: Header=BB6_394 Depth=4
	s_and_not1_saveexec_b32 s13, s13
; %bb.2102:                             ;   in Loop: Header=BB6_394 Depth=4
	s_delay_alu instid0(VALU_DEP_1)
	v_bfe_u32 v92, v93, 23, 1
; %bb.2103:                             ;   in Loop: Header=BB6_394 Depth=4
	s_or_b32 exec_lo, exec_lo, s13
	v_lshrrev_b32_e32 v93, 20, v93
	s_delay_alu instid0(VALU_DEP_2) | instskip(SKIP_2) | instid1(VALU_DEP_2)
	v_cmp_gt_i32_e32 vcc_lo, 16, v92
	v_lshrrev_b32_e32 v94, 24, v95
	v_min_i32_e32 v95, 15, v92
	v_dual_cndmask_b32 v93, 7, v93 :: v_dual_and_b32 v94, 0x80, v94
	s_delay_alu instid0(VALU_DEP_1) | instskip(SKIP_1) | instid1(VALU_DEP_2)
	v_or_b32_e32 v92, v92, v93
	v_and_b32_e32 v104, 7, v93
	v_cmp_ne_u32_e32 vcc_lo, 0, v92
	v_lshlrev_b32_e32 v95, 3, v95
	s_delay_alu instid0(VALU_DEP_1) | instskip(NEXT) | instid1(VALU_DEP_1)
	v_or3_b32 v93, v95, v94, v104
	v_cndmask_b32_e32 v92, 0, v93, vcc_lo
.LBB6_2104:                             ;   in Loop: Header=BB6_394 Depth=4
	s_or_b32 exec_lo, exec_lo, s37
.LBB6_2105:                             ;   in Loop: Header=BB6_394 Depth=4
	s_delay_alu instid0(SALU_CYCLE_1) | instskip(SKIP_3) | instid1(VALU_DEP_2)
	s_or_b32 exec_lo, exec_lo, s36
	v_lshrrev_b32_e32 v94, 24, v14
	v_lshrrev_b32_e32 v93, 24, v10
	s_and_not1_b32 vcc_lo, exec_lo, s35
	v_cmp_lt_i16_e64 s13, 0x7f, v94
	s_cbranch_vccnz .LBB6_2115
; %bb.2106:                             ;   in Loop: Header=BB6_394 Depth=4
	s_mov_b32 s36, 0
                                        ; implicit-def: $sgpr37
	s_delay_alu instid0(VALU_DEP_1) | instskip(NEXT) | instid1(SALU_CYCLE_1)
	s_and_saveexec_b32 vcc_lo, s13
	s_xor_b32 s13, exec_lo, vcc_lo
	s_cbranch_execnz .LBB6_3192
; %bb.2107:                             ;   in Loop: Header=BB6_394 Depth=4
	s_or_saveexec_b32 s13, s13
	v_mov_b32_e32 v95, s37
	s_xor_b32 exec_lo, exec_lo, s13
	s_cbranch_execnz .LBB6_3195
.LBB6_2108:                             ;   in Loop: Header=BB6_394 Depth=4
	s_or_b32 exec_lo, exec_lo, s13
	s_and_saveexec_b32 s13, s36
	s_cbranch_execz .LBB6_2110
.LBB6_2109:                             ;   in Loop: Header=BB6_394 Depth=4
	v_bfe_u32 v95, v14, 24, 3
	v_bfe_u32 v106, v14, 27, 4
	s_delay_alu instid0(VALU_DEP_2) | instskip(NEXT) | instid1(VALU_DEP_2)
	v_clz_i32_u32_e32 v104, v95
	v_cmp_eq_u32_e32 vcc_lo, 0, v106
	s_delay_alu instid0(VALU_DEP_2) | instskip(NEXT) | instid1(VALU_DEP_1)
	v_min_u32_e32 v104, 32, v104
	v_subrev_nc_u32_e32 v105, 28, v104
	v_sub_nc_u32_e32 v104, 29, v104
	s_delay_alu instid0(VALU_DEP_1) | instskip(NEXT) | instid1(VALU_DEP_1)
	v_dual_cndmask_b32 v104, v106, v104 :: v_dual_lshlrev_b32 v105, v105, v94
	v_and_b32_e32 v105, 7, v105
	s_delay_alu instid0(VALU_DEP_2) | instskip(NEXT) | instid1(VALU_DEP_2)
	v_lshl_add_u32 v104, v104, 23, 0x3b800000
	v_cndmask_b32_e32 v95, v95, v105, vcc_lo
	v_and_b32_e32 v105, 0x80000000, v14
	s_delay_alu instid0(VALU_DEP_2) | instskip(NEXT) | instid1(VALU_DEP_1)
	v_lshlrev_b32_e32 v95, 20, v95
	v_or3_b32 v95, v105, v104, v95
.LBB6_2110:                             ;   in Loop: Header=BB6_394 Depth=4
	s_or_b32 exec_lo, exec_lo, s13
	s_mov_b32 s13, 0
	s_mov_b32 s37, exec_lo
                                        ; implicit-def: $sgpr36
	v_cmpx_lt_i16_e32 0x7f, v93
	s_xor_b32 s37, exec_lo, s37
	s_cbranch_execnz .LBB6_3196
; %bb.2111:                             ;   in Loop: Header=BB6_394 Depth=4
	s_or_saveexec_b32 s37, s37
	v_mov_b32_e32 v104, s36
	s_xor_b32 exec_lo, exec_lo, s37
	s_cbranch_execnz .LBB6_3199
.LBB6_2112:                             ;   in Loop: Header=BB6_394 Depth=4
	s_or_b32 exec_lo, exec_lo, s37
	s_and_saveexec_b32 s36, s13
	s_cbranch_execz .LBB6_2114
.LBB6_2113:                             ;   in Loop: Header=BB6_394 Depth=4
	v_bfe_u32 v104, v10, 24, 3
	v_bfe_u32 v107, v10, 27, 4
	s_delay_alu instid0(VALU_DEP_2) | instskip(NEXT) | instid1(VALU_DEP_2)
	v_clz_i32_u32_e32 v105, v104
	v_cmp_eq_u32_e32 vcc_lo, 0, v107
	s_delay_alu instid0(VALU_DEP_2) | instskip(NEXT) | instid1(VALU_DEP_1)
	v_min_u32_e32 v105, 32, v105
	v_subrev_nc_u32_e32 v106, 28, v105
	v_sub_nc_u32_e32 v105, 29, v105
	s_delay_alu instid0(VALU_DEP_2) | instskip(NEXT) | instid1(VALU_DEP_1)
	v_lshlrev_b32_e32 v106, v106, v93
	v_dual_cndmask_b32 v105, v107, v105 :: v_dual_and_b32 v106, 7, v106
	s_delay_alu instid0(VALU_DEP_1) | instskip(NEXT) | instid1(VALU_DEP_2)
	v_lshl_add_u32 v105, v105, 23, 0x3b800000
	v_cndmask_b32_e32 v104, v104, v106, vcc_lo
	v_and_b32_e32 v106, 0x80000000, v10
	s_delay_alu instid0(VALU_DEP_2) | instskip(NEXT) | instid1(VALU_DEP_1)
	v_lshlrev_b32_e32 v104, 20, v104
	v_or3_b32 v104, v106, v105, v104
.LBB6_2114:                             ;   in Loop: Header=BB6_394 Depth=4
	s_or_b32 exec_lo, exec_lo, s36
	s_delay_alu instid0(VALU_DEP_1) | instskip(SKIP_1) | instid1(VALU_DEP_1)
	v_dual_max_f32 v104, v104, v104 :: v_dual_max_f32 v95, v95, v95
	s_mov_b32 s13, 0
	v_max_f32_e32 v95, v95, v104
	s_branch .LBB6_2116
.LBB6_2115:                             ;   in Loop: Header=BB6_394 Depth=4
	s_mov_b32 s13, -1
                                        ; implicit-def: $vgpr95
.LBB6_2116:                             ;   in Loop: Header=BB6_394 Depth=4
	s_delay_alu instid0(SALU_CYCLE_1)
	s_and_b32 vcc_lo, exec_lo, s13
	s_cbranch_vccz .LBB6_2126
; %bb.2117:                             ;   in Loop: Header=BB6_394 Depth=4
	s_mov_b32 s13, 0
	s_mov_b32 s37, exec_lo
                                        ; implicit-def: $sgpr36
	v_cmpx_lt_i16_e32 0x7f, v94
	s_xor_b32 s37, exec_lo, s37
	s_cbranch_execnz .LBB6_3200
; %bb.2118:                             ;   in Loop: Header=BB6_394 Depth=4
	s_or_saveexec_b32 s37, s37
	v_mov_b32_e32 v95, s36
	s_xor_b32 exec_lo, exec_lo, s37
	s_cbranch_execnz .LBB6_3203
.LBB6_2119:                             ;   in Loop: Header=BB6_394 Depth=4
	s_or_b32 exec_lo, exec_lo, s37
	s_and_saveexec_b32 s36, s13
	s_cbranch_execz .LBB6_2121
.LBB6_2120:                             ;   in Loop: Header=BB6_394 Depth=4
	v_bfe_u32 v95, v14, 24, 3
	s_delay_alu instid0(VALU_DEP_1) | instskip(NEXT) | instid1(VALU_DEP_1)
	v_clz_i32_u32_e32 v104, v95
	v_min_u32_e32 v104, 32, v104
	s_delay_alu instid0(VALU_DEP_1) | instskip(SKIP_1) | instid1(VALU_DEP_2)
	v_subrev_nc_u32_e32 v105, 28, v104
	v_sub_nc_u32_e32 v104, 29, v104
	v_lshlrev_b32_e32 v94, v105, v94
	v_bfe_u32 v105, v14, 27, 4
	v_and_b32_e32 v14, 0x80000000, v14
	s_delay_alu instid0(VALU_DEP_3) | instskip(NEXT) | instid1(VALU_DEP_3)
	v_and_b32_e32 v94, 7, v94
	v_cmp_eq_u32_e32 vcc_lo, 0, v105
	v_cndmask_b32_e32 v104, v105, v104, vcc_lo
	s_delay_alu instid0(VALU_DEP_3) | instskip(NEXT) | instid1(VALU_DEP_2)
	v_cndmask_b32_e32 v94, v95, v94, vcc_lo
	v_lshl_add_u32 v95, v104, 23, 0x3b800000
	s_delay_alu instid0(VALU_DEP_2) | instskip(NEXT) | instid1(VALU_DEP_1)
	v_lshlrev_b32_e32 v94, 20, v94
	v_or3_b32 v95, v14, v95, v94
.LBB6_2121:                             ;   in Loop: Header=BB6_394 Depth=4
	s_or_b32 exec_lo, exec_lo, s36
	s_mov_b32 s13, 0
	s_mov_b32 s37, exec_lo
                                        ; implicit-def: $sgpr36
	v_cmpx_lt_i16_e32 0x7f, v93
	s_xor_b32 s37, exec_lo, s37
	s_cbranch_execnz .LBB6_3204
; %bb.2122:                             ;   in Loop: Header=BB6_394 Depth=4
	s_or_saveexec_b32 s37, s37
	v_mov_b32_e32 v14, s36
	s_xor_b32 exec_lo, exec_lo, s37
	s_cbranch_execnz .LBB6_3207
.LBB6_2123:                             ;   in Loop: Header=BB6_394 Depth=4
	s_or_b32 exec_lo, exec_lo, s37
	s_and_saveexec_b32 s36, s13
	s_cbranch_execz .LBB6_2125
.LBB6_2124:                             ;   in Loop: Header=BB6_394 Depth=4
	v_bfe_u32 v14, v10, 24, 3
	s_delay_alu instid0(VALU_DEP_1) | instskip(NEXT) | instid1(VALU_DEP_1)
	v_clz_i32_u32_e32 v94, v14
	v_min_u32_e32 v94, 32, v94
	s_delay_alu instid0(VALU_DEP_1) | instskip(SKIP_1) | instid1(VALU_DEP_2)
	v_subrev_nc_u32_e32 v104, 28, v94
	v_sub_nc_u32_e32 v94, 29, v94
	v_lshlrev_b32_e32 v93, v104, v93
	v_bfe_u32 v104, v10, 27, 4
	v_and_b32_e32 v10, 0x80000000, v10
	s_delay_alu instid0(VALU_DEP_2) | instskip(NEXT) | instid1(VALU_DEP_4)
	v_cmp_eq_u32_e32 vcc_lo, 0, v104
	v_dual_cndmask_b32 v94, v104, v94 :: v_dual_and_b32 v93, 7, v93
	s_delay_alu instid0(VALU_DEP_1) | instskip(NEXT) | instid1(VALU_DEP_2)
	v_cndmask_b32_e32 v14, v14, v93, vcc_lo
	v_lshl_add_u32 v93, v94, 23, 0x3b800000
	s_delay_alu instid0(VALU_DEP_2) | instskip(NEXT) | instid1(VALU_DEP_1)
	v_lshlrev_b32_e32 v14, 20, v14
	v_or3_b32 v14, v10, v93, v14
.LBB6_2125:                             ;   in Loop: Header=BB6_394 Depth=4
	s_or_b32 exec_lo, exec_lo, s36
	s_delay_alu instid0(VALU_DEP_1) | instskip(SKIP_1) | instid1(VALU_DEP_1)
	v_max_f32_e32 v10, v14, v14
	v_max_f32_e32 v14, v95, v95
	v_min_f32_e32 v95, v14, v10
.LBB6_2126:                             ;   in Loop: Header=BB6_394 Depth=4
	s_delay_alu instid0(VALU_DEP_1) | instskip(NEXT) | instid1(VALU_DEP_1)
	v_and_b32_e32 v10, 0x7f800000, v95
	v_cmp_ne_u32_e32 vcc_lo, 0x7f800000, v10
	v_mov_b32_e32 v10, 0x80
	s_and_saveexec_b32 s36, vcc_lo
	s_cbranch_execz .LBB6_2134
; %bb.2127:                             ;   in Loop: Header=BB6_394 Depth=4
	v_mov_b32_e32 v10, 0
	s_mov_b32 s37, exec_lo
	v_cmpx_ne_u32_e32 0, v95
	s_cbranch_execz .LBB6_2133
; %bb.2128:                             ;   in Loop: Header=BB6_394 Depth=4
	v_bfe_u32 v10, v95, 23, 8
	s_delay_alu instid0(VALU_DEP_1) | instskip(SKIP_1) | instid1(VALU_DEP_2)
	v_sub_nc_u32_e32 v93, 0x78, v10
	v_cmp_gt_u32_e32 vcc_lo, 0x79, v10
	v_dual_cndmask_b32 v93, 0, v93 :: v_dual_and_b32 v14, 0x7fffff, v95
	s_delay_alu instid0(VALU_DEP_1) | instskip(SKIP_2) | instid1(VALU_DEP_4)
	v_or_b32_e32 v94, 0x800000, v14
	v_cmp_eq_u32_e32 vcc_lo, 0, v10
	v_add_nc_u32_e32 v10, 0xffffff89, v10
	v_cndmask_b32_e64 v93, v93, 0x77, vcc_lo
	s_delay_alu instid0(VALU_DEP_4) | instskip(NEXT) | instid1(VALU_DEP_3)
	v_cndmask_b32_e32 v14, v94, v14, vcc_lo
	v_cndmask_b32_e64 v10, v10, 0xffffff8a, vcc_lo
	s_delay_alu instid0(VALU_DEP_3) | instskip(NEXT) | instid1(VALU_DEP_3)
	v_lshl_add_u32 v94, 0x100000, v93, -1
	v_lshrrev_b32_e32 v104, v93, v14
	v_lshlrev_b32_e64 v106, v93, 0x80000
	s_delay_alu instid0(VALU_DEP_4) | instskip(NEXT) | instid1(VALU_DEP_4)
	v_add_nc_u32_e32 v93, v93, v10
	v_and_b32_e32 v14, v94, v14
	s_delay_alu instid0(VALU_DEP_4) | instskip(NEXT) | instid1(VALU_DEP_2)
	v_bfe_u32 v105, v104, 20, 1
	v_cmp_eq_u32_e64 s13, v14, v106
	s_delay_alu instid0(VALU_DEP_2) | instskip(NEXT) | instid1(VALU_DEP_1)
	v_add_nc_u32_e32 v94, -1, v105
	v_cndmask_b32_e64 v14, 0, v94, s13
	v_lshrrev_b32_e32 v94, 23, v104
	s_mov_b32 s13, exec_lo
	s_delay_alu instid0(VALU_DEP_2) | instskip(NEXT) | instid1(VALU_DEP_2)
	v_add_nc_u32_e32 v14, v14, v104
	v_xor_b32_e32 v94, 1, v94
	s_delay_alu instid0(VALU_DEP_2) | instskip(NEXT) | instid1(VALU_DEP_1)
	v_and_b32_e32 v10, 0xfffff, v14
	v_add_nc_u32_e32 v14, v10, v104
                                        ; implicit-def: $vgpr10
	s_delay_alu instid0(VALU_DEP_3)
	v_cmpx_ne_u32_e64 v93, v94
	s_xor_b32 s13, exec_lo, s13
; %bb.2129:                             ;   in Loop: Header=BB6_394 Depth=4
	s_delay_alu instid0(VALU_DEP_2) | instskip(SKIP_2) | instid1(VALU_DEP_2)
	v_cmp_lt_u32_e32 vcc_lo, 0xffffff, v14
	v_sub_nc_u32_e32 v10, v93, v94
	v_cndmask_b32_e64 v93, 0, 1, vcc_lo
	v_add_co_ci_u32_e32 v10, vcc_lo, 0, v10, vcc_lo
	s_delay_alu instid0(VALU_DEP_2)
	v_lshrrev_b32_e32 v14, v93, v14
; %bb.2130:                             ;   in Loop: Header=BB6_394 Depth=4
	s_and_not1_saveexec_b32 s13, s13
; %bb.2131:                             ;   in Loop: Header=BB6_394 Depth=4
	s_delay_alu instid0(VALU_DEP_1)
	v_bfe_u32 v10, v14, 23, 1
; %bb.2132:                             ;   in Loop: Header=BB6_394 Depth=4
	s_or_b32 exec_lo, exec_lo, s13
	v_lshrrev_b32_e32 v14, 20, v14
	s_delay_alu instid0(VALU_DEP_2) | instskip(SKIP_2) | instid1(VALU_DEP_2)
	v_cmp_gt_i32_e32 vcc_lo, 16, v10
	v_lshrrev_b32_e32 v93, 24, v95
	v_min_i32_e32 v94, 15, v10
	v_dual_cndmask_b32 v14, 7, v14 :: v_dual_and_b32 v93, 0x80, v93
	s_delay_alu instid0(VALU_DEP_2) | instskip(NEXT) | instid1(VALU_DEP_2)
	v_lshlrev_b32_e32 v94, 3, v94
	v_and_b32_e32 v95, 7, v14
	v_or_b32_e32 v10, v10, v14
	s_delay_alu instid0(VALU_DEP_2) | instskip(NEXT) | instid1(VALU_DEP_2)
	v_or3_b32 v14, v94, v93, v95
	v_cmp_ne_u32_e32 vcc_lo, 0, v10
	s_delay_alu instid0(VALU_DEP_2)
	v_cndmask_b32_e32 v10, 0, v14, vcc_lo
.LBB6_2133:                             ;   in Loop: Header=BB6_394 Depth=4
	s_or_b32 exec_lo, exec_lo, s37
.LBB6_2134:                             ;   in Loop: Header=BB6_394 Depth=4
	s_delay_alu instid0(SALU_CYCLE_1) | instskip(SKIP_2) | instid1(VALU_DEP_1)
	s_or_b32 exec_lo, exec_lo, s36
	v_and_b32_e32 v14, 0xff, v15
	s_and_not1_b32 vcc_lo, exec_lo, s35
	v_cmp_lt_i16_e64 s13, 0x7f, v14
	s_cbranch_vccnz .LBB6_2144
; %bb.2135:                             ;   in Loop: Header=BB6_394 Depth=4
	s_mov_b32 s36, 0
                                        ; implicit-def: $sgpr37
	s_delay_alu instid0(VALU_DEP_1) | instskip(NEXT) | instid1(SALU_CYCLE_1)
	s_and_saveexec_b32 vcc_lo, s13
	s_xor_b32 s13, exec_lo, vcc_lo
	s_cbranch_execnz .LBB6_3208
; %bb.2136:                             ;   in Loop: Header=BB6_394 Depth=4
	s_or_saveexec_b32 s13, s13
	v_mov_b32_e32 v93, s37
	s_xor_b32 exec_lo, exec_lo, s13
	s_cbranch_execnz .LBB6_3211
.LBB6_2137:                             ;   in Loop: Header=BB6_394 Depth=4
	s_or_b32 exec_lo, exec_lo, s13
	s_and_saveexec_b32 s13, s36
	s_cbranch_execz .LBB6_2139
.LBB6_2138:                             ;   in Loop: Header=BB6_394 Depth=4
	v_bfe_u32 v104, v15, 3, 4
	v_lshlrev_b32_e32 v105, 24, v15
	s_delay_alu instid0(VALU_DEP_2) | instskip(SKIP_1) | instid1(VALU_DEP_1)
	v_cmp_eq_u32_e32 vcc_lo, 0, v104
	v_and_b32_e32 v93, 7, v15
	v_clz_i32_u32_e32 v94, v93
	s_delay_alu instid0(VALU_DEP_1) | instskip(NEXT) | instid1(VALU_DEP_1)
	v_min_u32_e32 v94, 32, v94
	v_subrev_nc_u32_e32 v95, 28, v94
	v_sub_nc_u32_e32 v94, 29, v94
	s_delay_alu instid0(VALU_DEP_1) | instskip(NEXT) | instid1(VALU_DEP_1)
	v_dual_cndmask_b32 v94, v104, v94 :: v_dual_lshlrev_b32 v95, v95, v15
	v_and_b32_e32 v95, 7, v95
	s_delay_alu instid0(VALU_DEP_2) | instskip(NEXT) | instid1(VALU_DEP_2)
	v_lshl_add_u32 v94, v94, 23, 0x3b800000
	v_cndmask_b32_e32 v93, v93, v95, vcc_lo
	v_and_b32_e32 v95, 0x80000000, v105
	s_delay_alu instid0(VALU_DEP_2) | instskip(NEXT) | instid1(VALU_DEP_1)
	v_lshlrev_b32_e32 v93, 20, v93
	v_or3_b32 v93, v95, v94, v93
.LBB6_2139:                             ;   in Loop: Header=BB6_394 Depth=4
	s_or_b32 exec_lo, exec_lo, s13
	v_and_b32_e32 v95, 0xff, v11
	s_mov_b32 s13, 0
	s_mov_b32 s37, exec_lo
                                        ; implicit-def: $sgpr36
	s_delay_alu instid0(VALU_DEP_1)
	v_cmpx_lt_i16_e32 0x7f, v95
	s_xor_b32 s37, exec_lo, s37
	s_cbranch_execnz .LBB6_3212
; %bb.2140:                             ;   in Loop: Header=BB6_394 Depth=4
	s_or_saveexec_b32 s37, s37
	v_mov_b32_e32 v94, s36
	s_xor_b32 exec_lo, exec_lo, s37
	s_cbranch_execnz .LBB6_3215
.LBB6_2141:                             ;   in Loop: Header=BB6_394 Depth=4
	s_or_b32 exec_lo, exec_lo, s37
	s_and_saveexec_b32 s36, s13
	s_cbranch_execz .LBB6_2143
.LBB6_2142:                             ;   in Loop: Header=BB6_394 Depth=4
	v_and_b32_e32 v94, 7, v11
	v_bfe_u32 v105, v11, 3, 4
	v_lshlrev_b32_e32 v106, 24, v11
	s_delay_alu instid0(VALU_DEP_3) | instskip(NEXT) | instid1(VALU_DEP_3)
	v_clz_i32_u32_e32 v95, v94
	v_cmp_eq_u32_e32 vcc_lo, 0, v105
	s_delay_alu instid0(VALU_DEP_2) | instskip(NEXT) | instid1(VALU_DEP_1)
	v_min_u32_e32 v95, 32, v95
	v_subrev_nc_u32_e32 v104, 28, v95
	v_sub_nc_u32_e32 v95, 29, v95
	s_delay_alu instid0(VALU_DEP_2) | instskip(NEXT) | instid1(VALU_DEP_1)
	v_lshlrev_b32_e32 v104, v104, v11
	v_dual_cndmask_b32 v95, v105, v95 :: v_dual_and_b32 v104, 7, v104
	s_delay_alu instid0(VALU_DEP_1) | instskip(NEXT) | instid1(VALU_DEP_2)
	v_lshl_add_u32 v95, v95, 23, 0x3b800000
	v_cndmask_b32_e32 v94, v94, v104, vcc_lo
	v_and_b32_e32 v104, 0x80000000, v106
	s_delay_alu instid0(VALU_DEP_2) | instskip(NEXT) | instid1(VALU_DEP_1)
	v_lshlrev_b32_e32 v94, 20, v94
	v_or3_b32 v94, v104, v95, v94
.LBB6_2143:                             ;   in Loop: Header=BB6_394 Depth=4
	s_or_b32 exec_lo, exec_lo, s36
	s_delay_alu instid0(VALU_DEP_1) | instskip(SKIP_1) | instid1(VALU_DEP_1)
	v_dual_max_f32 v94, v94, v94 :: v_dual_max_f32 v93, v93, v93
	s_mov_b32 s13, 0
	v_max_f32_e32 v93, v93, v94
	s_branch .LBB6_2145
.LBB6_2144:                             ;   in Loop: Header=BB6_394 Depth=4
	s_mov_b32 s13, -1
                                        ; implicit-def: $vgpr93
.LBB6_2145:                             ;   in Loop: Header=BB6_394 Depth=4
	s_delay_alu instid0(SALU_CYCLE_1)
	s_and_b32 vcc_lo, exec_lo, s13
	s_cbranch_vccz .LBB6_2155
; %bb.2146:                             ;   in Loop: Header=BB6_394 Depth=4
	s_mov_b32 s13, 0
	s_mov_b32 s37, exec_lo
                                        ; implicit-def: $sgpr36
	v_cmpx_lt_i16_e32 0x7f, v14
	s_xor_b32 s37, exec_lo, s37
	s_cbranch_execnz .LBB6_3216
; %bb.2147:                             ;   in Loop: Header=BB6_394 Depth=4
	s_or_saveexec_b32 s37, s37
	v_mov_b32_e32 v93, s36
	s_xor_b32 exec_lo, exec_lo, s37
	s_cbranch_execnz .LBB6_3219
.LBB6_2148:                             ;   in Loop: Header=BB6_394 Depth=4
	s_or_b32 exec_lo, exec_lo, s37
	s_and_saveexec_b32 s36, s13
	s_cbranch_execz .LBB6_2150
.LBB6_2149:                             ;   in Loop: Header=BB6_394 Depth=4
	v_bfe_u32 v95, v15, 3, 4
	v_lshlrev_b32_e32 v104, 24, v15
	s_delay_alu instid0(VALU_DEP_2) | instskip(SKIP_1) | instid1(VALU_DEP_1)
	v_cmp_eq_u32_e32 vcc_lo, 0, v95
	v_and_b32_e32 v14, 7, v15
	v_clz_i32_u32_e32 v93, v14
	s_delay_alu instid0(VALU_DEP_1) | instskip(NEXT) | instid1(VALU_DEP_1)
	v_min_u32_e32 v93, 32, v93
	v_subrev_nc_u32_e32 v94, 28, v93
	v_sub_nc_u32_e32 v93, 29, v93
	s_delay_alu instid0(VALU_DEP_1) | instskip(NEXT) | instid1(VALU_DEP_1)
	v_dual_cndmask_b32 v93, v95, v93 :: v_dual_lshlrev_b32 v94, v94, v15
	v_and_b32_e32 v94, 7, v94
	s_delay_alu instid0(VALU_DEP_2) | instskip(NEXT) | instid1(VALU_DEP_2)
	v_lshl_add_u32 v93, v93, 23, 0x3b800000
	v_cndmask_b32_e32 v14, v14, v94, vcc_lo
	v_and_b32_e32 v94, 0x80000000, v104
	s_delay_alu instid0(VALU_DEP_2) | instskip(NEXT) | instid1(VALU_DEP_1)
	v_lshlrev_b32_e32 v14, 20, v14
	v_or3_b32 v93, v94, v93, v14
.LBB6_2150:                             ;   in Loop: Header=BB6_394 Depth=4
	s_or_b32 exec_lo, exec_lo, s36
	v_and_b32_e32 v94, 0xff, v11
	s_mov_b32 s13, 0
	s_mov_b32 s37, exec_lo
                                        ; implicit-def: $sgpr36
	s_delay_alu instid0(VALU_DEP_1)
	v_cmpx_lt_i16_e32 0x7f, v94
	s_xor_b32 s37, exec_lo, s37
	s_cbranch_execnz .LBB6_3220
; %bb.2151:                             ;   in Loop: Header=BB6_394 Depth=4
	s_or_saveexec_b32 s37, s37
	v_mov_b32_e32 v14, s36
	s_xor_b32 exec_lo, exec_lo, s37
	s_cbranch_execnz .LBB6_3223
.LBB6_2152:                             ;   in Loop: Header=BB6_394 Depth=4
	s_or_b32 exec_lo, exec_lo, s37
	s_and_saveexec_b32 s36, s13
	s_cbranch_execz .LBB6_2154
.LBB6_2153:                             ;   in Loop: Header=BB6_394 Depth=4
	v_and_b32_e32 v14, 7, v11
	v_bfe_u32 v104, v11, 3, 4
	v_lshlrev_b32_e32 v105, 24, v11
	s_delay_alu instid0(VALU_DEP_3) | instskip(NEXT) | instid1(VALU_DEP_3)
	v_clz_i32_u32_e32 v94, v14
	v_cmp_eq_u32_e32 vcc_lo, 0, v104
	s_delay_alu instid0(VALU_DEP_2) | instskip(NEXT) | instid1(VALU_DEP_1)
	v_min_u32_e32 v94, 32, v94
	v_subrev_nc_u32_e32 v95, 28, v94
	v_sub_nc_u32_e32 v94, 29, v94
	s_delay_alu instid0(VALU_DEP_1) | instskip(NEXT) | instid1(VALU_DEP_1)
	v_dual_cndmask_b32 v94, v104, v94 :: v_dual_lshlrev_b32 v95, v95, v11
	v_and_b32_e32 v95, 7, v95
	s_delay_alu instid0(VALU_DEP_2) | instskip(NEXT) | instid1(VALU_DEP_2)
	v_lshl_add_u32 v94, v94, 23, 0x3b800000
	v_dual_cndmask_b32 v14, v14, v95 :: v_dual_and_b32 v95, 0x80000000, v105
	s_delay_alu instid0(VALU_DEP_1) | instskip(NEXT) | instid1(VALU_DEP_1)
	v_lshlrev_b32_e32 v14, 20, v14
	v_or3_b32 v14, v95, v94, v14
.LBB6_2154:                             ;   in Loop: Header=BB6_394 Depth=4
	s_or_b32 exec_lo, exec_lo, s36
	s_delay_alu instid0(VALU_DEP_1) | instskip(NEXT) | instid1(VALU_DEP_1)
	v_dual_max_f32 v14, v14, v14 :: v_dual_max_f32 v93, v93, v93
	v_min_f32_e32 v93, v93, v14
.LBB6_2155:                             ;   in Loop: Header=BB6_394 Depth=4
	s_delay_alu instid0(VALU_DEP_1) | instskip(NEXT) | instid1(VALU_DEP_1)
	v_and_b32_e32 v14, 0x7f800000, v93
	v_cmp_ne_u32_e32 vcc_lo, 0x7f800000, v14
	v_mov_b32_e32 v14, 0x80
	s_and_saveexec_b32 s36, vcc_lo
	s_cbranch_execz .LBB6_2163
; %bb.2156:                             ;   in Loop: Header=BB6_394 Depth=4
	v_mov_b32_e32 v14, 0
	s_mov_b32 s37, exec_lo
	v_cmpx_ne_u32_e32 0, v93
	s_cbranch_execz .LBB6_2162
; %bb.2157:                             ;   in Loop: Header=BB6_394 Depth=4
	v_bfe_u32 v14, v93, 23, 8
	s_delay_alu instid0(VALU_DEP_1) | instskip(SKIP_1) | instid1(VALU_DEP_2)
	v_sub_nc_u32_e32 v95, 0x78, v14
	v_cmp_gt_u32_e32 vcc_lo, 0x79, v14
	v_dual_cndmask_b32 v95, 0, v95 :: v_dual_and_b32 v94, 0x7fffff, v93
	s_delay_alu instid0(VALU_DEP_1) | instskip(SKIP_2) | instid1(VALU_DEP_4)
	v_or_b32_e32 v104, 0x800000, v94
	v_cmp_eq_u32_e32 vcc_lo, 0, v14
	v_add_nc_u32_e32 v14, 0xffffff89, v14
	v_cndmask_b32_e64 v95, v95, 0x77, vcc_lo
	s_delay_alu instid0(VALU_DEP_4) | instskip(NEXT) | instid1(VALU_DEP_3)
	v_cndmask_b32_e32 v94, v104, v94, vcc_lo
	v_cndmask_b32_e64 v14, v14, 0xffffff8a, vcc_lo
	s_delay_alu instid0(VALU_DEP_3) | instskip(NEXT) | instid1(VALU_DEP_3)
	v_lshl_add_u32 v104, 0x100000, v95, -1
	v_lshrrev_b32_e32 v105, v95, v94
	v_lshlrev_b32_e64 v107, v95, 0x80000
	s_delay_alu instid0(VALU_DEP_4) | instskip(NEXT) | instid1(VALU_DEP_4)
	v_add_nc_u32_e32 v95, v95, v14
	v_and_b32_e32 v94, v104, v94
	s_delay_alu instid0(VALU_DEP_4) | instskip(NEXT) | instid1(VALU_DEP_2)
	v_bfe_u32 v106, v105, 20, 1
	v_cmp_eq_u32_e64 s13, v94, v107
	s_delay_alu instid0(VALU_DEP_2) | instskip(NEXT) | instid1(VALU_DEP_1)
	v_add_nc_u32_e32 v104, -1, v106
	v_cndmask_b32_e64 v94, 0, v104, s13
	v_lshrrev_b32_e32 v104, 23, v105
	s_mov_b32 s13, exec_lo
	s_delay_alu instid0(VALU_DEP_2) | instskip(NEXT) | instid1(VALU_DEP_2)
	v_add_nc_u32_e32 v94, v94, v105
	v_xor_b32_e32 v104, 1, v104
	s_delay_alu instid0(VALU_DEP_2) | instskip(NEXT) | instid1(VALU_DEP_1)
	v_and_b32_e32 v14, 0xfffff, v94
	v_add_nc_u32_e32 v94, v14, v105
                                        ; implicit-def: $vgpr14
	s_delay_alu instid0(VALU_DEP_3)
	v_cmpx_ne_u32_e64 v95, v104
	s_xor_b32 s13, exec_lo, s13
; %bb.2158:                             ;   in Loop: Header=BB6_394 Depth=4
	s_delay_alu instid0(VALU_DEP_2) | instskip(SKIP_2) | instid1(VALU_DEP_2)
	v_cmp_lt_u32_e32 vcc_lo, 0xffffff, v94
	v_sub_nc_u32_e32 v14, v95, v104
	v_cndmask_b32_e64 v95, 0, 1, vcc_lo
	v_add_co_ci_u32_e32 v14, vcc_lo, 0, v14, vcc_lo
	s_delay_alu instid0(VALU_DEP_2)
	v_lshrrev_b32_e32 v94, v95, v94
; %bb.2159:                             ;   in Loop: Header=BB6_394 Depth=4
	s_and_not1_saveexec_b32 s13, s13
; %bb.2160:                             ;   in Loop: Header=BB6_394 Depth=4
	s_delay_alu instid0(VALU_DEP_1)
	v_bfe_u32 v14, v94, 23, 1
; %bb.2161:                             ;   in Loop: Header=BB6_394 Depth=4
	s_or_b32 exec_lo, exec_lo, s13
	v_lshrrev_b32_e32 v94, 20, v94
	s_delay_alu instid0(VALU_DEP_2) | instskip(SKIP_2) | instid1(VALU_DEP_2)
	v_cmp_gt_i32_e32 vcc_lo, 16, v14
	v_lshrrev_b32_e32 v93, 24, v93
	v_min_i32_e32 v95, 15, v14
	v_dual_cndmask_b32 v94, 7, v94 :: v_dual_and_b32 v93, 0x80, v93
	s_delay_alu instid0(VALU_DEP_1) | instskip(SKIP_1) | instid1(VALU_DEP_2)
	v_or_b32_e32 v14, v14, v94
	v_and_b32_e32 v104, 7, v94
	v_cmp_ne_u32_e32 vcc_lo, 0, v14
	v_lshlrev_b32_e32 v95, 3, v95
	s_delay_alu instid0(VALU_DEP_1) | instskip(NEXT) | instid1(VALU_DEP_1)
	v_or3_b32 v93, v95, v93, v104
	v_cndmask_b32_e32 v14, 0, v93, vcc_lo
.LBB6_2162:                             ;   in Loop: Header=BB6_394 Depth=4
	s_or_b32 exec_lo, exec_lo, s37
.LBB6_2163:                             ;   in Loop: Header=BB6_394 Depth=4
	s_delay_alu instid0(SALU_CYCLE_1) | instskip(SKIP_3) | instid1(VALU_DEP_2)
	s_or_b32 exec_lo, exec_lo, s36
	v_lshrrev_b16 v94, 8, v15
	v_lshrrev_b16 v93, 8, v11
	s_and_not1_b32 vcc_lo, exec_lo, s35
	v_cmp_lt_i16_e64 s13, 0x7f, v94
	s_cbranch_vccnz .LBB6_2173
; %bb.2164:                             ;   in Loop: Header=BB6_394 Depth=4
	s_mov_b32 s36, 0
                                        ; implicit-def: $sgpr37
	s_delay_alu instid0(VALU_DEP_1) | instskip(NEXT) | instid1(SALU_CYCLE_1)
	s_and_saveexec_b32 vcc_lo, s13
	s_xor_b32 s13, exec_lo, vcc_lo
	s_cbranch_execnz .LBB6_3224
; %bb.2165:                             ;   in Loop: Header=BB6_394 Depth=4
	s_or_saveexec_b32 s13, s13
	v_mov_b32_e32 v95, s37
	s_xor_b32 exec_lo, exec_lo, s13
	s_cbranch_execnz .LBB6_3227
.LBB6_2166:                             ;   in Loop: Header=BB6_394 Depth=4
	s_or_b32 exec_lo, exec_lo, s13
	s_and_saveexec_b32 s13, s36
	s_cbranch_execz .LBB6_2168
.LBB6_2167:                             ;   in Loop: Header=BB6_394 Depth=4
	v_and_b32_e32 v95, 0xffff, v94
	s_delay_alu instid0(VALU_DEP_1) | instskip(NEXT) | instid1(VALU_DEP_1)
	v_and_b32_e32 v104, 7, v95
	v_clz_i32_u32_e32 v105, v104
	s_delay_alu instid0(VALU_DEP_1) | instskip(NEXT) | instid1(VALU_DEP_1)
	v_min_u32_e32 v105, 32, v105
	v_subrev_nc_u32_e32 v106, 28, v105
	v_sub_nc_u32_e32 v105, 29, v105
	s_delay_alu instid0(VALU_DEP_2) | instskip(SKIP_1) | instid1(VALU_DEP_2)
	v_lshlrev_b32_e32 v106, v106, v95
	v_bfe_u32 v95, v95, 3, 4
	v_and_b32_e32 v106, 7, v106
	s_delay_alu instid0(VALU_DEP_2) | instskip(SKIP_1) | instid1(VALU_DEP_3)
	v_cmp_eq_u32_e32 vcc_lo, 0, v95
	v_cndmask_b32_e32 v95, v95, v105, vcc_lo
	v_dual_cndmask_b32 v104, v104, v106 :: v_dual_lshlrev_b32 v107, 16, v15
	s_delay_alu instid0(VALU_DEP_2) | instskip(NEXT) | instid1(VALU_DEP_2)
	v_lshl_add_u32 v95, v95, 23, 0x3b800000
	v_and_b32_e32 v105, 0x80000000, v107
	s_delay_alu instid0(VALU_DEP_3) | instskip(NEXT) | instid1(VALU_DEP_1)
	v_lshlrev_b32_e32 v104, 20, v104
	v_or3_b32 v95, v105, v95, v104
.LBB6_2168:                             ;   in Loop: Header=BB6_394 Depth=4
	s_or_b32 exec_lo, exec_lo, s13
	s_mov_b32 s13, 0
	s_mov_b32 s37, exec_lo
                                        ; implicit-def: $sgpr36
	v_cmpx_lt_i16_e32 0x7f, v93
	s_xor_b32 s37, exec_lo, s37
	s_cbranch_execnz .LBB6_3228
; %bb.2169:                             ;   in Loop: Header=BB6_394 Depth=4
	s_or_saveexec_b32 s37, s37
	v_mov_b32_e32 v104, s36
	s_xor_b32 exec_lo, exec_lo, s37
	s_cbranch_execnz .LBB6_3231
.LBB6_2170:                             ;   in Loop: Header=BB6_394 Depth=4
	s_or_b32 exec_lo, exec_lo, s37
	s_and_saveexec_b32 s36, s13
	s_cbranch_execz .LBB6_2172
.LBB6_2171:                             ;   in Loop: Header=BB6_394 Depth=4
	v_and_b32_e32 v104, 0xffff, v93
	v_lshlrev_b32_e32 v108, 16, v11
	s_delay_alu instid0(VALU_DEP_2) | instskip(NEXT) | instid1(VALU_DEP_1)
	v_and_b32_e32 v105, 7, v104
	v_clz_i32_u32_e32 v106, v105
	s_delay_alu instid0(VALU_DEP_1) | instskip(NEXT) | instid1(VALU_DEP_1)
	v_min_u32_e32 v106, 32, v106
	v_subrev_nc_u32_e32 v107, 28, v106
	v_sub_nc_u32_e32 v106, 29, v106
	s_delay_alu instid0(VALU_DEP_2) | instskip(SKIP_1) | instid1(VALU_DEP_2)
	v_lshlrev_b32_e32 v107, v107, v104
	v_bfe_u32 v104, v104, 3, 4
	v_and_b32_e32 v107, 7, v107
	s_delay_alu instid0(VALU_DEP_2) | instskip(NEXT) | instid1(VALU_DEP_2)
	v_cmp_eq_u32_e32 vcc_lo, 0, v104
	v_dual_cndmask_b32 v104, v104, v106 :: v_dual_cndmask_b32 v105, v105, v107
	v_and_b32_e32 v106, 0x80000000, v108
	s_delay_alu instid0(VALU_DEP_2) | instskip(NEXT) | instid1(VALU_DEP_3)
	v_lshl_add_u32 v104, v104, 23, 0x3b800000
	v_lshlrev_b32_e32 v105, 20, v105
	s_delay_alu instid0(VALU_DEP_1)
	v_or3_b32 v104, v106, v104, v105
.LBB6_2172:                             ;   in Loop: Header=BB6_394 Depth=4
	s_or_b32 exec_lo, exec_lo, s36
	s_delay_alu instid0(VALU_DEP_1) | instskip(SKIP_1) | instid1(VALU_DEP_1)
	v_dual_max_f32 v104, v104, v104 :: v_dual_max_f32 v95, v95, v95
	s_mov_b32 s13, 0
	v_max_f32_e32 v95, v95, v104
	s_branch .LBB6_2174
.LBB6_2173:                             ;   in Loop: Header=BB6_394 Depth=4
	s_mov_b32 s13, -1
                                        ; implicit-def: $vgpr95
.LBB6_2174:                             ;   in Loop: Header=BB6_394 Depth=4
	s_delay_alu instid0(SALU_CYCLE_1)
	s_and_b32 vcc_lo, exec_lo, s13
	s_cbranch_vccz .LBB6_2184
; %bb.2175:                             ;   in Loop: Header=BB6_394 Depth=4
	s_mov_b32 s13, 0
	s_mov_b32 s37, exec_lo
                                        ; implicit-def: $sgpr36
	v_cmpx_lt_i16_e32 0x7f, v94
	s_xor_b32 s37, exec_lo, s37
	s_cbranch_execnz .LBB6_3232
; %bb.2176:                             ;   in Loop: Header=BB6_394 Depth=4
	s_or_saveexec_b32 s37, s37
	v_mov_b32_e32 v95, s36
	s_xor_b32 exec_lo, exec_lo, s37
	s_cbranch_execnz .LBB6_3235
.LBB6_2177:                             ;   in Loop: Header=BB6_394 Depth=4
	s_or_b32 exec_lo, exec_lo, s37
	s_and_saveexec_b32 s36, s13
	s_cbranch_execz .LBB6_2179
.LBB6_2178:                             ;   in Loop: Header=BB6_394 Depth=4
	v_and_b32_e32 v94, 0xffff, v94
	v_lshlrev_b32_e32 v106, 16, v15
	s_delay_alu instid0(VALU_DEP_2) | instskip(NEXT) | instid1(VALU_DEP_1)
	v_and_b32_e32 v95, 7, v94
	v_clz_i32_u32_e32 v104, v95
	s_delay_alu instid0(VALU_DEP_1) | instskip(NEXT) | instid1(VALU_DEP_1)
	v_min_u32_e32 v104, 32, v104
	v_subrev_nc_u32_e32 v105, 28, v104
	v_sub_nc_u32_e32 v104, 29, v104
	s_delay_alu instid0(VALU_DEP_2) | instskip(SKIP_1) | instid1(VALU_DEP_2)
	v_lshlrev_b32_e32 v105, v105, v94
	v_bfe_u32 v94, v94, 3, 4
	v_and_b32_e32 v105, 7, v105
	s_delay_alu instid0(VALU_DEP_2) | instskip(NEXT) | instid1(VALU_DEP_2)
	v_cmp_eq_u32_e32 vcc_lo, 0, v94
	v_dual_cndmask_b32 v94, v94, v104 :: v_dual_cndmask_b32 v95, v95, v105
	v_and_b32_e32 v104, 0x80000000, v106
	s_delay_alu instid0(VALU_DEP_2) | instskip(NEXT) | instid1(VALU_DEP_3)
	v_lshl_add_u32 v94, v94, 23, 0x3b800000
	v_lshlrev_b32_e32 v95, 20, v95
	s_delay_alu instid0(VALU_DEP_1)
	v_or3_b32 v95, v104, v94, v95
.LBB6_2179:                             ;   in Loop: Header=BB6_394 Depth=4
	s_or_b32 exec_lo, exec_lo, s36
	s_mov_b32 s13, 0
	s_mov_b32 s37, exec_lo
                                        ; implicit-def: $sgpr36
	v_cmpx_lt_i16_e32 0x7f, v93
	s_xor_b32 s37, exec_lo, s37
	s_cbranch_execnz .LBB6_3236
; %bb.2180:                             ;   in Loop: Header=BB6_394 Depth=4
	s_or_saveexec_b32 s37, s37
	v_mov_b32_e32 v94, s36
	s_xor_b32 exec_lo, exec_lo, s37
	s_cbranch_execnz .LBB6_3239
.LBB6_2181:                             ;   in Loop: Header=BB6_394 Depth=4
	s_or_b32 exec_lo, exec_lo, s37
	s_and_saveexec_b32 s36, s13
	s_cbranch_execz .LBB6_2183
.LBB6_2182:                             ;   in Loop: Header=BB6_394 Depth=4
	v_and_b32_e32 v93, 0xffff, v93
	v_lshlrev_b32_e32 v106, 16, v11
	s_delay_alu instid0(VALU_DEP_2) | instskip(NEXT) | instid1(VALU_DEP_1)
	v_and_b32_e32 v94, 7, v93
	v_clz_i32_u32_e32 v104, v94
	s_delay_alu instid0(VALU_DEP_1) | instskip(NEXT) | instid1(VALU_DEP_1)
	v_min_u32_e32 v104, 32, v104
	v_subrev_nc_u32_e32 v105, 28, v104
	v_sub_nc_u32_e32 v104, 29, v104
	s_delay_alu instid0(VALU_DEP_2) | instskip(SKIP_1) | instid1(VALU_DEP_2)
	v_lshlrev_b32_e32 v105, v105, v93
	v_bfe_u32 v93, v93, 3, 4
	v_and_b32_e32 v105, 7, v105
	s_delay_alu instid0(VALU_DEP_2) | instskip(NEXT) | instid1(VALU_DEP_2)
	v_cmp_eq_u32_e32 vcc_lo, 0, v93
	v_dual_cndmask_b32 v93, v93, v104 :: v_dual_cndmask_b32 v94, v94, v105
	v_and_b32_e32 v104, 0x80000000, v106
	s_delay_alu instid0(VALU_DEP_2) | instskip(NEXT) | instid1(VALU_DEP_3)
	v_lshl_add_u32 v93, v93, 23, 0x3b800000
	v_lshlrev_b32_e32 v94, 20, v94
	s_delay_alu instid0(VALU_DEP_1)
	v_or3_b32 v94, v104, v93, v94
.LBB6_2183:                             ;   in Loop: Header=BB6_394 Depth=4
	s_or_b32 exec_lo, exec_lo, s36
	s_delay_alu instid0(VALU_DEP_1) | instskip(NEXT) | instid1(VALU_DEP_1)
	v_dual_max_f32 v93, v94, v94 :: v_dual_max_f32 v94, v95, v95
	v_min_f32_e32 v95, v94, v93
.LBB6_2184:                             ;   in Loop: Header=BB6_394 Depth=4
	s_delay_alu instid0(VALU_DEP_1) | instskip(NEXT) | instid1(VALU_DEP_1)
	v_and_b32_e32 v93, 0x7f800000, v95
	v_cmp_ne_u32_e32 vcc_lo, 0x7f800000, v93
	v_mov_b32_e32 v93, 0x80
	s_and_saveexec_b32 s36, vcc_lo
	s_cbranch_execz .LBB6_2192
; %bb.2185:                             ;   in Loop: Header=BB6_394 Depth=4
	v_mov_b32_e32 v93, 0
	s_mov_b32 s37, exec_lo
	v_cmpx_ne_u32_e32 0, v95
	s_cbranch_execz .LBB6_2191
; %bb.2186:                             ;   in Loop: Header=BB6_394 Depth=4
	v_bfe_u32 v93, v95, 23, 8
	v_and_b32_e32 v94, 0x7fffff, v95
	s_delay_alu instid0(VALU_DEP_2) | instskip(SKIP_1) | instid1(VALU_DEP_3)
	v_sub_nc_u32_e32 v104, 0x78, v93
	v_cmp_gt_u32_e32 vcc_lo, 0x79, v93
	v_or_b32_e32 v105, 0x800000, v94
	s_delay_alu instid0(VALU_DEP_3) | instskip(SKIP_2) | instid1(VALU_DEP_3)
	v_cndmask_b32_e32 v104, 0, v104, vcc_lo
	v_cmp_eq_u32_e32 vcc_lo, 0, v93
	v_add_nc_u32_e32 v93, 0xffffff89, v93
	v_cndmask_b32_e64 v104, v104, 0x77, vcc_lo
	v_cndmask_b32_e32 v94, v105, v94, vcc_lo
	s_delay_alu instid0(VALU_DEP_3) | instskip(NEXT) | instid1(VALU_DEP_3)
	v_cndmask_b32_e64 v93, v93, 0xffffff8a, vcc_lo
	v_lshl_add_u32 v105, 0x100000, v104, -1
	s_delay_alu instid0(VALU_DEP_3) | instskip(SKIP_1) | instid1(VALU_DEP_4)
	v_lshrrev_b32_e32 v106, v104, v94
	v_lshlrev_b32_e64 v108, v104, 0x80000
	v_add_nc_u32_e32 v104, v104, v93
	s_delay_alu instid0(VALU_DEP_4) | instskip(NEXT) | instid1(VALU_DEP_4)
	v_and_b32_e32 v94, v105, v94
	v_bfe_u32 v107, v106, 20, 1
	s_delay_alu instid0(VALU_DEP_2) | instskip(NEXT) | instid1(VALU_DEP_2)
	v_cmp_eq_u32_e64 s13, v94, v108
	v_add_nc_u32_e32 v105, -1, v107
	s_delay_alu instid0(VALU_DEP_1) | instskip(SKIP_2) | instid1(VALU_DEP_2)
	v_cndmask_b32_e64 v94, 0, v105, s13
	v_lshrrev_b32_e32 v105, 23, v106
	s_mov_b32 s13, exec_lo
	v_add_nc_u32_e32 v94, v94, v106
	s_delay_alu instid0(VALU_DEP_2) | instskip(NEXT) | instid1(VALU_DEP_2)
	v_xor_b32_e32 v105, 1, v105
	v_and_b32_e32 v93, 0xfffff, v94
	s_delay_alu instid0(VALU_DEP_1) | instskip(NEXT) | instid1(VALU_DEP_3)
	v_add_nc_u32_e32 v94, v93, v106
                                        ; implicit-def: $vgpr93
	v_cmpx_ne_u32_e64 v104, v105
	s_xor_b32 s13, exec_lo, s13
; %bb.2187:                             ;   in Loop: Header=BB6_394 Depth=4
	s_delay_alu instid0(VALU_DEP_2) | instskip(SKIP_2) | instid1(VALU_DEP_2)
	v_cmp_lt_u32_e32 vcc_lo, 0xffffff, v94
	v_sub_nc_u32_e32 v93, v104, v105
	v_cndmask_b32_e64 v104, 0, 1, vcc_lo
	v_add_co_ci_u32_e32 v93, vcc_lo, 0, v93, vcc_lo
	s_delay_alu instid0(VALU_DEP_2)
	v_lshrrev_b32_e32 v94, v104, v94
; %bb.2188:                             ;   in Loop: Header=BB6_394 Depth=4
	s_and_not1_saveexec_b32 s13, s13
; %bb.2189:                             ;   in Loop: Header=BB6_394 Depth=4
	s_delay_alu instid0(VALU_DEP_1)
	v_bfe_u32 v93, v94, 23, 1
; %bb.2190:                             ;   in Loop: Header=BB6_394 Depth=4
	s_or_b32 exec_lo, exec_lo, s13
	v_lshrrev_b32_e32 v94, 20, v94
	s_delay_alu instid0(VALU_DEP_2) | instskip(SKIP_2) | instid1(VALU_DEP_2)
	v_cmp_gt_i32_e32 vcc_lo, 16, v93
	v_lshrrev_b32_e32 v95, 24, v95
	v_min_i32_e32 v104, 15, v93
	v_dual_cndmask_b32 v94, 7, v94 :: v_dual_and_b32 v95, 0x80, v95
	s_delay_alu instid0(VALU_DEP_1) | instskip(SKIP_1) | instid1(VALU_DEP_2)
	v_or_b32_e32 v93, v93, v94
	v_and_b32_e32 v105, 7, v94
	v_cmp_ne_u32_e32 vcc_lo, 0, v93
	v_lshlrev_b32_e32 v104, 3, v104
	s_delay_alu instid0(VALU_DEP_1) | instskip(NEXT) | instid1(VALU_DEP_1)
	v_or3_b32 v94, v104, v95, v105
	v_cndmask_b32_e32 v93, 0, v94, vcc_lo
.LBB6_2191:                             ;   in Loop: Header=BB6_394 Depth=4
	s_or_b32 exec_lo, exec_lo, s37
.LBB6_2192:                             ;   in Loop: Header=BB6_394 Depth=4
	s_delay_alu instid0(SALU_CYCLE_1) | instskip(SKIP_3) | instid1(VALU_DEP_2)
	s_or_b32 exec_lo, exec_lo, s36
	v_lshrrev_b32_e32 v95, 16, v15
	v_lshrrev_b32_e32 v94, 16, v11
	s_and_not1_b32 vcc_lo, exec_lo, s35
	v_and_b32_e32 v104, 0xff, v95
	s_delay_alu instid0(VALU_DEP_1)
	v_cmp_lt_i16_e64 s13, 0x7f, v104
	s_cbranch_vccnz .LBB6_2202
; %bb.2193:                             ;   in Loop: Header=BB6_394 Depth=4
	s_mov_b32 s36, 0
                                        ; implicit-def: $sgpr37
	s_delay_alu instid0(VALU_DEP_1) | instskip(NEXT) | instid1(SALU_CYCLE_1)
	s_and_saveexec_b32 vcc_lo, s13
	s_xor_b32 s13, exec_lo, vcc_lo
	s_cbranch_execnz .LBB6_3240
; %bb.2194:                             ;   in Loop: Header=BB6_394 Depth=4
	s_or_saveexec_b32 s13, s13
	v_mov_b32_e32 v105, s37
	s_xor_b32 exec_lo, exec_lo, s13
	s_cbranch_execnz .LBB6_3243
.LBB6_2195:                             ;   in Loop: Header=BB6_394 Depth=4
	s_or_b32 exec_lo, exec_lo, s13
	s_and_saveexec_b32 s13, s36
	s_cbranch_execz .LBB6_2197
.LBB6_2196:                             ;   in Loop: Header=BB6_394 Depth=4
	v_bfe_u32 v105, v15, 16, 3
	v_bfe_u32 v108, v15, 19, 4
	v_lshlrev_b32_e32 v109, 24, v95
	s_delay_alu instid0(VALU_DEP_3) | instskip(NEXT) | instid1(VALU_DEP_3)
	v_clz_i32_u32_e32 v106, v105
	v_cmp_eq_u32_e32 vcc_lo, 0, v108
	s_delay_alu instid0(VALU_DEP_2) | instskip(NEXT) | instid1(VALU_DEP_1)
	v_min_u32_e32 v106, 32, v106
	v_subrev_nc_u32_e32 v107, 28, v106
	v_sub_nc_u32_e32 v106, 29, v106
	s_delay_alu instid0(VALU_DEP_1) | instskip(NEXT) | instid1(VALU_DEP_1)
	v_dual_cndmask_b32 v106, v108, v106 :: v_dual_lshlrev_b32 v107, v107, v95
	v_and_b32_e32 v107, 7, v107
	s_delay_alu instid0(VALU_DEP_2) | instskip(NEXT) | instid1(VALU_DEP_2)
	v_lshl_add_u32 v106, v106, 23, 0x3b800000
	v_cndmask_b32_e32 v105, v105, v107, vcc_lo
	v_and_b32_e32 v107, 0x80000000, v109
	s_delay_alu instid0(VALU_DEP_2) | instskip(NEXT) | instid1(VALU_DEP_1)
	v_lshlrev_b32_e32 v105, 20, v105
	v_or3_b32 v105, v107, v106, v105
.LBB6_2197:                             ;   in Loop: Header=BB6_394 Depth=4
	s_or_b32 exec_lo, exec_lo, s13
	v_and_b32_e32 v107, 0xff, v94
	s_mov_b32 s13, 0
	s_mov_b32 s37, exec_lo
                                        ; implicit-def: $sgpr36
	s_delay_alu instid0(VALU_DEP_1)
	v_cmpx_lt_i16_e32 0x7f, v107
	s_xor_b32 s37, exec_lo, s37
	s_cbranch_execnz .LBB6_3244
; %bb.2198:                             ;   in Loop: Header=BB6_394 Depth=4
	s_or_saveexec_b32 s37, s37
	v_mov_b32_e32 v106, s36
	s_xor_b32 exec_lo, exec_lo, s37
	s_cbranch_execnz .LBB6_3247
.LBB6_2199:                             ;   in Loop: Header=BB6_394 Depth=4
	s_or_b32 exec_lo, exec_lo, s37
	s_and_saveexec_b32 s36, s13
	s_cbranch_execz .LBB6_2201
.LBB6_2200:                             ;   in Loop: Header=BB6_394 Depth=4
	v_bfe_u32 v106, v11, 16, 3
	v_bfe_u32 v109, v11, 19, 4
	v_lshlrev_b32_e32 v110, 24, v94
	s_delay_alu instid0(VALU_DEP_3) | instskip(NEXT) | instid1(VALU_DEP_3)
	v_clz_i32_u32_e32 v107, v106
	v_cmp_eq_u32_e32 vcc_lo, 0, v109
	s_delay_alu instid0(VALU_DEP_2) | instskip(NEXT) | instid1(VALU_DEP_1)
	v_min_u32_e32 v107, 32, v107
	v_subrev_nc_u32_e32 v108, 28, v107
	v_sub_nc_u32_e32 v107, 29, v107
	s_delay_alu instid0(VALU_DEP_1) | instskip(NEXT) | instid1(VALU_DEP_1)
	v_dual_cndmask_b32 v107, v109, v107 :: v_dual_lshlrev_b32 v108, v108, v94
	v_and_b32_e32 v108, 7, v108
	s_delay_alu instid0(VALU_DEP_2) | instskip(NEXT) | instid1(VALU_DEP_2)
	v_lshl_add_u32 v107, v107, 23, 0x3b800000
	v_cndmask_b32_e32 v106, v106, v108, vcc_lo
	v_and_b32_e32 v108, 0x80000000, v110
	s_delay_alu instid0(VALU_DEP_2) | instskip(NEXT) | instid1(VALU_DEP_1)
	v_lshlrev_b32_e32 v106, 20, v106
	v_or3_b32 v106, v108, v107, v106
.LBB6_2201:                             ;   in Loop: Header=BB6_394 Depth=4
	s_or_b32 exec_lo, exec_lo, s36
	s_delay_alu instid0(VALU_DEP_1) | instskip(SKIP_1) | instid1(VALU_DEP_1)
	v_dual_max_f32 v106, v106, v106 :: v_dual_max_f32 v105, v105, v105
	s_mov_b32 s13, 0
	v_max_f32_e32 v105, v105, v106
	s_branch .LBB6_2203
.LBB6_2202:                             ;   in Loop: Header=BB6_394 Depth=4
	s_mov_b32 s13, -1
                                        ; implicit-def: $vgpr105
.LBB6_2203:                             ;   in Loop: Header=BB6_394 Depth=4
	s_delay_alu instid0(SALU_CYCLE_1)
	s_and_b32 vcc_lo, exec_lo, s13
	s_cbranch_vccz .LBB6_2213
; %bb.2204:                             ;   in Loop: Header=BB6_394 Depth=4
	s_mov_b32 s13, 0
	s_mov_b32 s37, exec_lo
                                        ; implicit-def: $sgpr36
	v_cmpx_lt_i16_e32 0x7f, v104
	s_xor_b32 s37, exec_lo, s37
	s_cbranch_execnz .LBB6_3248
; %bb.2205:                             ;   in Loop: Header=BB6_394 Depth=4
	s_or_saveexec_b32 s37, s37
	v_mov_b32_e32 v105, s36
	s_xor_b32 exec_lo, exec_lo, s37
	s_cbranch_execnz .LBB6_3251
.LBB6_2206:                             ;   in Loop: Header=BB6_394 Depth=4
	s_or_b32 exec_lo, exec_lo, s37
	s_and_saveexec_b32 s36, s13
	s_cbranch_execz .LBB6_2208
.LBB6_2207:                             ;   in Loop: Header=BB6_394 Depth=4
	v_bfe_u32 v104, v15, 16, 3
	v_bfe_u32 v107, v15, 19, 4
	s_delay_alu instid0(VALU_DEP_2) | instskip(NEXT) | instid1(VALU_DEP_2)
	v_clz_i32_u32_e32 v105, v104
	v_cmp_eq_u32_e32 vcc_lo, 0, v107
	s_delay_alu instid0(VALU_DEP_2) | instskip(NEXT) | instid1(VALU_DEP_1)
	v_min_u32_e32 v105, 32, v105
	v_subrev_nc_u32_e32 v106, 28, v105
	v_sub_nc_u32_e32 v105, 29, v105
	s_delay_alu instid0(VALU_DEP_1) | instskip(NEXT) | instid1(VALU_DEP_1)
	v_dual_cndmask_b32 v105, v107, v105 :: v_dual_lshlrev_b32 v106, v106, v95
	v_and_b32_e32 v106, 7, v106
	v_lshlrev_b32_e32 v95, 24, v95
	s_delay_alu instid0(VALU_DEP_3) | instskip(NEXT) | instid1(VALU_DEP_2)
	v_lshl_add_u32 v105, v105, 23, 0x3b800000
	v_dual_cndmask_b32 v104, v104, v106 :: v_dual_and_b32 v95, 0x80000000, v95
	s_delay_alu instid0(VALU_DEP_1) | instskip(NEXT) | instid1(VALU_DEP_1)
	v_lshlrev_b32_e32 v104, 20, v104
	v_or3_b32 v105, v95, v105, v104
.LBB6_2208:                             ;   in Loop: Header=BB6_394 Depth=4
	s_or_b32 exec_lo, exec_lo, s36
	v_and_b32_e32 v104, 0xff, v94
	s_mov_b32 s13, 0
	s_mov_b32 s37, exec_lo
                                        ; implicit-def: $sgpr36
	s_delay_alu instid0(VALU_DEP_1)
	v_cmpx_lt_i16_e32 0x7f, v104
	s_xor_b32 s37, exec_lo, s37
	s_cbranch_execnz .LBB6_3252
; %bb.2209:                             ;   in Loop: Header=BB6_394 Depth=4
	s_or_saveexec_b32 s37, s37
	v_mov_b32_e32 v95, s36
	s_xor_b32 exec_lo, exec_lo, s37
	s_cbranch_execnz .LBB6_3255
.LBB6_2210:                             ;   in Loop: Header=BB6_394 Depth=4
	s_or_b32 exec_lo, exec_lo, s37
	s_and_saveexec_b32 s36, s13
	s_cbranch_execz .LBB6_2212
.LBB6_2211:                             ;   in Loop: Header=BB6_394 Depth=4
	v_bfe_u32 v95, v11, 16, 3
	v_bfe_u32 v107, v11, 19, 4
	s_delay_alu instid0(VALU_DEP_2) | instskip(NEXT) | instid1(VALU_DEP_2)
	v_clz_i32_u32_e32 v104, v95
	v_cmp_eq_u32_e32 vcc_lo, 0, v107
	s_delay_alu instid0(VALU_DEP_2) | instskip(NEXT) | instid1(VALU_DEP_1)
	v_min_u32_e32 v104, 32, v104
	v_subrev_nc_u32_e32 v106, 28, v104
	v_sub_nc_u32_e32 v104, 29, v104
	s_delay_alu instid0(VALU_DEP_2) | instskip(SKIP_1) | instid1(VALU_DEP_2)
	v_lshlrev_b32_e32 v106, v106, v94
	v_lshlrev_b32_e32 v94, 24, v94
	v_and_b32_e32 v106, 7, v106
	s_delay_alu instid0(VALU_DEP_2) | instskip(NEXT) | instid1(VALU_DEP_2)
	v_and_b32_e32 v94, 0x80000000, v94
	v_cndmask_b32_e32 v95, v95, v106, vcc_lo
	s_delay_alu instid0(VALU_DEP_1) | instskip(NEXT) | instid1(VALU_DEP_1)
	v_dual_cndmask_b32 v104, v107, v104 :: v_dual_lshlrev_b32 v95, 20, v95
	v_lshl_add_u32 v104, v104, 23, 0x3b800000
	s_delay_alu instid0(VALU_DEP_1)
	v_or3_b32 v95, v94, v104, v95
.LBB6_2212:                             ;   in Loop: Header=BB6_394 Depth=4
	s_or_b32 exec_lo, exec_lo, s36
	s_delay_alu instid0(VALU_DEP_1) | instskip(NEXT) | instid1(VALU_DEP_1)
	v_dual_max_f32 v94, v95, v95 :: v_dual_max_f32 v95, v105, v105
	v_min_f32_e32 v105, v95, v94
.LBB6_2213:                             ;   in Loop: Header=BB6_394 Depth=4
	s_delay_alu instid0(VALU_DEP_1) | instskip(NEXT) | instid1(VALU_DEP_1)
	v_and_b32_e32 v94, 0x7f800000, v105
	v_cmp_ne_u32_e32 vcc_lo, 0x7f800000, v94
	v_mov_b32_e32 v94, 0x80
	s_and_saveexec_b32 s36, vcc_lo
	s_cbranch_execz .LBB6_2221
; %bb.2214:                             ;   in Loop: Header=BB6_394 Depth=4
	v_mov_b32_e32 v94, 0
	s_mov_b32 s37, exec_lo
	v_cmpx_ne_u32_e32 0, v105
	s_cbranch_execz .LBB6_2220
; %bb.2215:                             ;   in Loop: Header=BB6_394 Depth=4
	v_bfe_u32 v94, v105, 23, 8
	s_delay_alu instid0(VALU_DEP_1) | instskip(SKIP_1) | instid1(VALU_DEP_2)
	v_sub_nc_u32_e32 v104, 0x78, v94
	v_cmp_gt_u32_e32 vcc_lo, 0x79, v94
	v_dual_cndmask_b32 v104, 0, v104 :: v_dual_and_b32 v95, 0x7fffff, v105
	s_delay_alu instid0(VALU_DEP_1) | instskip(SKIP_2) | instid1(VALU_DEP_4)
	v_or_b32_e32 v106, 0x800000, v95
	v_cmp_eq_u32_e32 vcc_lo, 0, v94
	v_add_nc_u32_e32 v94, 0xffffff89, v94
	v_cndmask_b32_e64 v104, v104, 0x77, vcc_lo
	s_delay_alu instid0(VALU_DEP_4) | instskip(NEXT) | instid1(VALU_DEP_3)
	v_cndmask_b32_e32 v95, v106, v95, vcc_lo
	v_cndmask_b32_e64 v94, v94, 0xffffff8a, vcc_lo
	s_delay_alu instid0(VALU_DEP_3) | instskip(NEXT) | instid1(VALU_DEP_3)
	v_lshl_add_u32 v106, 0x100000, v104, -1
	v_lshrrev_b32_e32 v107, v104, v95
	v_lshlrev_b32_e64 v109, v104, 0x80000
	s_delay_alu instid0(VALU_DEP_4) | instskip(NEXT) | instid1(VALU_DEP_4)
	v_add_nc_u32_e32 v104, v104, v94
	v_and_b32_e32 v95, v106, v95
	s_delay_alu instid0(VALU_DEP_4) | instskip(NEXT) | instid1(VALU_DEP_2)
	v_bfe_u32 v108, v107, 20, 1
	v_cmp_eq_u32_e64 s13, v95, v109
	s_delay_alu instid0(VALU_DEP_2) | instskip(NEXT) | instid1(VALU_DEP_1)
	v_add_nc_u32_e32 v106, -1, v108
	v_cndmask_b32_e64 v95, 0, v106, s13
	v_lshrrev_b32_e32 v106, 23, v107
	s_mov_b32 s13, exec_lo
	s_delay_alu instid0(VALU_DEP_2) | instskip(NEXT) | instid1(VALU_DEP_2)
	v_add_nc_u32_e32 v95, v95, v107
	v_xor_b32_e32 v106, 1, v106
	s_delay_alu instid0(VALU_DEP_2) | instskip(NEXT) | instid1(VALU_DEP_1)
	v_and_b32_e32 v94, 0xfffff, v95
	v_add_nc_u32_e32 v95, v94, v107
                                        ; implicit-def: $vgpr94
	s_delay_alu instid0(VALU_DEP_3)
	v_cmpx_ne_u32_e64 v104, v106
	s_xor_b32 s13, exec_lo, s13
; %bb.2216:                             ;   in Loop: Header=BB6_394 Depth=4
	s_delay_alu instid0(VALU_DEP_2) | instskip(SKIP_2) | instid1(VALU_DEP_2)
	v_cmp_lt_u32_e32 vcc_lo, 0xffffff, v95
	v_sub_nc_u32_e32 v94, v104, v106
	v_cndmask_b32_e64 v104, 0, 1, vcc_lo
	v_add_co_ci_u32_e32 v94, vcc_lo, 0, v94, vcc_lo
	s_delay_alu instid0(VALU_DEP_2)
	v_lshrrev_b32_e32 v95, v104, v95
; %bb.2217:                             ;   in Loop: Header=BB6_394 Depth=4
	s_and_not1_saveexec_b32 s13, s13
; %bb.2218:                             ;   in Loop: Header=BB6_394 Depth=4
	s_delay_alu instid0(VALU_DEP_1)
	v_bfe_u32 v94, v95, 23, 1
; %bb.2219:                             ;   in Loop: Header=BB6_394 Depth=4
	s_or_b32 exec_lo, exec_lo, s13
	v_lshrrev_b32_e32 v95, 20, v95
	s_delay_alu instid0(VALU_DEP_2) | instskip(SKIP_2) | instid1(VALU_DEP_2)
	v_cmp_gt_i32_e32 vcc_lo, 16, v94
	v_min_i32_e32 v104, 15, v94
	v_lshrrev_b32_e32 v105, 24, v105
	v_dual_cndmask_b32 v95, 7, v95 :: v_dual_lshlrev_b32 v104, 3, v104
	s_delay_alu instid0(VALU_DEP_1) | instskip(SKIP_1) | instid1(VALU_DEP_3)
	v_or_b32_e32 v94, v94, v95
	v_and_b32_e32 v106, 7, v95
	v_and_b32_e32 v104, 0xf8, v104
	s_delay_alu instid0(VALU_DEP_3) | instskip(SKIP_1) | instid1(VALU_DEP_1)
	v_cmp_ne_u32_e32 vcc_lo, 0, v94
	v_and_b32_e32 v105, 0x80, v105
	v_or3_b32 v95, v104, v105, v106
	s_delay_alu instid0(VALU_DEP_1)
	v_cndmask_b32_e32 v94, 0, v95, vcc_lo
.LBB6_2220:                             ;   in Loop: Header=BB6_394 Depth=4
	s_or_b32 exec_lo, exec_lo, s37
.LBB6_2221:                             ;   in Loop: Header=BB6_394 Depth=4
	s_delay_alu instid0(SALU_CYCLE_1) | instskip(SKIP_3) | instid1(VALU_DEP_2)
	s_or_b32 exec_lo, exec_lo, s36
	v_lshrrev_b32_e32 v104, 24, v15
	v_lshrrev_b32_e32 v95, 24, v11
	s_and_not1_b32 vcc_lo, exec_lo, s35
	v_cmp_lt_i16_e64 s13, 0x7f, v104
	s_cbranch_vccnz .LBB6_2231
; %bb.2222:                             ;   in Loop: Header=BB6_394 Depth=4
	s_mov_b32 s36, 0
                                        ; implicit-def: $sgpr37
	s_delay_alu instid0(VALU_DEP_1) | instskip(NEXT) | instid1(SALU_CYCLE_1)
	s_and_saveexec_b32 vcc_lo, s13
	s_xor_b32 s13, exec_lo, vcc_lo
	s_cbranch_execnz .LBB6_3256
; %bb.2223:                             ;   in Loop: Header=BB6_394 Depth=4
	s_or_saveexec_b32 s13, s13
	v_mov_b32_e32 v105, s37
	s_xor_b32 exec_lo, exec_lo, s13
	s_cbranch_execnz .LBB6_3259
.LBB6_2224:                             ;   in Loop: Header=BB6_394 Depth=4
	s_or_b32 exec_lo, exec_lo, s13
	s_and_saveexec_b32 s13, s36
	s_cbranch_execz .LBB6_2226
.LBB6_2225:                             ;   in Loop: Header=BB6_394 Depth=4
	v_bfe_u32 v105, v15, 24, 3
	v_bfe_u32 v108, v15, 27, 4
	s_delay_alu instid0(VALU_DEP_2) | instskip(NEXT) | instid1(VALU_DEP_2)
	v_clz_i32_u32_e32 v106, v105
	v_cmp_eq_u32_e32 vcc_lo, 0, v108
	s_delay_alu instid0(VALU_DEP_2) | instskip(NEXT) | instid1(VALU_DEP_1)
	v_min_u32_e32 v106, 32, v106
	v_subrev_nc_u32_e32 v107, 28, v106
	v_sub_nc_u32_e32 v106, 29, v106
	s_delay_alu instid0(VALU_DEP_1) | instskip(NEXT) | instid1(VALU_DEP_1)
	v_dual_cndmask_b32 v106, v108, v106 :: v_dual_lshlrev_b32 v107, v107, v104
	v_and_b32_e32 v107, 7, v107
	s_delay_alu instid0(VALU_DEP_2) | instskip(NEXT) | instid1(VALU_DEP_2)
	v_lshl_add_u32 v106, v106, 23, 0x3b800000
	v_cndmask_b32_e32 v105, v105, v107, vcc_lo
	v_and_b32_e32 v107, 0x80000000, v15
	s_delay_alu instid0(VALU_DEP_2) | instskip(NEXT) | instid1(VALU_DEP_1)
	v_lshlrev_b32_e32 v105, 20, v105
	v_or3_b32 v105, v107, v106, v105
.LBB6_2226:                             ;   in Loop: Header=BB6_394 Depth=4
	s_or_b32 exec_lo, exec_lo, s13
	s_mov_b32 s13, 0
	s_mov_b32 s37, exec_lo
                                        ; implicit-def: $sgpr36
	v_cmpx_lt_i16_e32 0x7f, v95
	s_xor_b32 s37, exec_lo, s37
	s_cbranch_execnz .LBB6_3260
; %bb.2227:                             ;   in Loop: Header=BB6_394 Depth=4
	s_or_saveexec_b32 s37, s37
	v_mov_b32_e32 v106, s36
	s_xor_b32 exec_lo, exec_lo, s37
	s_cbranch_execnz .LBB6_3263
.LBB6_2228:                             ;   in Loop: Header=BB6_394 Depth=4
	s_or_b32 exec_lo, exec_lo, s37
	s_and_saveexec_b32 s36, s13
	s_cbranch_execz .LBB6_2230
.LBB6_2229:                             ;   in Loop: Header=BB6_394 Depth=4
	v_bfe_u32 v106, v11, 24, 3
	v_bfe_u32 v109, v11, 27, 4
	s_delay_alu instid0(VALU_DEP_2) | instskip(NEXT) | instid1(VALU_DEP_2)
	v_clz_i32_u32_e32 v107, v106
	v_cmp_eq_u32_e32 vcc_lo, 0, v109
	s_delay_alu instid0(VALU_DEP_2) | instskip(NEXT) | instid1(VALU_DEP_1)
	v_min_u32_e32 v107, 32, v107
	v_subrev_nc_u32_e32 v108, 28, v107
	v_sub_nc_u32_e32 v107, 29, v107
	s_delay_alu instid0(VALU_DEP_2) | instskip(NEXT) | instid1(VALU_DEP_1)
	v_lshlrev_b32_e32 v108, v108, v95
	v_dual_cndmask_b32 v107, v109, v107 :: v_dual_and_b32 v108, 7, v108
	s_delay_alu instid0(VALU_DEP_1) | instskip(NEXT) | instid1(VALU_DEP_2)
	v_lshl_add_u32 v107, v107, 23, 0x3b800000
	v_cndmask_b32_e32 v106, v106, v108, vcc_lo
	v_and_b32_e32 v108, 0x80000000, v11
	s_delay_alu instid0(VALU_DEP_2) | instskip(NEXT) | instid1(VALU_DEP_1)
	v_lshlrev_b32_e32 v106, 20, v106
	v_or3_b32 v106, v108, v107, v106
.LBB6_2230:                             ;   in Loop: Header=BB6_394 Depth=4
	s_or_b32 exec_lo, exec_lo, s36
	s_delay_alu instid0(VALU_DEP_1) | instskip(SKIP_1) | instid1(VALU_DEP_1)
	v_dual_max_f32 v106, v106, v106 :: v_dual_max_f32 v105, v105, v105
	s_mov_b32 s13, 0
	v_max_f32_e32 v105, v105, v106
	s_branch .LBB6_2232
.LBB6_2231:                             ;   in Loop: Header=BB6_394 Depth=4
	s_mov_b32 s13, -1
                                        ; implicit-def: $vgpr105
.LBB6_2232:                             ;   in Loop: Header=BB6_394 Depth=4
	s_delay_alu instid0(SALU_CYCLE_1)
	s_and_b32 vcc_lo, exec_lo, s13
	s_cbranch_vccz .LBB6_2242
; %bb.2233:                             ;   in Loop: Header=BB6_394 Depth=4
	s_mov_b32 s13, 0
	s_mov_b32 s37, exec_lo
                                        ; implicit-def: $sgpr36
	v_cmpx_lt_i16_e32 0x7f, v104
	s_xor_b32 s37, exec_lo, s37
	s_cbranch_execnz .LBB6_3264
; %bb.2234:                             ;   in Loop: Header=BB6_394 Depth=4
	s_or_saveexec_b32 s37, s37
	v_mov_b32_e32 v105, s36
	s_xor_b32 exec_lo, exec_lo, s37
	s_cbranch_execnz .LBB6_3267
.LBB6_2235:                             ;   in Loop: Header=BB6_394 Depth=4
	s_or_b32 exec_lo, exec_lo, s37
	s_and_saveexec_b32 s36, s13
	s_cbranch_execz .LBB6_2237
.LBB6_2236:                             ;   in Loop: Header=BB6_394 Depth=4
	v_bfe_u32 v105, v15, 24, 3
	s_delay_alu instid0(VALU_DEP_1) | instskip(NEXT) | instid1(VALU_DEP_1)
	v_clz_i32_u32_e32 v106, v105
	v_min_u32_e32 v106, 32, v106
	s_delay_alu instid0(VALU_DEP_1) | instskip(SKIP_1) | instid1(VALU_DEP_2)
	v_subrev_nc_u32_e32 v107, 28, v106
	v_sub_nc_u32_e32 v106, 29, v106
	v_lshlrev_b32_e32 v104, v107, v104
	v_bfe_u32 v107, v15, 27, 4
	v_and_b32_e32 v15, 0x80000000, v15
	s_delay_alu instid0(VALU_DEP_3) | instskip(NEXT) | instid1(VALU_DEP_3)
	v_and_b32_e32 v104, 7, v104
	v_cmp_eq_u32_e32 vcc_lo, 0, v107
	v_cndmask_b32_e32 v106, v107, v106, vcc_lo
	s_delay_alu instid0(VALU_DEP_3) | instskip(NEXT) | instid1(VALU_DEP_2)
	v_cndmask_b32_e32 v104, v105, v104, vcc_lo
	v_lshl_add_u32 v105, v106, 23, 0x3b800000
	s_delay_alu instid0(VALU_DEP_2) | instskip(NEXT) | instid1(VALU_DEP_1)
	v_lshlrev_b32_e32 v104, 20, v104
	v_or3_b32 v105, v15, v105, v104
.LBB6_2237:                             ;   in Loop: Header=BB6_394 Depth=4
	s_or_b32 exec_lo, exec_lo, s36
	s_mov_b32 s13, 0
	s_mov_b32 s37, exec_lo
                                        ; implicit-def: $sgpr36
	v_cmpx_lt_i16_e32 0x7f, v95
	s_xor_b32 s37, exec_lo, s37
	s_cbranch_execnz .LBB6_3268
; %bb.2238:                             ;   in Loop: Header=BB6_394 Depth=4
	s_or_saveexec_b32 s37, s37
	v_mov_b32_e32 v15, s36
	s_xor_b32 exec_lo, exec_lo, s37
	s_cbranch_execnz .LBB6_3271
.LBB6_2239:                             ;   in Loop: Header=BB6_394 Depth=4
	s_or_b32 exec_lo, exec_lo, s37
	s_and_saveexec_b32 s36, s13
	s_cbranch_execz .LBB6_2241
.LBB6_2240:                             ;   in Loop: Header=BB6_394 Depth=4
	v_bfe_u32 v15, v11, 24, 3
	s_delay_alu instid0(VALU_DEP_1) | instskip(NEXT) | instid1(VALU_DEP_1)
	v_clz_i32_u32_e32 v104, v15
	v_min_u32_e32 v104, 32, v104
	s_delay_alu instid0(VALU_DEP_1) | instskip(SKIP_1) | instid1(VALU_DEP_2)
	v_subrev_nc_u32_e32 v106, 28, v104
	v_sub_nc_u32_e32 v104, 29, v104
	v_lshlrev_b32_e32 v95, v106, v95
	v_bfe_u32 v106, v11, 27, 4
	v_and_b32_e32 v11, 0x80000000, v11
	s_delay_alu instid0(VALU_DEP_2) | instskip(NEXT) | instid1(VALU_DEP_4)
	v_cmp_eq_u32_e32 vcc_lo, 0, v106
	v_dual_cndmask_b32 v104, v106, v104 :: v_dual_and_b32 v95, 7, v95
	s_delay_alu instid0(VALU_DEP_1) | instskip(NEXT) | instid1(VALU_DEP_2)
	v_cndmask_b32_e32 v15, v15, v95, vcc_lo
	v_lshl_add_u32 v95, v104, 23, 0x3b800000
	s_delay_alu instid0(VALU_DEP_2) | instskip(NEXT) | instid1(VALU_DEP_1)
	v_lshlrev_b32_e32 v15, 20, v15
	v_or3_b32 v15, v11, v95, v15
.LBB6_2241:                             ;   in Loop: Header=BB6_394 Depth=4
	s_or_b32 exec_lo, exec_lo, s36
	s_delay_alu instid0(VALU_DEP_1) | instskip(SKIP_1) | instid1(VALU_DEP_1)
	v_max_f32_e32 v11, v15, v15
	v_max_f32_e32 v15, v105, v105
	v_min_f32_e32 v105, v15, v11
.LBB6_2242:                             ;   in Loop: Header=BB6_394 Depth=4
	s_delay_alu instid0(VALU_DEP_1) | instskip(NEXT) | instid1(VALU_DEP_1)
	v_and_b32_e32 v11, 0x7f800000, v105
	v_cmp_ne_u32_e32 vcc_lo, 0x7f800000, v11
	v_mov_b32_e32 v11, 0x8000
	s_and_saveexec_b32 s36, vcc_lo
	s_cbranch_execz .LBB6_393
; %bb.2243:                             ;   in Loop: Header=BB6_394 Depth=4
	v_mov_b32_e32 v11, 0
	s_mov_b32 s37, exec_lo
	v_cmpx_ne_u32_e32 0, v105
	s_cbranch_execz .LBB6_392
; %bb.2244:                             ;   in Loop: Header=BB6_394 Depth=4
	v_bfe_u32 v11, v105, 23, 8
	v_and_b32_e32 v15, 0x7fffff, v105
	s_delay_alu instid0(VALU_DEP_2) | instskip(SKIP_1) | instid1(VALU_DEP_3)
	v_sub_nc_u32_e32 v95, 0x78, v11
	v_cmp_gt_u32_e32 vcc_lo, 0x79, v11
	v_or_b32_e32 v104, 0x800000, v15
	s_delay_alu instid0(VALU_DEP_3) | instskip(SKIP_2) | instid1(VALU_DEP_3)
	v_cndmask_b32_e32 v95, 0, v95, vcc_lo
	v_cmp_eq_u32_e32 vcc_lo, 0, v11
	v_add_nc_u32_e32 v11, 0xffffff89, v11
	v_cndmask_b32_e64 v95, v95, 0x77, vcc_lo
	v_cndmask_b32_e32 v15, v104, v15, vcc_lo
	s_delay_alu instid0(VALU_DEP_3) | instskip(NEXT) | instid1(VALU_DEP_3)
	v_cndmask_b32_e64 v11, v11, 0xffffff8a, vcc_lo
	v_lshl_add_u32 v104, 0x100000, v95, -1
	s_delay_alu instid0(VALU_DEP_3) | instskip(SKIP_1) | instid1(VALU_DEP_4)
	v_lshrrev_b32_e32 v106, v95, v15
	v_lshlrev_b32_e64 v108, v95, 0x80000
	v_add_nc_u32_e32 v95, v95, v11
	s_delay_alu instid0(VALU_DEP_4) | instskip(NEXT) | instid1(VALU_DEP_4)
	v_and_b32_e32 v15, v104, v15
	v_bfe_u32 v107, v106, 20, 1
	s_delay_alu instid0(VALU_DEP_2) | instskip(NEXT) | instid1(VALU_DEP_2)
	v_cmp_eq_u32_e64 s13, v15, v108
	v_add_nc_u32_e32 v104, -1, v107
	s_delay_alu instid0(VALU_DEP_1) | instskip(SKIP_2) | instid1(VALU_DEP_2)
	v_cndmask_b32_e64 v15, 0, v104, s13
	v_lshrrev_b32_e32 v104, 23, v106
	s_mov_b32 s13, exec_lo
	v_add_nc_u32_e32 v15, v15, v106
	s_delay_alu instid0(VALU_DEP_2) | instskip(NEXT) | instid1(VALU_DEP_2)
	v_xor_b32_e32 v104, 1, v104
	v_and_b32_e32 v11, 0xfffff, v15
	s_delay_alu instid0(VALU_DEP_1) | instskip(NEXT) | instid1(VALU_DEP_3)
	v_add_nc_u32_e32 v15, v11, v106
                                        ; implicit-def: $vgpr11
	v_cmpx_ne_u32_e64 v95, v104
	s_xor_b32 s13, exec_lo, s13
; %bb.2245:                             ;   in Loop: Header=BB6_394 Depth=4
	s_delay_alu instid0(VALU_DEP_2) | instskip(SKIP_2) | instid1(VALU_DEP_2)
	v_cmp_lt_u32_e32 vcc_lo, 0xffffff, v15
	v_sub_nc_u32_e32 v11, v95, v104
	v_cndmask_b32_e64 v95, 0, 1, vcc_lo
	v_add_co_ci_u32_e32 v11, vcc_lo, 0, v11, vcc_lo
	s_delay_alu instid0(VALU_DEP_2)
	v_lshrrev_b32_e32 v15, v95, v15
; %bb.2246:                             ;   in Loop: Header=BB6_394 Depth=4
	s_and_not1_saveexec_b32 s13, s13
	s_cbranch_execz .LBB6_391
; %bb.2247:                             ;   in Loop: Header=BB6_394 Depth=4
	s_delay_alu instid0(VALU_DEP_1)
	v_bfe_u32 v11, v15, 23, 1
	s_branch .LBB6_391
.LBB6_2248:                             ;   in Loop: Header=BB6_394 Depth=4
	s_mov_b32 s36, -1
	s_mov_b32 s38, exec_lo
                                        ; implicit-def: $sgpr37
	v_cmpx_eq_u16_e64 0x80, v182
; %bb.2249:                             ;   in Loop: Header=BB6_394 Depth=4
	s_mov_b32 s37, 0x7f800001
	s_xor_b32 s36, exec_lo, -1
; %bb.2250:                             ;   in Loop: Header=BB6_394 Depth=4
	s_or_b32 exec_lo, exec_lo, s38
	s_delay_alu instid0(SALU_CYCLE_1)
	s_and_b32 s36, s36, exec_lo
	s_or_saveexec_b32 s13, s13
	v_mov_b32_e32 v183, s37
	s_xor_b32 exec_lo, exec_lo, s13
	s_cbranch_execz .LBB6_397
.LBB6_2251:                             ;   in Loop: Header=BB6_394 Depth=4
	v_cmp_ne_u16_e64 vcc_lo, 0, v182
	v_mov_b32_e32 v183, 0
	s_and_not1_b32 s36, s36, exec_lo
	s_delay_alu instid0(VALU_DEP_2) | instskip(NEXT) | instid1(SALU_CYCLE_1)
	s_and_b32 vcc_lo, vcc_lo, exec_lo
	s_or_b32 s36, s36, vcc_lo
	s_or_b32 exec_lo, exec_lo, s13
	s_and_saveexec_b32 s13, s36
	s_cbranch_execnz .LBB6_398
	s_branch .LBB6_399
.LBB6_2252:                             ;   in Loop: Header=BB6_394 Depth=4
	s_mov_b32 s13, -1
	s_mov_b32 s38, exec_lo
                                        ; implicit-def: $sgpr36
	v_cmpx_eq_u16_e32 0x80, v41
; %bb.2253:                             ;   in Loop: Header=BB6_394 Depth=4
	s_mov_b32 s36, 0x7f800001
	s_xor_b32 s13, exec_lo, -1
; %bb.2254:                             ;   in Loop: Header=BB6_394 Depth=4
	s_or_b32 exec_lo, exec_lo, s38
	s_delay_alu instid0(SALU_CYCLE_1)
	s_and_b32 s13, s13, exec_lo
                                        ; implicit-def: $vgpr41
	s_or_saveexec_b32 s37, s37
	v_mov_b32_e32 v40, s36
	s_xor_b32 exec_lo, exec_lo, s37
	s_cbranch_execz .LBB6_401
.LBB6_2255:                             ;   in Loop: Header=BB6_394 Depth=4
	v_cmp_ne_u16_e32 vcc_lo, 0, v41
	v_mov_b32_e32 v40, 0
	s_and_not1_b32 s13, s13, exec_lo
	s_and_b32 vcc_lo, vcc_lo, exec_lo
	s_delay_alu instid0(SALU_CYCLE_1)
	s_or_b32 s13, s13, vcc_lo
	s_or_b32 exec_lo, exec_lo, s37
	s_and_saveexec_b32 s36, s13
	s_cbranch_execnz .LBB6_402
	s_branch .LBB6_403
.LBB6_2256:                             ;   in Loop: Header=BB6_394 Depth=4
	s_mov_b32 s13, -1
	s_mov_b32 s38, exec_lo
                                        ; implicit-def: $sgpr36
	v_cmpx_eq_u16_e64 0x80, v182
; %bb.2257:                             ;   in Loop: Header=BB6_394 Depth=4
	s_mov_b32 s36, 0x7f800001
	s_xor_b32 s13, exec_lo, -1
; %bb.2258:                             ;   in Loop: Header=BB6_394 Depth=4
	s_or_b32 exec_lo, exec_lo, s38
	s_delay_alu instid0(SALU_CYCLE_1)
	s_and_b32 s13, s13, exec_lo
                                        ; implicit-def: $vgpr182
	s_or_saveexec_b32 s37, s37
	v_mov_b32_e32 v183, s36
	s_xor_b32 exec_lo, exec_lo, s37
	s_cbranch_execz .LBB6_408
.LBB6_2259:                             ;   in Loop: Header=BB6_394 Depth=4
	v_cmp_ne_u16_e64 vcc_lo, 0, v182
	v_mov_b32_e32 v183, 0
	s_and_not1_b32 s13, s13, exec_lo
	s_delay_alu instid0(VALU_DEP_2) | instskip(NEXT) | instid1(SALU_CYCLE_1)
	s_and_b32 vcc_lo, vcc_lo, exec_lo
	s_or_b32 s13, s13, vcc_lo
	s_or_b32 exec_lo, exec_lo, s37
	s_and_saveexec_b32 s36, s13
	s_cbranch_execnz .LBB6_409
	s_branch .LBB6_410
.LBB6_2260:                             ;   in Loop: Header=BB6_394 Depth=4
	s_mov_b32 s13, -1
	s_mov_b32 s38, exec_lo
                                        ; implicit-def: $sgpr36
	v_cmpx_eq_u16_e32 0x80, v40
; %bb.2261:                             ;   in Loop: Header=BB6_394 Depth=4
	s_mov_b32 s36, 0x7f800001
	s_xor_b32 s13, exec_lo, -1
; %bb.2262:                             ;   in Loop: Header=BB6_394 Depth=4
	s_or_b32 exec_lo, exec_lo, s38
	s_delay_alu instid0(SALU_CYCLE_1)
	s_and_b32 s13, s13, exec_lo
                                        ; implicit-def: $vgpr40
	s_or_saveexec_b32 s37, s37
	v_mov_b32_e32 v182, s36
	s_xor_b32 exec_lo, exec_lo, s37
	s_cbranch_execz .LBB6_412
.LBB6_2263:                             ;   in Loop: Header=BB6_394 Depth=4
	v_cmp_ne_u16_e32 vcc_lo, 0, v40
	v_mov_b32_e32 v182, 0
	s_and_not1_b32 s13, s13, exec_lo
	s_and_b32 vcc_lo, vcc_lo, exec_lo
	s_delay_alu instid0(SALU_CYCLE_1)
	s_or_b32 s13, s13, vcc_lo
	s_or_b32 exec_lo, exec_lo, s37
	s_and_saveexec_b32 s36, s13
	s_cbranch_execnz .LBB6_413
	s_branch .LBB6_414
.LBB6_2264:                             ;   in Loop: Header=BB6_394 Depth=4
	s_mov_b32 s36, -1
	s_mov_b32 s38, exec_lo
                                        ; implicit-def: $sgpr37
	v_cmpx_eq_u16_e32 0x80, v40
; %bb.2265:                             ;   in Loop: Header=BB6_394 Depth=4
	s_mov_b32 s37, 0x7f800001
	s_xor_b32 s36, exec_lo, -1
; %bb.2266:                             ;   in Loop: Header=BB6_394 Depth=4
	s_or_b32 exec_lo, exec_lo, s38
	s_delay_alu instid0(SALU_CYCLE_1)
	s_and_b32 s36, s36, exec_lo
	s_or_saveexec_b32 s13, s13
	v_mov_b32_e32 v41, s37
	s_xor_b32 exec_lo, exec_lo, s13
	s_cbranch_execz .LBB6_426
.LBB6_2267:                             ;   in Loop: Header=BB6_394 Depth=4
	v_cmp_ne_u16_e32 vcc_lo, 0, v40
	v_mov_b32_e32 v41, 0
	s_and_not1_b32 s36, s36, exec_lo
	s_and_b32 vcc_lo, vcc_lo, exec_lo
	s_delay_alu instid0(SALU_CYCLE_1)
	s_or_b32 s36, s36, vcc_lo
	s_or_b32 exec_lo, exec_lo, s13
	s_and_saveexec_b32 s13, s36
	s_cbranch_execnz .LBB6_427
	s_branch .LBB6_428
.LBB6_2268:                             ;   in Loop: Header=BB6_394 Depth=4
	s_mov_b32 s13, -1
	s_mov_b32 s38, exec_lo
                                        ; implicit-def: $sgpr36
	v_cmpx_eq_u16_e64 0x80, v183
; %bb.2269:                             ;   in Loop: Header=BB6_394 Depth=4
	s_mov_b32 s36, 0x7f800001
	s_xor_b32 s13, exec_lo, -1
; %bb.2270:                             ;   in Loop: Header=BB6_394 Depth=4
	s_or_b32 exec_lo, exec_lo, s38
	s_delay_alu instid0(SALU_CYCLE_1)
	s_and_b32 s13, s13, exec_lo
	s_or_saveexec_b32 s37, s37
	v_mov_b32_e32 v42, s36
	s_xor_b32 exec_lo, exec_lo, s37
	s_cbranch_execz .LBB6_430
.LBB6_2271:                             ;   in Loop: Header=BB6_394 Depth=4
	v_cmp_ne_u16_e64 vcc_lo, 0, v183
	v_mov_b32_e32 v42, 0
	s_and_not1_b32 s13, s13, exec_lo
	s_delay_alu instid0(VALU_DEP_2) | instskip(NEXT) | instid1(SALU_CYCLE_1)
	s_and_b32 vcc_lo, vcc_lo, exec_lo
	s_or_b32 s13, s13, vcc_lo
	s_or_b32 exec_lo, exec_lo, s37
	s_and_saveexec_b32 s36, s13
	s_cbranch_execnz .LBB6_431
	s_branch .LBB6_432
.LBB6_2272:                             ;   in Loop: Header=BB6_394 Depth=4
	s_mov_b32 s13, -1
	s_mov_b32 s38, exec_lo
                                        ; implicit-def: $sgpr36
	v_cmpx_eq_u16_e32 0x80, v40
; %bb.2273:                             ;   in Loop: Header=BB6_394 Depth=4
	s_mov_b32 s36, 0x7f800001
	s_xor_b32 s13, exec_lo, -1
; %bb.2274:                             ;   in Loop: Header=BB6_394 Depth=4
	s_or_b32 exec_lo, exec_lo, s38
	s_delay_alu instid0(SALU_CYCLE_1)
	s_and_b32 s13, s13, exec_lo
	s_or_saveexec_b32 s37, s37
	v_mov_b32_e32 v41, s36
	s_xor_b32 exec_lo, exec_lo, s37
	s_cbranch_execz .LBB6_437
.LBB6_2275:                             ;   in Loop: Header=BB6_394 Depth=4
	v_cmp_ne_u16_e32 vcc_lo, 0, v40
	v_mov_b32_e32 v41, 0
	s_and_not1_b32 s13, s13, exec_lo
	s_and_b32 vcc_lo, vcc_lo, exec_lo
	s_delay_alu instid0(SALU_CYCLE_1)
	s_or_b32 s13, s13, vcc_lo
	s_or_b32 exec_lo, exec_lo, s37
	s_and_saveexec_b32 s36, s13
	s_cbranch_execnz .LBB6_438
	s_branch .LBB6_439
.LBB6_2276:                             ;   in Loop: Header=BB6_394 Depth=4
	s_mov_b32 s13, -1
	s_mov_b32 s38, exec_lo
                                        ; implicit-def: $sgpr36
	v_cmpx_eq_u16_e64 0x80, v183
; %bb.2277:                             ;   in Loop: Header=BB6_394 Depth=4
	s_mov_b32 s36, 0x7f800001
	s_xor_b32 s13, exec_lo, -1
; %bb.2278:                             ;   in Loop: Header=BB6_394 Depth=4
	s_or_b32 exec_lo, exec_lo, s38
	s_delay_alu instid0(SALU_CYCLE_1)
	s_and_b32 s13, s13, exec_lo
	s_or_saveexec_b32 s37, s37
	v_mov_b32_e32 v40, s36
	s_xor_b32 exec_lo, exec_lo, s37
	s_cbranch_execz .LBB6_441
.LBB6_2279:                             ;   in Loop: Header=BB6_394 Depth=4
	v_cmp_ne_u16_e64 vcc_lo, 0, v183
	v_mov_b32_e32 v40, 0
	s_and_not1_b32 s13, s13, exec_lo
	s_delay_alu instid0(VALU_DEP_2) | instskip(NEXT) | instid1(SALU_CYCLE_1)
	s_and_b32 vcc_lo, vcc_lo, exec_lo
	s_or_b32 s13, s13, vcc_lo
	s_or_b32 exec_lo, exec_lo, s37
	s_and_saveexec_b32 s36, s13
	s_cbranch_execnz .LBB6_442
	s_branch .LBB6_443
.LBB6_2280:                             ;   in Loop: Header=BB6_394 Depth=4
	s_mov_b32 s36, -1
	s_mov_b32 s38, exec_lo
                                        ; implicit-def: $sgpr37
	v_cmpx_eq_u16_e32 0x80, v42
; %bb.2281:                             ;   in Loop: Header=BB6_394 Depth=4
	s_mov_b32 s37, 0x7f800001
	s_xor_b32 s36, exec_lo, -1
; %bb.2282:                             ;   in Loop: Header=BB6_394 Depth=4
	s_or_b32 exec_lo, exec_lo, s38
	s_delay_alu instid0(SALU_CYCLE_1)
	s_and_b32 s36, s36, exec_lo
	s_or_saveexec_b32 s13, s13
	v_mov_b32_e32 v43, s37
	s_xor_b32 exec_lo, exec_lo, s13
	s_cbranch_execz .LBB6_455
.LBB6_2283:                             ;   in Loop: Header=BB6_394 Depth=4
	v_cmp_ne_u16_e32 vcc_lo, 0, v42
	v_mov_b32_e32 v43, 0
	s_and_not1_b32 s36, s36, exec_lo
	s_and_b32 vcc_lo, vcc_lo, exec_lo
	s_delay_alu instid0(SALU_CYCLE_1)
	s_or_b32 s36, s36, vcc_lo
	s_or_b32 exec_lo, exec_lo, s13
	s_and_saveexec_b32 s13, s36
	s_cbranch_execnz .LBB6_456
	s_branch .LBB6_457
.LBB6_2284:                             ;   in Loop: Header=BB6_394 Depth=4
	s_mov_b32 s13, -1
	s_mov_b32 s38, exec_lo
                                        ; implicit-def: $sgpr36
	v_cmpx_eq_u16_e32 0x80, v45
; %bb.2285:                             ;   in Loop: Header=BB6_394 Depth=4
	s_mov_b32 s36, 0x7f800001
	s_xor_b32 s13, exec_lo, -1
; %bb.2286:                             ;   in Loop: Header=BB6_394 Depth=4
	s_or_b32 exec_lo, exec_lo, s38
	s_delay_alu instid0(SALU_CYCLE_1)
	s_and_b32 s13, s13, exec_lo
                                        ; implicit-def: $vgpr45
	s_or_saveexec_b32 s37, s37
	v_mov_b32_e32 v44, s36
	s_xor_b32 exec_lo, exec_lo, s37
	s_cbranch_execz .LBB6_459
.LBB6_2287:                             ;   in Loop: Header=BB6_394 Depth=4
	v_cmp_ne_u16_e32 vcc_lo, 0, v45
	v_mov_b32_e32 v44, 0
	s_and_not1_b32 s13, s13, exec_lo
	s_and_b32 vcc_lo, vcc_lo, exec_lo
	s_delay_alu instid0(SALU_CYCLE_1)
	s_or_b32 s13, s13, vcc_lo
	s_or_b32 exec_lo, exec_lo, s37
	s_and_saveexec_b32 s36, s13
	s_cbranch_execnz .LBB6_460
	s_branch .LBB6_461
.LBB6_2288:                             ;   in Loop: Header=BB6_394 Depth=4
	s_mov_b32 s13, -1
	s_mov_b32 s38, exec_lo
                                        ; implicit-def: $sgpr36
	v_cmpx_eq_u16_e32 0x80, v42
; %bb.2289:                             ;   in Loop: Header=BB6_394 Depth=4
	s_mov_b32 s36, 0x7f800001
	s_xor_b32 s13, exec_lo, -1
; %bb.2290:                             ;   in Loop: Header=BB6_394 Depth=4
	s_or_b32 exec_lo, exec_lo, s38
	s_delay_alu instid0(SALU_CYCLE_1)
	s_and_b32 s13, s13, exec_lo
                                        ; implicit-def: $vgpr42
	s_or_saveexec_b32 s37, s37
	v_mov_b32_e32 v43, s36
	s_xor_b32 exec_lo, exec_lo, s37
	s_cbranch_execz .LBB6_466
.LBB6_2291:                             ;   in Loop: Header=BB6_394 Depth=4
	v_cmp_ne_u16_e32 vcc_lo, 0, v42
	v_mov_b32_e32 v43, 0
	s_and_not1_b32 s13, s13, exec_lo
	s_and_b32 vcc_lo, vcc_lo, exec_lo
	s_delay_alu instid0(SALU_CYCLE_1)
	s_or_b32 s13, s13, vcc_lo
	s_or_b32 exec_lo, exec_lo, s37
	s_and_saveexec_b32 s36, s13
	s_cbranch_execnz .LBB6_467
	s_branch .LBB6_468
.LBB6_2292:                             ;   in Loop: Header=BB6_394 Depth=4
	s_mov_b32 s13, -1
	s_mov_b32 s38, exec_lo
                                        ; implicit-def: $sgpr36
	v_cmpx_eq_u16_e32 0x80, v42
; %bb.2293:                             ;   in Loop: Header=BB6_394 Depth=4
	s_mov_b32 s36, 0x7f800001
	s_xor_b32 s13, exec_lo, -1
; %bb.2294:                             ;   in Loop: Header=BB6_394 Depth=4
	s_or_b32 exec_lo, exec_lo, s38
	s_delay_alu instid0(SALU_CYCLE_1)
	s_and_b32 s13, s13, exec_lo
                                        ; implicit-def: $vgpr42
	s_or_saveexec_b32 s37, s37
	v_mov_b32_e32 v41, s36
	s_xor_b32 exec_lo, exec_lo, s37
	s_cbranch_execz .LBB6_470
.LBB6_2295:                             ;   in Loop: Header=BB6_394 Depth=4
	v_cmp_ne_u16_e32 vcc_lo, 0, v42
	v_mov_b32_e32 v41, 0
	s_and_not1_b32 s13, s13, exec_lo
	s_and_b32 vcc_lo, vcc_lo, exec_lo
	s_delay_alu instid0(SALU_CYCLE_1)
	s_or_b32 s13, s13, vcc_lo
	s_or_b32 exec_lo, exec_lo, s37
	s_and_saveexec_b32 s36, s13
	s_cbranch_execnz .LBB6_471
	s_branch .LBB6_472
.LBB6_2296:                             ;   in Loop: Header=BB6_394 Depth=4
	s_mov_b32 s36, -1
	s_mov_b32 s38, exec_lo
                                        ; implicit-def: $sgpr37
	v_cmpx_eq_u16_e32 0x80, v42
; %bb.2297:                             ;   in Loop: Header=BB6_394 Depth=4
	s_mov_b32 s37, 0x7f800001
	s_xor_b32 s36, exec_lo, -1
; %bb.2298:                             ;   in Loop: Header=BB6_394 Depth=4
	s_or_b32 exec_lo, exec_lo, s38
	s_delay_alu instid0(SALU_CYCLE_1)
	s_and_b32 s36, s36, exec_lo
	s_or_saveexec_b32 s13, s13
	v_mov_b32_e32 v43, s37
	s_xor_b32 exec_lo, exec_lo, s13
	s_cbranch_execz .LBB6_484
.LBB6_2299:                             ;   in Loop: Header=BB6_394 Depth=4
	v_cmp_ne_u16_e32 vcc_lo, 0, v42
	v_mov_b32_e32 v43, 0
	s_and_not1_b32 s36, s36, exec_lo
	s_and_b32 vcc_lo, vcc_lo, exec_lo
	s_delay_alu instid0(SALU_CYCLE_1)
	s_or_b32 s36, s36, vcc_lo
	s_or_b32 exec_lo, exec_lo, s13
	s_and_saveexec_b32 s13, s36
	s_cbranch_execnz .LBB6_485
	s_branch .LBB6_486
.LBB6_2300:                             ;   in Loop: Header=BB6_394 Depth=4
	s_mov_b32 s13, -1
	s_mov_b32 s38, exec_lo
                                        ; implicit-def: $sgpr36
	v_cmpx_eq_u16_e32 0x80, v41
; %bb.2301:                             ;   in Loop: Header=BB6_394 Depth=4
	s_mov_b32 s36, 0x7f800001
	s_xor_b32 s13, exec_lo, -1
; %bb.2302:                             ;   in Loop: Header=BB6_394 Depth=4
	s_or_b32 exec_lo, exec_lo, s38
	s_delay_alu instid0(SALU_CYCLE_1)
	s_and_b32 s13, s13, exec_lo
	s_or_saveexec_b32 s37, s37
	v_mov_b32_e32 v44, s36
	s_xor_b32 exec_lo, exec_lo, s37
	s_cbranch_execz .LBB6_488
.LBB6_2303:                             ;   in Loop: Header=BB6_394 Depth=4
	v_cmp_ne_u16_e32 vcc_lo, 0, v41
	v_mov_b32_e32 v44, 0
	s_and_not1_b32 s13, s13, exec_lo
	s_and_b32 vcc_lo, vcc_lo, exec_lo
	s_delay_alu instid0(SALU_CYCLE_1)
	s_or_b32 s13, s13, vcc_lo
	s_or_b32 exec_lo, exec_lo, s37
	s_and_saveexec_b32 s36, s13
	s_cbranch_execnz .LBB6_489
	s_branch .LBB6_490
.LBB6_2304:                             ;   in Loop: Header=BB6_394 Depth=4
	s_mov_b32 s13, -1
	s_mov_b32 s38, exec_lo
                                        ; implicit-def: $sgpr36
	v_cmpx_eq_u16_e32 0x80, v42
; %bb.2305:                             ;   in Loop: Header=BB6_394 Depth=4
	s_mov_b32 s36, 0x7f800001
	s_xor_b32 s13, exec_lo, -1
; %bb.2306:                             ;   in Loop: Header=BB6_394 Depth=4
	s_or_b32 exec_lo, exec_lo, s38
	s_delay_alu instid0(SALU_CYCLE_1)
	s_and_b32 s13, s13, exec_lo
	s_or_saveexec_b32 s37, s37
	v_mov_b32_e32 v43, s36
	s_xor_b32 exec_lo, exec_lo, s37
	s_cbranch_execz .LBB6_495
.LBB6_2307:                             ;   in Loop: Header=BB6_394 Depth=4
	v_cmp_ne_u16_e32 vcc_lo, 0, v42
	v_mov_b32_e32 v43, 0
	s_and_not1_b32 s13, s13, exec_lo
	s_and_b32 vcc_lo, vcc_lo, exec_lo
	s_delay_alu instid0(SALU_CYCLE_1)
	s_or_b32 s13, s13, vcc_lo
	s_or_b32 exec_lo, exec_lo, s37
	s_and_saveexec_b32 s36, s13
	s_cbranch_execnz .LBB6_496
	s_branch .LBB6_497
.LBB6_2308:                             ;   in Loop: Header=BB6_394 Depth=4
	s_mov_b32 s13, -1
	s_mov_b32 s38, exec_lo
                                        ; implicit-def: $sgpr36
	v_cmpx_eq_u16_e32 0x80, v41
; %bb.2309:                             ;   in Loop: Header=BB6_394 Depth=4
	s_mov_b32 s36, 0x7f800001
	s_xor_b32 s13, exec_lo, -1
; %bb.2310:                             ;   in Loop: Header=BB6_394 Depth=4
	s_or_b32 exec_lo, exec_lo, s38
	s_delay_alu instid0(SALU_CYCLE_1)
	s_and_b32 s13, s13, exec_lo
	s_or_saveexec_b32 s37, s37
	v_mov_b32_e32 v48, s36
	s_xor_b32 exec_lo, exec_lo, s37
	s_cbranch_execz .LBB6_499
.LBB6_2311:                             ;   in Loop: Header=BB6_394 Depth=4
	v_cmp_ne_u16_e32 vcc_lo, 0, v41
	v_mov_b32_e32 v48, 0
	s_and_not1_b32 s13, s13, exec_lo
	s_and_b32 vcc_lo, vcc_lo, exec_lo
	s_delay_alu instid0(SALU_CYCLE_1)
	s_or_b32 s13, s13, vcc_lo
	s_or_b32 exec_lo, exec_lo, s37
	s_and_saveexec_b32 s36, s13
	s_cbranch_execnz .LBB6_500
	s_branch .LBB6_501
.LBB6_2312:                             ;   in Loop: Header=BB6_394 Depth=4
	s_mov_b32 s36, -1
	s_mov_b32 s38, exec_lo
                                        ; implicit-def: $sgpr37
	v_cmpx_eq_u16_e32 0x80, v48
; %bb.2313:                             ;   in Loop: Header=BB6_394 Depth=4
	s_mov_b32 s37, 0x7f800001
	s_xor_b32 s36, exec_lo, -1
; %bb.2314:                             ;   in Loop: Header=BB6_394 Depth=4
	s_or_b32 exec_lo, exec_lo, s38
	s_delay_alu instid0(SALU_CYCLE_1)
	s_and_b32 s36, s36, exec_lo
	s_or_saveexec_b32 s13, s13
	v_mov_b32_e32 v41, s37
	s_xor_b32 exec_lo, exec_lo, s13
	s_cbranch_execz .LBB6_513
.LBB6_2315:                             ;   in Loop: Header=BB6_394 Depth=4
	v_cmp_ne_u16_e32 vcc_lo, 0, v48
	v_mov_b32_e32 v41, 0
	s_and_not1_b32 s36, s36, exec_lo
	s_and_b32 vcc_lo, vcc_lo, exec_lo
	s_delay_alu instid0(SALU_CYCLE_1)
	s_or_b32 s36, s36, vcc_lo
	s_or_b32 exec_lo, exec_lo, s13
	s_and_saveexec_b32 s13, s36
	s_cbranch_execnz .LBB6_514
	s_branch .LBB6_515
.LBB6_2316:                             ;   in Loop: Header=BB6_394 Depth=4
	s_mov_b32 s13, -1
	s_mov_b32 s38, exec_lo
                                        ; implicit-def: $sgpr36
	v_cmpx_eq_u16_e32 0x80, v43
; %bb.2317:                             ;   in Loop: Header=BB6_394 Depth=4
	s_mov_b32 s36, 0x7f800001
	s_xor_b32 s13, exec_lo, -1
; %bb.2318:                             ;   in Loop: Header=BB6_394 Depth=4
	s_or_b32 exec_lo, exec_lo, s38
	s_delay_alu instid0(SALU_CYCLE_1)
	s_and_b32 s13, s13, exec_lo
                                        ; implicit-def: $vgpr43
	s_or_saveexec_b32 s37, s37
	v_mov_b32_e32 v42, s36
	s_xor_b32 exec_lo, exec_lo, s37
	s_cbranch_execz .LBB6_517
.LBB6_2319:                             ;   in Loop: Header=BB6_394 Depth=4
	v_cmp_ne_u16_e32 vcc_lo, 0, v43
	v_mov_b32_e32 v42, 0
	s_and_not1_b32 s13, s13, exec_lo
	s_and_b32 vcc_lo, vcc_lo, exec_lo
	s_delay_alu instid0(SALU_CYCLE_1)
	s_or_b32 s13, s13, vcc_lo
	s_or_b32 exec_lo, exec_lo, s37
	s_and_saveexec_b32 s36, s13
	s_cbranch_execnz .LBB6_518
	s_branch .LBB6_519
.LBB6_2320:                             ;   in Loop: Header=BB6_394 Depth=4
	s_mov_b32 s13, -1
	s_mov_b32 s38, exec_lo
                                        ; implicit-def: $sgpr36
	v_cmpx_eq_u16_e32 0x80, v48
; %bb.2321:                             ;   in Loop: Header=BB6_394 Depth=4
	s_mov_b32 s36, 0x7f800001
	s_xor_b32 s13, exec_lo, -1
; %bb.2322:                             ;   in Loop: Header=BB6_394 Depth=4
	s_or_b32 exec_lo, exec_lo, s38
	s_delay_alu instid0(SALU_CYCLE_1)
	s_and_b32 s13, s13, exec_lo
                                        ; implicit-def: $vgpr48
	s_or_saveexec_b32 s37, s37
	v_mov_b32_e32 v41, s36
	s_xor_b32 exec_lo, exec_lo, s37
	s_cbranch_execz .LBB6_524
.LBB6_2323:                             ;   in Loop: Header=BB6_394 Depth=4
	v_cmp_ne_u16_e32 vcc_lo, 0, v48
	v_mov_b32_e32 v41, 0
	s_and_not1_b32 s13, s13, exec_lo
	s_and_b32 vcc_lo, vcc_lo, exec_lo
	s_delay_alu instid0(SALU_CYCLE_1)
	s_or_b32 s13, s13, vcc_lo
	s_or_b32 exec_lo, exec_lo, s37
	s_and_saveexec_b32 s36, s13
	s_cbranch_execnz .LBB6_525
	s_branch .LBB6_526
.LBB6_2324:                             ;   in Loop: Header=BB6_394 Depth=4
	s_mov_b32 s13, -1
	s_mov_b32 s38, exec_lo
                                        ; implicit-def: $sgpr36
	v_cmpx_eq_u16_e32 0x80, v42
; %bb.2325:                             ;   in Loop: Header=BB6_394 Depth=4
	s_mov_b32 s36, 0x7f800001
	s_xor_b32 s13, exec_lo, -1
; %bb.2326:                             ;   in Loop: Header=BB6_394 Depth=4
	s_or_b32 exec_lo, exec_lo, s38
	s_delay_alu instid0(SALU_CYCLE_1)
	s_and_b32 s13, s13, exec_lo
                                        ; implicit-def: $vgpr42
	s_or_saveexec_b32 s37, s37
	v_mov_b32_e32 v48, s36
	s_xor_b32 exec_lo, exec_lo, s37
	s_cbranch_execz .LBB6_528
.LBB6_2327:                             ;   in Loop: Header=BB6_394 Depth=4
	v_cmp_ne_u16_e32 vcc_lo, 0, v42
	v_mov_b32_e32 v48, 0
	s_and_not1_b32 s13, s13, exec_lo
	s_and_b32 vcc_lo, vcc_lo, exec_lo
	s_delay_alu instid0(SALU_CYCLE_1)
	s_or_b32 s13, s13, vcc_lo
	s_or_b32 exec_lo, exec_lo, s37
	s_and_saveexec_b32 s36, s13
	s_cbranch_execnz .LBB6_529
	s_branch .LBB6_530
.LBB6_2328:                             ;   in Loop: Header=BB6_394 Depth=4
	s_mov_b32 s36, -1
	s_mov_b32 s38, exec_lo
                                        ; implicit-def: $sgpr37
	v_cmpx_eq_u16_e32 0x80, v42
; %bb.2329:                             ;   in Loop: Header=BB6_394 Depth=4
	s_mov_b32 s37, 0x7f800001
	s_xor_b32 s36, exec_lo, -1
; %bb.2330:                             ;   in Loop: Header=BB6_394 Depth=4
	s_or_b32 exec_lo, exec_lo, s38
	s_delay_alu instid0(SALU_CYCLE_1)
	s_and_b32 s36, s36, exec_lo
	s_or_saveexec_b32 s13, s13
	v_mov_b32_e32 v43, s37
	s_xor_b32 exec_lo, exec_lo, s13
	s_cbranch_execz .LBB6_542
.LBB6_2331:                             ;   in Loop: Header=BB6_394 Depth=4
	v_cmp_ne_u16_e32 vcc_lo, 0, v42
	v_mov_b32_e32 v43, 0
	s_and_not1_b32 s36, s36, exec_lo
	s_and_b32 vcc_lo, vcc_lo, exec_lo
	s_delay_alu instid0(SALU_CYCLE_1)
	s_or_b32 s36, s36, vcc_lo
	s_or_b32 exec_lo, exec_lo, s13
	s_and_saveexec_b32 s13, s36
	s_cbranch_execnz .LBB6_543
	s_branch .LBB6_544
.LBB6_2332:                             ;   in Loop: Header=BB6_394 Depth=4
	s_mov_b32 s13, -1
	s_mov_b32 s38, exec_lo
                                        ; implicit-def: $sgpr36
	v_cmpx_eq_u16_e32 0x80, v41
; %bb.2333:                             ;   in Loop: Header=BB6_394 Depth=4
	s_mov_b32 s36, 0x7f800001
	s_xor_b32 s13, exec_lo, -1
; %bb.2334:                             ;   in Loop: Header=BB6_394 Depth=4
	s_or_b32 exec_lo, exec_lo, s38
	s_delay_alu instid0(SALU_CYCLE_1)
	s_and_b32 s13, s13, exec_lo
	s_or_saveexec_b32 s37, s37
	v_mov_b32_e32 v44, s36
	s_xor_b32 exec_lo, exec_lo, s37
	s_cbranch_execz .LBB6_546
.LBB6_2335:                             ;   in Loop: Header=BB6_394 Depth=4
	v_cmp_ne_u16_e32 vcc_lo, 0, v41
	v_mov_b32_e32 v44, 0
	s_and_not1_b32 s13, s13, exec_lo
	s_and_b32 vcc_lo, vcc_lo, exec_lo
	s_delay_alu instid0(SALU_CYCLE_1)
	s_or_b32 s13, s13, vcc_lo
	s_or_b32 exec_lo, exec_lo, s37
	s_and_saveexec_b32 s36, s13
	s_cbranch_execnz .LBB6_547
	s_branch .LBB6_548
.LBB6_2336:                             ;   in Loop: Header=BB6_394 Depth=4
	s_mov_b32 s13, -1
	s_mov_b32 s38, exec_lo
                                        ; implicit-def: $sgpr36
	v_cmpx_eq_u16_e32 0x80, v42
; %bb.2337:                             ;   in Loop: Header=BB6_394 Depth=4
	s_mov_b32 s36, 0x7f800001
	s_xor_b32 s13, exec_lo, -1
; %bb.2338:                             ;   in Loop: Header=BB6_394 Depth=4
	s_or_b32 exec_lo, exec_lo, s38
	s_delay_alu instid0(SALU_CYCLE_1)
	s_and_b32 s13, s13, exec_lo
	s_or_saveexec_b32 s37, s37
	v_mov_b32_e32 v43, s36
	s_xor_b32 exec_lo, exec_lo, s37
	s_cbranch_execz .LBB6_553
.LBB6_2339:                             ;   in Loop: Header=BB6_394 Depth=4
	v_cmp_ne_u16_e32 vcc_lo, 0, v42
	v_mov_b32_e32 v43, 0
	s_and_not1_b32 s13, s13, exec_lo
	s_and_b32 vcc_lo, vcc_lo, exec_lo
	s_delay_alu instid0(SALU_CYCLE_1)
	s_or_b32 s13, s13, vcc_lo
	s_or_b32 exec_lo, exec_lo, s37
	s_and_saveexec_b32 s36, s13
	s_cbranch_execnz .LBB6_554
	s_branch .LBB6_555
.LBB6_2340:                             ;   in Loop: Header=BB6_394 Depth=4
	s_mov_b32 s13, -1
	s_mov_b32 s38, exec_lo
                                        ; implicit-def: $sgpr36
	v_cmpx_eq_u16_e32 0x80, v41
; %bb.2341:                             ;   in Loop: Header=BB6_394 Depth=4
	s_mov_b32 s36, 0x7f800001
	s_xor_b32 s13, exec_lo, -1
; %bb.2342:                             ;   in Loop: Header=BB6_394 Depth=4
	s_or_b32 exec_lo, exec_lo, s38
	s_delay_alu instid0(SALU_CYCLE_1)
	s_and_b32 s13, s13, exec_lo
	s_or_saveexec_b32 s37, s37
	v_mov_b32_e32 v42, s36
	s_xor_b32 exec_lo, exec_lo, s37
	s_cbranch_execz .LBB6_557
.LBB6_2343:                             ;   in Loop: Header=BB6_394 Depth=4
	v_cmp_ne_u16_e32 vcc_lo, 0, v41
	v_mov_b32_e32 v42, 0
	s_and_not1_b32 s13, s13, exec_lo
	s_and_b32 vcc_lo, vcc_lo, exec_lo
	s_delay_alu instid0(SALU_CYCLE_1)
	s_or_b32 s13, s13, vcc_lo
	s_or_b32 exec_lo, exec_lo, s37
	s_and_saveexec_b32 s36, s13
	s_cbranch_execnz .LBB6_558
	s_branch .LBB6_559
.LBB6_2344:                             ;   in Loop: Header=BB6_394 Depth=4
	s_mov_b32 s36, -1
	s_mov_b32 s38, exec_lo
                                        ; implicit-def: $sgpr37
	v_cmpx_eq_u16_e32 0x80, v44
; %bb.2345:                             ;   in Loop: Header=BB6_394 Depth=4
	s_mov_b32 s37, 0x7f800001
	s_xor_b32 s36, exec_lo, -1
; %bb.2346:                             ;   in Loop: Header=BB6_394 Depth=4
	s_or_b32 exec_lo, exec_lo, s38
	s_delay_alu instid0(SALU_CYCLE_1)
	s_and_b32 s36, s36, exec_lo
	s_or_saveexec_b32 s13, s13
	v_mov_b32_e32 v45, s37
	s_xor_b32 exec_lo, exec_lo, s13
	s_cbranch_execz .LBB6_571
.LBB6_2347:                             ;   in Loop: Header=BB6_394 Depth=4
	v_cmp_ne_u16_e32 vcc_lo, 0, v44
	v_mov_b32_e32 v45, 0
	s_and_not1_b32 s36, s36, exec_lo
	s_and_b32 vcc_lo, vcc_lo, exec_lo
	s_delay_alu instid0(SALU_CYCLE_1)
	s_or_b32 s36, s36, vcc_lo
	s_or_b32 exec_lo, exec_lo, s13
	s_and_saveexec_b32 s13, s36
	s_cbranch_execnz .LBB6_572
	s_branch .LBB6_573
.LBB6_2348:                             ;   in Loop: Header=BB6_394 Depth=4
	s_mov_b32 s13, -1
	s_mov_b32 s38, exec_lo
                                        ; implicit-def: $sgpr36
	v_cmpx_eq_u16_e32 0x80, v47
; %bb.2349:                             ;   in Loop: Header=BB6_394 Depth=4
	s_mov_b32 s36, 0x7f800001
	s_xor_b32 s13, exec_lo, -1
; %bb.2350:                             ;   in Loop: Header=BB6_394 Depth=4
	s_or_b32 exec_lo, exec_lo, s38
	s_delay_alu instid0(SALU_CYCLE_1)
	s_and_b32 s13, s13, exec_lo
                                        ; implicit-def: $vgpr47
	s_or_saveexec_b32 s37, s37
	v_mov_b32_e32 v46, s36
	s_xor_b32 exec_lo, exec_lo, s37
	s_cbranch_execz .LBB6_575
.LBB6_2351:                             ;   in Loop: Header=BB6_394 Depth=4
	v_cmp_ne_u16_e32 vcc_lo, 0, v47
	v_mov_b32_e32 v46, 0
	s_and_not1_b32 s13, s13, exec_lo
	s_and_b32 vcc_lo, vcc_lo, exec_lo
	s_delay_alu instid0(SALU_CYCLE_1)
	s_or_b32 s13, s13, vcc_lo
	s_or_b32 exec_lo, exec_lo, s37
	s_and_saveexec_b32 s36, s13
	s_cbranch_execnz .LBB6_576
	s_branch .LBB6_577
.LBB6_2352:                             ;   in Loop: Header=BB6_394 Depth=4
	s_mov_b32 s13, -1
	s_mov_b32 s38, exec_lo
                                        ; implicit-def: $sgpr36
	v_cmpx_eq_u16_e32 0x80, v44
; %bb.2353:                             ;   in Loop: Header=BB6_394 Depth=4
	s_mov_b32 s36, 0x7f800001
	s_xor_b32 s13, exec_lo, -1
; %bb.2354:                             ;   in Loop: Header=BB6_394 Depth=4
	s_or_b32 exec_lo, exec_lo, s38
	s_delay_alu instid0(SALU_CYCLE_1)
	s_and_b32 s13, s13, exec_lo
                                        ; implicit-def: $vgpr44
	s_or_saveexec_b32 s37, s37
	v_mov_b32_e32 v45, s36
	s_xor_b32 exec_lo, exec_lo, s37
	s_cbranch_execz .LBB6_582
.LBB6_2355:                             ;   in Loop: Header=BB6_394 Depth=4
	v_cmp_ne_u16_e32 vcc_lo, 0, v44
	v_mov_b32_e32 v45, 0
	s_and_not1_b32 s13, s13, exec_lo
	s_and_b32 vcc_lo, vcc_lo, exec_lo
	s_delay_alu instid0(SALU_CYCLE_1)
	s_or_b32 s13, s13, vcc_lo
	s_or_b32 exec_lo, exec_lo, s37
	s_and_saveexec_b32 s36, s13
	s_cbranch_execnz .LBB6_583
	s_branch .LBB6_584
.LBB6_2356:                             ;   in Loop: Header=BB6_394 Depth=4
	s_mov_b32 s13, -1
	s_mov_b32 s38, exec_lo
                                        ; implicit-def: $sgpr36
	v_cmpx_eq_u16_e32 0x80, v44
; %bb.2357:                             ;   in Loop: Header=BB6_394 Depth=4
	s_mov_b32 s36, 0x7f800001
	s_xor_b32 s13, exec_lo, -1
; %bb.2358:                             ;   in Loop: Header=BB6_394 Depth=4
	s_or_b32 exec_lo, exec_lo, s38
	s_delay_alu instid0(SALU_CYCLE_1)
	s_and_b32 s13, s13, exec_lo
                                        ; implicit-def: $vgpr44
	s_or_saveexec_b32 s37, s37
	v_mov_b32_e32 v43, s36
	s_xor_b32 exec_lo, exec_lo, s37
	s_cbranch_execz .LBB6_586
.LBB6_2359:                             ;   in Loop: Header=BB6_394 Depth=4
	v_cmp_ne_u16_e32 vcc_lo, 0, v44
	v_mov_b32_e32 v43, 0
	s_and_not1_b32 s13, s13, exec_lo
	s_and_b32 vcc_lo, vcc_lo, exec_lo
	s_delay_alu instid0(SALU_CYCLE_1)
	s_or_b32 s13, s13, vcc_lo
	s_or_b32 exec_lo, exec_lo, s37
	s_and_saveexec_b32 s36, s13
	s_cbranch_execnz .LBB6_587
	s_branch .LBB6_588
.LBB6_2360:                             ;   in Loop: Header=BB6_394 Depth=4
	s_mov_b32 s36, -1
	s_mov_b32 s38, exec_lo
                                        ; implicit-def: $sgpr37
	v_cmpx_eq_u16_e32 0x80, v44
; %bb.2361:                             ;   in Loop: Header=BB6_394 Depth=4
	s_mov_b32 s37, 0x7f800001
	s_xor_b32 s36, exec_lo, -1
; %bb.2362:                             ;   in Loop: Header=BB6_394 Depth=4
	s_or_b32 exec_lo, exec_lo, s38
	s_delay_alu instid0(SALU_CYCLE_1)
	s_and_b32 s36, s36, exec_lo
	s_or_saveexec_b32 s13, s13
	v_mov_b32_e32 v45, s37
	s_xor_b32 exec_lo, exec_lo, s13
	s_cbranch_execz .LBB6_600
.LBB6_2363:                             ;   in Loop: Header=BB6_394 Depth=4
	v_cmp_ne_u16_e32 vcc_lo, 0, v44
	v_mov_b32_e32 v45, 0
	s_and_not1_b32 s36, s36, exec_lo
	s_and_b32 vcc_lo, vcc_lo, exec_lo
	s_delay_alu instid0(SALU_CYCLE_1)
	s_or_b32 s36, s36, vcc_lo
	s_or_b32 exec_lo, exec_lo, s13
	s_and_saveexec_b32 s13, s36
	s_cbranch_execnz .LBB6_601
	s_branch .LBB6_602
.LBB6_2364:                             ;   in Loop: Header=BB6_394 Depth=4
	s_mov_b32 s13, -1
	s_mov_b32 s38, exec_lo
                                        ; implicit-def: $sgpr36
	v_cmpx_eq_u16_e32 0x80, v43
; %bb.2365:                             ;   in Loop: Header=BB6_394 Depth=4
	s_mov_b32 s36, 0x7f800001
	s_xor_b32 s13, exec_lo, -1
; %bb.2366:                             ;   in Loop: Header=BB6_394 Depth=4
	s_or_b32 exec_lo, exec_lo, s38
	s_delay_alu instid0(SALU_CYCLE_1)
	s_and_b32 s13, s13, exec_lo
	s_or_saveexec_b32 s37, s37
	v_mov_b32_e32 v46, s36
	s_xor_b32 exec_lo, exec_lo, s37
	s_cbranch_execz .LBB6_604
.LBB6_2367:                             ;   in Loop: Header=BB6_394 Depth=4
	v_cmp_ne_u16_e32 vcc_lo, 0, v43
	v_mov_b32_e32 v46, 0
	s_and_not1_b32 s13, s13, exec_lo
	s_and_b32 vcc_lo, vcc_lo, exec_lo
	s_delay_alu instid0(SALU_CYCLE_1)
	s_or_b32 s13, s13, vcc_lo
	s_or_b32 exec_lo, exec_lo, s37
	s_and_saveexec_b32 s36, s13
	s_cbranch_execnz .LBB6_605
	s_branch .LBB6_606
.LBB6_2368:                             ;   in Loop: Header=BB6_394 Depth=4
	s_mov_b32 s13, -1
	s_mov_b32 s38, exec_lo
                                        ; implicit-def: $sgpr36
	v_cmpx_eq_u16_e32 0x80, v44
; %bb.2369:                             ;   in Loop: Header=BB6_394 Depth=4
	s_mov_b32 s36, 0x7f800001
	s_xor_b32 s13, exec_lo, -1
; %bb.2370:                             ;   in Loop: Header=BB6_394 Depth=4
	s_or_b32 exec_lo, exec_lo, s38
	s_delay_alu instid0(SALU_CYCLE_1)
	s_and_b32 s13, s13, exec_lo
	s_or_saveexec_b32 s37, s37
	v_mov_b32_e32 v45, s36
	s_xor_b32 exec_lo, exec_lo, s37
	s_cbranch_execz .LBB6_611
.LBB6_2371:                             ;   in Loop: Header=BB6_394 Depth=4
	v_cmp_ne_u16_e32 vcc_lo, 0, v44
	v_mov_b32_e32 v45, 0
	s_and_not1_b32 s13, s13, exec_lo
	s_and_b32 vcc_lo, vcc_lo, exec_lo
	s_delay_alu instid0(SALU_CYCLE_1)
	s_or_b32 s13, s13, vcc_lo
	s_or_b32 exec_lo, exec_lo, s37
	s_and_saveexec_b32 s36, s13
	s_cbranch_execnz .LBB6_612
	s_branch .LBB6_613
.LBB6_2372:                             ;   in Loop: Header=BB6_394 Depth=4
	s_mov_b32 s13, -1
	s_mov_b32 s38, exec_lo
                                        ; implicit-def: $sgpr36
	v_cmpx_eq_u16_e32 0x80, v43
; %bb.2373:                             ;   in Loop: Header=BB6_394 Depth=4
	s_mov_b32 s36, 0x7f800001
	s_xor_b32 s13, exec_lo, -1
; %bb.2374:                             ;   in Loop: Header=BB6_394 Depth=4
	s_or_b32 exec_lo, exec_lo, s38
	s_delay_alu instid0(SALU_CYCLE_1)
	s_and_b32 s13, s13, exec_lo
	s_or_saveexec_b32 s37, s37
	v_mov_b32_e32 v49, s36
	s_xor_b32 exec_lo, exec_lo, s37
	s_cbranch_execz .LBB6_615
.LBB6_2375:                             ;   in Loop: Header=BB6_394 Depth=4
	v_cmp_ne_u16_e32 vcc_lo, 0, v43
	v_mov_b32_e32 v49, 0
	s_and_not1_b32 s13, s13, exec_lo
	s_and_b32 vcc_lo, vcc_lo, exec_lo
	s_delay_alu instid0(SALU_CYCLE_1)
	s_or_b32 s13, s13, vcc_lo
	s_or_b32 exec_lo, exec_lo, s37
	s_and_saveexec_b32 s36, s13
	s_cbranch_execnz .LBB6_616
	s_branch .LBB6_617
.LBB6_2376:                             ;   in Loop: Header=BB6_394 Depth=4
	s_mov_b32 s36, -1
	s_mov_b32 s38, exec_lo
                                        ; implicit-def: $sgpr37
	v_cmpx_eq_u16_e32 0x80, v49
; %bb.2377:                             ;   in Loop: Header=BB6_394 Depth=4
	s_mov_b32 s37, 0x7f800001
	s_xor_b32 s36, exec_lo, -1
; %bb.2378:                             ;   in Loop: Header=BB6_394 Depth=4
	s_or_b32 exec_lo, exec_lo, s38
	s_delay_alu instid0(SALU_CYCLE_1)
	s_and_b32 s36, s36, exec_lo
	s_or_saveexec_b32 s13, s13
	v_mov_b32_e32 v43, s37
	s_xor_b32 exec_lo, exec_lo, s13
	s_cbranch_execz .LBB6_629
.LBB6_2379:                             ;   in Loop: Header=BB6_394 Depth=4
	v_cmp_ne_u16_e32 vcc_lo, 0, v49
	v_mov_b32_e32 v43, 0
	s_and_not1_b32 s36, s36, exec_lo
	s_and_b32 vcc_lo, vcc_lo, exec_lo
	s_delay_alu instid0(SALU_CYCLE_1)
	s_or_b32 s36, s36, vcc_lo
	s_or_b32 exec_lo, exec_lo, s13
	s_and_saveexec_b32 s13, s36
	s_cbranch_execnz .LBB6_630
	s_branch .LBB6_631
.LBB6_2380:                             ;   in Loop: Header=BB6_394 Depth=4
	s_mov_b32 s13, -1
	s_mov_b32 s38, exec_lo
                                        ; implicit-def: $sgpr36
	v_cmpx_eq_u16_e32 0x80, v45
; %bb.2381:                             ;   in Loop: Header=BB6_394 Depth=4
	s_mov_b32 s36, 0x7f800001
	s_xor_b32 s13, exec_lo, -1
; %bb.2382:                             ;   in Loop: Header=BB6_394 Depth=4
	s_or_b32 exec_lo, exec_lo, s38
	s_delay_alu instid0(SALU_CYCLE_1)
	s_and_b32 s13, s13, exec_lo
                                        ; implicit-def: $vgpr45
	s_or_saveexec_b32 s37, s37
	v_mov_b32_e32 v44, s36
	s_xor_b32 exec_lo, exec_lo, s37
	s_cbranch_execz .LBB6_633
.LBB6_2383:                             ;   in Loop: Header=BB6_394 Depth=4
	v_cmp_ne_u16_e32 vcc_lo, 0, v45
	v_mov_b32_e32 v44, 0
	s_and_not1_b32 s13, s13, exec_lo
	s_and_b32 vcc_lo, vcc_lo, exec_lo
	s_delay_alu instid0(SALU_CYCLE_1)
	s_or_b32 s13, s13, vcc_lo
	s_or_b32 exec_lo, exec_lo, s37
	s_and_saveexec_b32 s36, s13
	s_cbranch_execnz .LBB6_634
	s_branch .LBB6_635
.LBB6_2384:                             ;   in Loop: Header=BB6_394 Depth=4
	s_mov_b32 s13, -1
	s_mov_b32 s38, exec_lo
                                        ; implicit-def: $sgpr36
	v_cmpx_eq_u16_e32 0x80, v49
; %bb.2385:                             ;   in Loop: Header=BB6_394 Depth=4
	s_mov_b32 s36, 0x7f800001
	s_xor_b32 s13, exec_lo, -1
; %bb.2386:                             ;   in Loop: Header=BB6_394 Depth=4
	s_or_b32 exec_lo, exec_lo, s38
	s_delay_alu instid0(SALU_CYCLE_1)
	s_and_b32 s13, s13, exec_lo
                                        ; implicit-def: $vgpr49
	s_or_saveexec_b32 s37, s37
	v_mov_b32_e32 v43, s36
	s_xor_b32 exec_lo, exec_lo, s37
	s_cbranch_execz .LBB6_640
.LBB6_2387:                             ;   in Loop: Header=BB6_394 Depth=4
	v_cmp_ne_u16_e32 vcc_lo, 0, v49
	v_mov_b32_e32 v43, 0
	s_and_not1_b32 s13, s13, exec_lo
	s_and_b32 vcc_lo, vcc_lo, exec_lo
	s_delay_alu instid0(SALU_CYCLE_1)
	s_or_b32 s13, s13, vcc_lo
	s_or_b32 exec_lo, exec_lo, s37
	s_and_saveexec_b32 s36, s13
	s_cbranch_execnz .LBB6_641
	s_branch .LBB6_642
.LBB6_2388:                             ;   in Loop: Header=BB6_394 Depth=4
	s_mov_b32 s13, -1
	s_mov_b32 s38, exec_lo
                                        ; implicit-def: $sgpr36
	v_cmpx_eq_u16_e32 0x80, v44
; %bb.2389:                             ;   in Loop: Header=BB6_394 Depth=4
	s_mov_b32 s36, 0x7f800001
	s_xor_b32 s13, exec_lo, -1
; %bb.2390:                             ;   in Loop: Header=BB6_394 Depth=4
	s_or_b32 exec_lo, exec_lo, s38
	s_delay_alu instid0(SALU_CYCLE_1)
	s_and_b32 s13, s13, exec_lo
                                        ; implicit-def: $vgpr44
	s_or_saveexec_b32 s37, s37
	v_mov_b32_e32 v49, s36
	s_xor_b32 exec_lo, exec_lo, s37
	s_cbranch_execz .LBB6_644
.LBB6_2391:                             ;   in Loop: Header=BB6_394 Depth=4
	v_cmp_ne_u16_e32 vcc_lo, 0, v44
	v_mov_b32_e32 v49, 0
	s_and_not1_b32 s13, s13, exec_lo
	s_and_b32 vcc_lo, vcc_lo, exec_lo
	s_delay_alu instid0(SALU_CYCLE_1)
	s_or_b32 s13, s13, vcc_lo
	s_or_b32 exec_lo, exec_lo, s37
	s_and_saveexec_b32 s36, s13
	s_cbranch_execnz .LBB6_645
	s_branch .LBB6_646
.LBB6_2392:                             ;   in Loop: Header=BB6_394 Depth=4
	s_mov_b32 s36, -1
	s_mov_b32 s38, exec_lo
                                        ; implicit-def: $sgpr37
	v_cmpx_eq_u16_e32 0x80, v44
; %bb.2393:                             ;   in Loop: Header=BB6_394 Depth=4
	s_mov_b32 s37, 0x7f800001
	s_xor_b32 s36, exec_lo, -1
; %bb.2394:                             ;   in Loop: Header=BB6_394 Depth=4
	s_or_b32 exec_lo, exec_lo, s38
	s_delay_alu instid0(SALU_CYCLE_1)
	s_and_b32 s36, s36, exec_lo
	s_or_saveexec_b32 s13, s13
	v_mov_b32_e32 v45, s37
	s_xor_b32 exec_lo, exec_lo, s13
	s_cbranch_execz .LBB6_658
.LBB6_2395:                             ;   in Loop: Header=BB6_394 Depth=4
	v_cmp_ne_u16_e32 vcc_lo, 0, v44
	v_mov_b32_e32 v45, 0
	s_and_not1_b32 s36, s36, exec_lo
	s_and_b32 vcc_lo, vcc_lo, exec_lo
	s_delay_alu instid0(SALU_CYCLE_1)
	s_or_b32 s36, s36, vcc_lo
	s_or_b32 exec_lo, exec_lo, s13
	s_and_saveexec_b32 s13, s36
	s_cbranch_execnz .LBB6_659
	s_branch .LBB6_660
.LBB6_2396:                             ;   in Loop: Header=BB6_394 Depth=4
	s_mov_b32 s13, -1
	s_mov_b32 s38, exec_lo
                                        ; implicit-def: $sgpr36
	v_cmpx_eq_u16_e32 0x80, v43
; %bb.2397:                             ;   in Loop: Header=BB6_394 Depth=4
	s_mov_b32 s36, 0x7f800001
	s_xor_b32 s13, exec_lo, -1
; %bb.2398:                             ;   in Loop: Header=BB6_394 Depth=4
	s_or_b32 exec_lo, exec_lo, s38
	s_delay_alu instid0(SALU_CYCLE_1)
	s_and_b32 s13, s13, exec_lo
	s_or_saveexec_b32 s37, s37
	v_mov_b32_e32 v46, s36
	s_xor_b32 exec_lo, exec_lo, s37
	s_cbranch_execz .LBB6_662
.LBB6_2399:                             ;   in Loop: Header=BB6_394 Depth=4
	v_cmp_ne_u16_e32 vcc_lo, 0, v43
	v_mov_b32_e32 v46, 0
	s_and_not1_b32 s13, s13, exec_lo
	s_and_b32 vcc_lo, vcc_lo, exec_lo
	s_delay_alu instid0(SALU_CYCLE_1)
	s_or_b32 s13, s13, vcc_lo
	s_or_b32 exec_lo, exec_lo, s37
	s_and_saveexec_b32 s36, s13
	s_cbranch_execnz .LBB6_663
	s_branch .LBB6_664
.LBB6_2400:                             ;   in Loop: Header=BB6_394 Depth=4
	s_mov_b32 s13, -1
	s_mov_b32 s38, exec_lo
                                        ; implicit-def: $sgpr36
	v_cmpx_eq_u16_e32 0x80, v44
; %bb.2401:                             ;   in Loop: Header=BB6_394 Depth=4
	s_mov_b32 s36, 0x7f800001
	s_xor_b32 s13, exec_lo, -1
; %bb.2402:                             ;   in Loop: Header=BB6_394 Depth=4
	s_or_b32 exec_lo, exec_lo, s38
	s_delay_alu instid0(SALU_CYCLE_1)
	s_and_b32 s13, s13, exec_lo
	s_or_saveexec_b32 s37, s37
	v_mov_b32_e32 v45, s36
	s_xor_b32 exec_lo, exec_lo, s37
	s_cbranch_execz .LBB6_669
.LBB6_2403:                             ;   in Loop: Header=BB6_394 Depth=4
	v_cmp_ne_u16_e32 vcc_lo, 0, v44
	v_mov_b32_e32 v45, 0
	s_and_not1_b32 s13, s13, exec_lo
	s_and_b32 vcc_lo, vcc_lo, exec_lo
	s_delay_alu instid0(SALU_CYCLE_1)
	s_or_b32 s13, s13, vcc_lo
	s_or_b32 exec_lo, exec_lo, s37
	s_and_saveexec_b32 s36, s13
	s_cbranch_execnz .LBB6_670
	s_branch .LBB6_671
.LBB6_2404:                             ;   in Loop: Header=BB6_394 Depth=4
	s_mov_b32 s13, -1
	s_mov_b32 s38, exec_lo
                                        ; implicit-def: $sgpr36
	v_cmpx_eq_u16_e32 0x80, v43
; %bb.2405:                             ;   in Loop: Header=BB6_394 Depth=4
	s_mov_b32 s36, 0x7f800001
	s_xor_b32 s13, exec_lo, -1
; %bb.2406:                             ;   in Loop: Header=BB6_394 Depth=4
	s_or_b32 exec_lo, exec_lo, s38
	s_delay_alu instid0(SALU_CYCLE_1)
	s_and_b32 s13, s13, exec_lo
	s_or_saveexec_b32 s37, s37
	v_mov_b32_e32 v44, s36
	s_xor_b32 exec_lo, exec_lo, s37
	s_cbranch_execz .LBB6_673
.LBB6_2407:                             ;   in Loop: Header=BB6_394 Depth=4
	v_cmp_ne_u16_e32 vcc_lo, 0, v43
	v_mov_b32_e32 v44, 0
	s_and_not1_b32 s13, s13, exec_lo
	s_and_b32 vcc_lo, vcc_lo, exec_lo
	s_delay_alu instid0(SALU_CYCLE_1)
	s_or_b32 s13, s13, vcc_lo
	s_or_b32 exec_lo, exec_lo, s37
	s_and_saveexec_b32 s36, s13
	s_cbranch_execnz .LBB6_674
	s_branch .LBB6_675
.LBB6_2408:                             ;   in Loop: Header=BB6_394 Depth=4
	s_mov_b32 s36, -1
	s_mov_b32 s38, exec_lo
                                        ; implicit-def: $sgpr37
	v_cmpx_eq_u16_e32 0x80, v46
; %bb.2409:                             ;   in Loop: Header=BB6_394 Depth=4
	s_mov_b32 s37, 0x7f800001
	s_xor_b32 s36, exec_lo, -1
; %bb.2410:                             ;   in Loop: Header=BB6_394 Depth=4
	s_or_b32 exec_lo, exec_lo, s38
	s_delay_alu instid0(SALU_CYCLE_1)
	s_and_b32 s36, s36, exec_lo
	s_or_saveexec_b32 s13, s13
	v_mov_b32_e32 v47, s37
	s_xor_b32 exec_lo, exec_lo, s13
	s_cbranch_execz .LBB6_687
.LBB6_2411:                             ;   in Loop: Header=BB6_394 Depth=4
	v_cmp_ne_u16_e32 vcc_lo, 0, v46
	v_mov_b32_e32 v47, 0
	s_and_not1_b32 s36, s36, exec_lo
	s_and_b32 vcc_lo, vcc_lo, exec_lo
	s_delay_alu instid0(SALU_CYCLE_1)
	s_or_b32 s36, s36, vcc_lo
	s_or_b32 exec_lo, exec_lo, s13
	s_and_saveexec_b32 s13, s36
	s_cbranch_execnz .LBB6_688
	s_branch .LBB6_689
.LBB6_2412:                             ;   in Loop: Header=BB6_394 Depth=4
	s_mov_b32 s13, -1
	s_mov_b32 s38, exec_lo
                                        ; implicit-def: $sgpr36
	v_cmpx_eq_u16_e32 0x80, v57
; %bb.2413:                             ;   in Loop: Header=BB6_394 Depth=4
	s_mov_b32 s36, 0x7f800001
	s_xor_b32 s13, exec_lo, -1
; %bb.2414:                             ;   in Loop: Header=BB6_394 Depth=4
	s_or_b32 exec_lo, exec_lo, s38
	s_delay_alu instid0(SALU_CYCLE_1)
	s_and_b32 s13, s13, exec_lo
                                        ; implicit-def: $vgpr57
	s_or_saveexec_b32 s37, s37
	v_mov_b32_e32 v56, s36
	s_xor_b32 exec_lo, exec_lo, s37
	s_cbranch_execz .LBB6_691
.LBB6_2415:                             ;   in Loop: Header=BB6_394 Depth=4
	v_cmp_ne_u16_e32 vcc_lo, 0, v57
	v_mov_b32_e32 v56, 0
	s_and_not1_b32 s13, s13, exec_lo
	s_and_b32 vcc_lo, vcc_lo, exec_lo
	s_delay_alu instid0(SALU_CYCLE_1)
	s_or_b32 s13, s13, vcc_lo
	s_or_b32 exec_lo, exec_lo, s37
	s_and_saveexec_b32 s36, s13
	s_cbranch_execnz .LBB6_692
	s_branch .LBB6_693
.LBB6_2416:                             ;   in Loop: Header=BB6_394 Depth=4
	s_mov_b32 s13, -1
	s_mov_b32 s38, exec_lo
                                        ; implicit-def: $sgpr36
	v_cmpx_eq_u16_e32 0x80, v46
; %bb.2417:                             ;   in Loop: Header=BB6_394 Depth=4
	s_mov_b32 s36, 0x7f800001
	s_xor_b32 s13, exec_lo, -1
; %bb.2418:                             ;   in Loop: Header=BB6_394 Depth=4
	s_or_b32 exec_lo, exec_lo, s38
	s_delay_alu instid0(SALU_CYCLE_1)
	s_and_b32 s13, s13, exec_lo
                                        ; implicit-def: $vgpr46
	s_or_saveexec_b32 s37, s37
	v_mov_b32_e32 v47, s36
	s_xor_b32 exec_lo, exec_lo, s37
	s_cbranch_execz .LBB6_698
.LBB6_2419:                             ;   in Loop: Header=BB6_394 Depth=4
	v_cmp_ne_u16_e32 vcc_lo, 0, v46
	v_mov_b32_e32 v47, 0
	s_and_not1_b32 s13, s13, exec_lo
	s_and_b32 vcc_lo, vcc_lo, exec_lo
	s_delay_alu instid0(SALU_CYCLE_1)
	s_or_b32 s13, s13, vcc_lo
	s_or_b32 exec_lo, exec_lo, s37
	s_and_saveexec_b32 s36, s13
	s_cbranch_execnz .LBB6_699
	s_branch .LBB6_700
.LBB6_2420:                             ;   in Loop: Header=BB6_394 Depth=4
	s_mov_b32 s13, -1
	s_mov_b32 s38, exec_lo
                                        ; implicit-def: $sgpr36
	v_cmpx_eq_u16_e32 0x80, v46
; %bb.2421:                             ;   in Loop: Header=BB6_394 Depth=4
	s_mov_b32 s36, 0x7f800001
	s_xor_b32 s13, exec_lo, -1
; %bb.2422:                             ;   in Loop: Header=BB6_394 Depth=4
	s_or_b32 exec_lo, exec_lo, s38
	s_delay_alu instid0(SALU_CYCLE_1)
	s_and_b32 s13, s13, exec_lo
                                        ; implicit-def: $vgpr46
	s_or_saveexec_b32 s37, s37
	v_mov_b32_e32 v45, s36
	s_xor_b32 exec_lo, exec_lo, s37
	s_cbranch_execz .LBB6_702
.LBB6_2423:                             ;   in Loop: Header=BB6_394 Depth=4
	v_cmp_ne_u16_e32 vcc_lo, 0, v46
	v_mov_b32_e32 v45, 0
	s_and_not1_b32 s13, s13, exec_lo
	s_and_b32 vcc_lo, vcc_lo, exec_lo
	s_delay_alu instid0(SALU_CYCLE_1)
	s_or_b32 s13, s13, vcc_lo
	s_or_b32 exec_lo, exec_lo, s37
	s_and_saveexec_b32 s36, s13
	s_cbranch_execnz .LBB6_703
	s_branch .LBB6_704
.LBB6_2424:                             ;   in Loop: Header=BB6_394 Depth=4
	s_mov_b32 s36, -1
	s_mov_b32 s38, exec_lo
                                        ; implicit-def: $sgpr37
	v_cmpx_eq_u16_e32 0x80, v46
; %bb.2425:                             ;   in Loop: Header=BB6_394 Depth=4
	s_mov_b32 s37, 0x7f800001
	s_xor_b32 s36, exec_lo, -1
; %bb.2426:                             ;   in Loop: Header=BB6_394 Depth=4
	s_or_b32 exec_lo, exec_lo, s38
	s_delay_alu instid0(SALU_CYCLE_1)
	s_and_b32 s36, s36, exec_lo
	s_or_saveexec_b32 s13, s13
	v_mov_b32_e32 v47, s37
	s_xor_b32 exec_lo, exec_lo, s13
	s_cbranch_execz .LBB6_716
.LBB6_2427:                             ;   in Loop: Header=BB6_394 Depth=4
	v_cmp_ne_u16_e32 vcc_lo, 0, v46
	v_mov_b32_e32 v47, 0
	s_and_not1_b32 s36, s36, exec_lo
	s_and_b32 vcc_lo, vcc_lo, exec_lo
	s_delay_alu instid0(SALU_CYCLE_1)
	s_or_b32 s36, s36, vcc_lo
	s_or_b32 exec_lo, exec_lo, s13
	s_and_saveexec_b32 s13, s36
	s_cbranch_execnz .LBB6_717
	s_branch .LBB6_718
.LBB6_2428:                             ;   in Loop: Header=BB6_394 Depth=4
	s_mov_b32 s13, -1
	s_mov_b32 s38, exec_lo
                                        ; implicit-def: $sgpr36
	v_cmpx_eq_u16_e32 0x80, v45
; %bb.2429:                             ;   in Loop: Header=BB6_394 Depth=4
	s_mov_b32 s36, 0x7f800001
	s_xor_b32 s13, exec_lo, -1
; %bb.2430:                             ;   in Loop: Header=BB6_394 Depth=4
	s_or_b32 exec_lo, exec_lo, s38
	s_delay_alu instid0(SALU_CYCLE_1)
	s_and_b32 s13, s13, exec_lo
	s_or_saveexec_b32 s37, s37
	v_mov_b32_e32 v56, s36
	s_xor_b32 exec_lo, exec_lo, s37
	s_cbranch_execz .LBB6_720
.LBB6_2431:                             ;   in Loop: Header=BB6_394 Depth=4
	v_cmp_ne_u16_e32 vcc_lo, 0, v45
	v_mov_b32_e32 v56, 0
	s_and_not1_b32 s13, s13, exec_lo
	s_and_b32 vcc_lo, vcc_lo, exec_lo
	s_delay_alu instid0(SALU_CYCLE_1)
	s_or_b32 s13, s13, vcc_lo
	s_or_b32 exec_lo, exec_lo, s37
	s_and_saveexec_b32 s36, s13
	s_cbranch_execnz .LBB6_721
	s_branch .LBB6_722
.LBB6_2432:                             ;   in Loop: Header=BB6_394 Depth=4
	s_mov_b32 s13, -1
	s_mov_b32 s38, exec_lo
                                        ; implicit-def: $sgpr36
	v_cmpx_eq_u16_e32 0x80, v46
; %bb.2433:                             ;   in Loop: Header=BB6_394 Depth=4
	s_mov_b32 s36, 0x7f800001
	s_xor_b32 s13, exec_lo, -1
; %bb.2434:                             ;   in Loop: Header=BB6_394 Depth=4
	s_or_b32 exec_lo, exec_lo, s38
	s_delay_alu instid0(SALU_CYCLE_1)
	s_and_b32 s13, s13, exec_lo
	s_or_saveexec_b32 s37, s37
	v_mov_b32_e32 v47, s36
	s_xor_b32 exec_lo, exec_lo, s37
	s_cbranch_execz .LBB6_727
.LBB6_2435:                             ;   in Loop: Header=BB6_394 Depth=4
	v_cmp_ne_u16_e32 vcc_lo, 0, v46
	v_mov_b32_e32 v47, 0
	s_and_not1_b32 s13, s13, exec_lo
	s_and_b32 vcc_lo, vcc_lo, exec_lo
	s_delay_alu instid0(SALU_CYCLE_1)
	s_or_b32 s13, s13, vcc_lo
	s_or_b32 exec_lo, exec_lo, s37
	s_and_saveexec_b32 s36, s13
	s_cbranch_execnz .LBB6_728
	s_branch .LBB6_729
.LBB6_2436:                             ;   in Loop: Header=BB6_394 Depth=4
	s_mov_b32 s13, -1
	s_mov_b32 s38, exec_lo
                                        ; implicit-def: $sgpr36
	v_cmpx_eq_u16_e32 0x80, v45
; %bb.2437:                             ;   in Loop: Header=BB6_394 Depth=4
	s_mov_b32 s36, 0x7f800001
	s_xor_b32 s13, exec_lo, -1
; %bb.2438:                             ;   in Loop: Header=BB6_394 Depth=4
	s_or_b32 exec_lo, exec_lo, s38
	s_delay_alu instid0(SALU_CYCLE_1)
	s_and_b32 s13, s13, exec_lo
	s_or_saveexec_b32 s37, s37
	v_mov_b32_e32 v50, s36
	s_xor_b32 exec_lo, exec_lo, s37
	s_cbranch_execz .LBB6_731
.LBB6_2439:                             ;   in Loop: Header=BB6_394 Depth=4
	v_cmp_ne_u16_e32 vcc_lo, 0, v45
	v_mov_b32_e32 v50, 0
	s_and_not1_b32 s13, s13, exec_lo
	s_and_b32 vcc_lo, vcc_lo, exec_lo
	s_delay_alu instid0(SALU_CYCLE_1)
	s_or_b32 s13, s13, vcc_lo
	s_or_b32 exec_lo, exec_lo, s37
	s_and_saveexec_b32 s36, s13
	s_cbranch_execnz .LBB6_732
	s_branch .LBB6_733
.LBB6_2440:                             ;   in Loop: Header=BB6_394 Depth=4
	s_mov_b32 s36, -1
	s_mov_b32 s38, exec_lo
                                        ; implicit-def: $sgpr37
	v_cmpx_eq_u16_e32 0x80, v50
; %bb.2441:                             ;   in Loop: Header=BB6_394 Depth=4
	s_mov_b32 s37, 0x7f800001
	s_xor_b32 s36, exec_lo, -1
; %bb.2442:                             ;   in Loop: Header=BB6_394 Depth=4
	s_or_b32 exec_lo, exec_lo, s38
	s_delay_alu instid0(SALU_CYCLE_1)
	s_and_b32 s36, s36, exec_lo
	s_or_saveexec_b32 s13, s13
	v_mov_b32_e32 v45, s37
	s_xor_b32 exec_lo, exec_lo, s13
	s_cbranch_execz .LBB6_745
.LBB6_2443:                             ;   in Loop: Header=BB6_394 Depth=4
	v_cmp_ne_u16_e32 vcc_lo, 0, v50
	v_mov_b32_e32 v45, 0
	s_and_not1_b32 s36, s36, exec_lo
	s_and_b32 vcc_lo, vcc_lo, exec_lo
	s_delay_alu instid0(SALU_CYCLE_1)
	s_or_b32 s36, s36, vcc_lo
	s_or_b32 exec_lo, exec_lo, s13
	s_and_saveexec_b32 s13, s36
	s_cbranch_execnz .LBB6_746
	s_branch .LBB6_747
.LBB6_2444:                             ;   in Loop: Header=BB6_394 Depth=4
	s_mov_b32 s13, -1
	s_mov_b32 s38, exec_lo
                                        ; implicit-def: $sgpr36
	v_cmpx_eq_u16_e32 0x80, v47
; %bb.2445:                             ;   in Loop: Header=BB6_394 Depth=4
	s_mov_b32 s36, 0x7f800001
	s_xor_b32 s13, exec_lo, -1
; %bb.2446:                             ;   in Loop: Header=BB6_394 Depth=4
	s_or_b32 exec_lo, exec_lo, s38
	s_delay_alu instid0(SALU_CYCLE_1)
	s_and_b32 s13, s13, exec_lo
                                        ; implicit-def: $vgpr47
	s_or_saveexec_b32 s37, s37
	v_mov_b32_e32 v46, s36
	s_xor_b32 exec_lo, exec_lo, s37
	s_cbranch_execz .LBB6_749
.LBB6_2447:                             ;   in Loop: Header=BB6_394 Depth=4
	v_cmp_ne_u16_e32 vcc_lo, 0, v47
	v_mov_b32_e32 v46, 0
	s_and_not1_b32 s13, s13, exec_lo
	s_and_b32 vcc_lo, vcc_lo, exec_lo
	s_delay_alu instid0(SALU_CYCLE_1)
	s_or_b32 s13, s13, vcc_lo
	s_or_b32 exec_lo, exec_lo, s37
	s_and_saveexec_b32 s36, s13
	s_cbranch_execnz .LBB6_750
	s_branch .LBB6_751
.LBB6_2448:                             ;   in Loop: Header=BB6_394 Depth=4
	s_mov_b32 s13, -1
	s_mov_b32 s38, exec_lo
                                        ; implicit-def: $sgpr36
	v_cmpx_eq_u16_e32 0x80, v50
; %bb.2449:                             ;   in Loop: Header=BB6_394 Depth=4
	s_mov_b32 s36, 0x7f800001
	s_xor_b32 s13, exec_lo, -1
; %bb.2450:                             ;   in Loop: Header=BB6_394 Depth=4
	s_or_b32 exec_lo, exec_lo, s38
	s_delay_alu instid0(SALU_CYCLE_1)
	s_and_b32 s13, s13, exec_lo
                                        ; implicit-def: $vgpr50
	s_or_saveexec_b32 s37, s37
	v_mov_b32_e32 v45, s36
	s_xor_b32 exec_lo, exec_lo, s37
	s_cbranch_execz .LBB6_756
.LBB6_2451:                             ;   in Loop: Header=BB6_394 Depth=4
	v_cmp_ne_u16_e32 vcc_lo, 0, v50
	v_mov_b32_e32 v45, 0
	s_and_not1_b32 s13, s13, exec_lo
	s_and_b32 vcc_lo, vcc_lo, exec_lo
	s_delay_alu instid0(SALU_CYCLE_1)
	s_or_b32 s13, s13, vcc_lo
	s_or_b32 exec_lo, exec_lo, s37
	s_and_saveexec_b32 s36, s13
	s_cbranch_execnz .LBB6_757
	s_branch .LBB6_758
.LBB6_2452:                             ;   in Loop: Header=BB6_394 Depth=4
	s_mov_b32 s13, -1
	s_mov_b32 s38, exec_lo
                                        ; implicit-def: $sgpr36
	v_cmpx_eq_u16_e32 0x80, v46
; %bb.2453:                             ;   in Loop: Header=BB6_394 Depth=4
	s_mov_b32 s36, 0x7f800001
	s_xor_b32 s13, exec_lo, -1
; %bb.2454:                             ;   in Loop: Header=BB6_394 Depth=4
	s_or_b32 exec_lo, exec_lo, s38
	s_delay_alu instid0(SALU_CYCLE_1)
	s_and_b32 s13, s13, exec_lo
                                        ; implicit-def: $vgpr46
	s_or_saveexec_b32 s37, s37
	v_mov_b32_e32 v50, s36
	s_xor_b32 exec_lo, exec_lo, s37
	s_cbranch_execz .LBB6_760
.LBB6_2455:                             ;   in Loop: Header=BB6_394 Depth=4
	v_cmp_ne_u16_e32 vcc_lo, 0, v46
	v_mov_b32_e32 v50, 0
	s_and_not1_b32 s13, s13, exec_lo
	s_and_b32 vcc_lo, vcc_lo, exec_lo
	s_delay_alu instid0(SALU_CYCLE_1)
	s_or_b32 s13, s13, vcc_lo
	s_or_b32 exec_lo, exec_lo, s37
	s_and_saveexec_b32 s36, s13
	s_cbranch_execnz .LBB6_761
	s_branch .LBB6_762
.LBB6_2456:                             ;   in Loop: Header=BB6_394 Depth=4
	s_mov_b32 s36, -1
	s_mov_b32 s38, exec_lo
                                        ; implicit-def: $sgpr37
	v_cmpx_eq_u16_e32 0x80, v46
; %bb.2457:                             ;   in Loop: Header=BB6_394 Depth=4
	s_mov_b32 s37, 0x7f800001
	s_xor_b32 s36, exec_lo, -1
; %bb.2458:                             ;   in Loop: Header=BB6_394 Depth=4
	s_or_b32 exec_lo, exec_lo, s38
	s_delay_alu instid0(SALU_CYCLE_1)
	s_and_b32 s36, s36, exec_lo
	s_or_saveexec_b32 s13, s13
	v_mov_b32_e32 v47, s37
	s_xor_b32 exec_lo, exec_lo, s13
	s_cbranch_execz .LBB6_774
.LBB6_2459:                             ;   in Loop: Header=BB6_394 Depth=4
	v_cmp_ne_u16_e32 vcc_lo, 0, v46
	v_mov_b32_e32 v47, 0
	s_and_not1_b32 s36, s36, exec_lo
	s_and_b32 vcc_lo, vcc_lo, exec_lo
	s_delay_alu instid0(SALU_CYCLE_1)
	s_or_b32 s36, s36, vcc_lo
	s_or_b32 exec_lo, exec_lo, s13
	s_and_saveexec_b32 s13, s36
	s_cbranch_execnz .LBB6_775
	s_branch .LBB6_776
.LBB6_2460:                             ;   in Loop: Header=BB6_394 Depth=4
	s_mov_b32 s13, -1
	s_mov_b32 s38, exec_lo
                                        ; implicit-def: $sgpr36
	v_cmpx_eq_u16_e32 0x80, v45
; %bb.2461:                             ;   in Loop: Header=BB6_394 Depth=4
	s_mov_b32 s36, 0x7f800001
	s_xor_b32 s13, exec_lo, -1
; %bb.2462:                             ;   in Loop: Header=BB6_394 Depth=4
	s_or_b32 exec_lo, exec_lo, s38
	s_delay_alu instid0(SALU_CYCLE_1)
	s_and_b32 s13, s13, exec_lo
	s_or_saveexec_b32 s37, s37
	v_mov_b32_e32 v56, s36
	s_xor_b32 exec_lo, exec_lo, s37
	s_cbranch_execz .LBB6_778
.LBB6_2463:                             ;   in Loop: Header=BB6_394 Depth=4
	v_cmp_ne_u16_e32 vcc_lo, 0, v45
	v_mov_b32_e32 v56, 0
	s_and_not1_b32 s13, s13, exec_lo
	s_and_b32 vcc_lo, vcc_lo, exec_lo
	s_delay_alu instid0(SALU_CYCLE_1)
	s_or_b32 s13, s13, vcc_lo
	s_or_b32 exec_lo, exec_lo, s37
	s_and_saveexec_b32 s36, s13
	s_cbranch_execnz .LBB6_779
	s_branch .LBB6_780
.LBB6_2464:                             ;   in Loop: Header=BB6_394 Depth=4
	s_mov_b32 s13, -1
	s_mov_b32 s38, exec_lo
                                        ; implicit-def: $sgpr36
	v_cmpx_eq_u16_e32 0x80, v46
; %bb.2465:                             ;   in Loop: Header=BB6_394 Depth=4
	s_mov_b32 s36, 0x7f800001
	s_xor_b32 s13, exec_lo, -1
; %bb.2466:                             ;   in Loop: Header=BB6_394 Depth=4
	s_or_b32 exec_lo, exec_lo, s38
	s_delay_alu instid0(SALU_CYCLE_1)
	s_and_b32 s13, s13, exec_lo
	s_or_saveexec_b32 s37, s37
	v_mov_b32_e32 v47, s36
	s_xor_b32 exec_lo, exec_lo, s37
	s_cbranch_execz .LBB6_785
.LBB6_2467:                             ;   in Loop: Header=BB6_394 Depth=4
	v_cmp_ne_u16_e32 vcc_lo, 0, v46
	v_mov_b32_e32 v47, 0
	s_and_not1_b32 s13, s13, exec_lo
	s_and_b32 vcc_lo, vcc_lo, exec_lo
	s_delay_alu instid0(SALU_CYCLE_1)
	s_or_b32 s13, s13, vcc_lo
	s_or_b32 exec_lo, exec_lo, s37
	s_and_saveexec_b32 s36, s13
	s_cbranch_execnz .LBB6_786
	s_branch .LBB6_787
.LBB6_2468:                             ;   in Loop: Header=BB6_394 Depth=4
	s_mov_b32 s13, -1
	s_mov_b32 s38, exec_lo
                                        ; implicit-def: $sgpr36
	v_cmpx_eq_u16_e32 0x80, v45
; %bb.2469:                             ;   in Loop: Header=BB6_394 Depth=4
	s_mov_b32 s36, 0x7f800001
	s_xor_b32 s13, exec_lo, -1
; %bb.2470:                             ;   in Loop: Header=BB6_394 Depth=4
	s_or_b32 exec_lo, exec_lo, s38
	s_delay_alu instid0(SALU_CYCLE_1)
	s_and_b32 s13, s13, exec_lo
	s_or_saveexec_b32 s37, s37
	v_mov_b32_e32 v46, s36
	s_xor_b32 exec_lo, exec_lo, s37
	s_cbranch_execz .LBB6_789
.LBB6_2471:                             ;   in Loop: Header=BB6_394 Depth=4
	v_cmp_ne_u16_e32 vcc_lo, 0, v45
	v_mov_b32_e32 v46, 0
	s_and_not1_b32 s13, s13, exec_lo
	s_and_b32 vcc_lo, vcc_lo, exec_lo
	s_delay_alu instid0(SALU_CYCLE_1)
	s_or_b32 s13, s13, vcc_lo
	s_or_b32 exec_lo, exec_lo, s37
	s_and_saveexec_b32 s36, s13
	s_cbranch_execnz .LBB6_790
	s_branch .LBB6_791
.LBB6_2472:                             ;   in Loop: Header=BB6_394 Depth=4
	s_mov_b32 s36, -1
	s_mov_b32 s38, exec_lo
                                        ; implicit-def: $sgpr37
	v_cmpx_eq_u16_e32 0x80, v56
; %bb.2473:                             ;   in Loop: Header=BB6_394 Depth=4
	s_mov_b32 s37, 0x7f800001
	s_xor_b32 s36, exec_lo, -1
; %bb.2474:                             ;   in Loop: Header=BB6_394 Depth=4
	s_or_b32 exec_lo, exec_lo, s38
	s_delay_alu instid0(SALU_CYCLE_1)
	s_and_b32 s36, s36, exec_lo
	s_or_saveexec_b32 s13, s13
	v_mov_b32_e32 v57, s37
	s_xor_b32 exec_lo, exec_lo, s13
	s_cbranch_execz .LBB6_803
.LBB6_2475:                             ;   in Loop: Header=BB6_394 Depth=4
	v_cmp_ne_u16_e32 vcc_lo, 0, v56
	v_mov_b32_e32 v57, 0
	s_and_not1_b32 s36, s36, exec_lo
	s_and_b32 vcc_lo, vcc_lo, exec_lo
	s_delay_alu instid0(SALU_CYCLE_1)
	s_or_b32 s36, s36, vcc_lo
	s_or_b32 exec_lo, exec_lo, s13
	s_and_saveexec_b32 s13, s36
	s_cbranch_execnz .LBB6_804
	s_branch .LBB6_805
.LBB6_2476:                             ;   in Loop: Header=BB6_394 Depth=4
	s_mov_b32 s13, -1
	s_mov_b32 s38, exec_lo
                                        ; implicit-def: $sgpr36
	v_cmpx_eq_u16_e32 0x80, v59
; %bb.2477:                             ;   in Loop: Header=BB6_394 Depth=4
	s_mov_b32 s36, 0x7f800001
	s_xor_b32 s13, exec_lo, -1
; %bb.2478:                             ;   in Loop: Header=BB6_394 Depth=4
	s_or_b32 exec_lo, exec_lo, s38
	s_delay_alu instid0(SALU_CYCLE_1)
	s_and_b32 s13, s13, exec_lo
                                        ; implicit-def: $vgpr59
	s_or_saveexec_b32 s37, s37
	v_mov_b32_e32 v58, s36
	s_xor_b32 exec_lo, exec_lo, s37
	s_cbranch_execz .LBB6_807
.LBB6_2479:                             ;   in Loop: Header=BB6_394 Depth=4
	v_cmp_ne_u16_e32 vcc_lo, 0, v59
	v_mov_b32_e32 v58, 0
	s_and_not1_b32 s13, s13, exec_lo
	s_and_b32 vcc_lo, vcc_lo, exec_lo
	s_delay_alu instid0(SALU_CYCLE_1)
	s_or_b32 s13, s13, vcc_lo
	s_or_b32 exec_lo, exec_lo, s37
	s_and_saveexec_b32 s36, s13
	s_cbranch_execnz .LBB6_808
	s_branch .LBB6_809
.LBB6_2480:                             ;   in Loop: Header=BB6_394 Depth=4
	s_mov_b32 s13, -1
	s_mov_b32 s38, exec_lo
                                        ; implicit-def: $sgpr36
	v_cmpx_eq_u16_e32 0x80, v56
; %bb.2481:                             ;   in Loop: Header=BB6_394 Depth=4
	s_mov_b32 s36, 0x7f800001
	s_xor_b32 s13, exec_lo, -1
; %bb.2482:                             ;   in Loop: Header=BB6_394 Depth=4
	s_or_b32 exec_lo, exec_lo, s38
	s_delay_alu instid0(SALU_CYCLE_1)
	s_and_b32 s13, s13, exec_lo
                                        ; implicit-def: $vgpr56
	s_or_saveexec_b32 s37, s37
	v_mov_b32_e32 v57, s36
	s_xor_b32 exec_lo, exec_lo, s37
	s_cbranch_execz .LBB6_814
.LBB6_2483:                             ;   in Loop: Header=BB6_394 Depth=4
	v_cmp_ne_u16_e32 vcc_lo, 0, v56
	v_mov_b32_e32 v57, 0
	s_and_not1_b32 s13, s13, exec_lo
	s_and_b32 vcc_lo, vcc_lo, exec_lo
	s_delay_alu instid0(SALU_CYCLE_1)
	s_or_b32 s13, s13, vcc_lo
	s_or_b32 exec_lo, exec_lo, s37
	s_and_saveexec_b32 s36, s13
	s_cbranch_execnz .LBB6_815
	s_branch .LBB6_816
.LBB6_2484:                             ;   in Loop: Header=BB6_394 Depth=4
	s_mov_b32 s13, -1
	s_mov_b32 s38, exec_lo
                                        ; implicit-def: $sgpr36
	v_cmpx_eq_u16_e32 0x80, v56
; %bb.2485:                             ;   in Loop: Header=BB6_394 Depth=4
	s_mov_b32 s36, 0x7f800001
	s_xor_b32 s13, exec_lo, -1
; %bb.2486:                             ;   in Loop: Header=BB6_394 Depth=4
	s_or_b32 exec_lo, exec_lo, s38
	s_delay_alu instid0(SALU_CYCLE_1)
	s_and_b32 s13, s13, exec_lo
                                        ; implicit-def: $vgpr56
	s_or_saveexec_b32 s37, s37
	v_mov_b32_e32 v47, s36
	s_xor_b32 exec_lo, exec_lo, s37
	s_cbranch_execz .LBB6_818
.LBB6_2487:                             ;   in Loop: Header=BB6_394 Depth=4
	v_cmp_ne_u16_e32 vcc_lo, 0, v56
	v_mov_b32_e32 v47, 0
	s_and_not1_b32 s13, s13, exec_lo
	s_and_b32 vcc_lo, vcc_lo, exec_lo
	s_delay_alu instid0(SALU_CYCLE_1)
	s_or_b32 s13, s13, vcc_lo
	s_or_b32 exec_lo, exec_lo, s37
	s_and_saveexec_b32 s36, s13
	s_cbranch_execnz .LBB6_819
	s_branch .LBB6_820
.LBB6_2488:                             ;   in Loop: Header=BB6_394 Depth=4
	s_mov_b32 s36, -1
	s_mov_b32 s38, exec_lo
                                        ; implicit-def: $sgpr37
	v_cmpx_eq_u16_e32 0x80, v56
; %bb.2489:                             ;   in Loop: Header=BB6_394 Depth=4
	s_mov_b32 s37, 0x7f800001
	s_xor_b32 s36, exec_lo, -1
; %bb.2490:                             ;   in Loop: Header=BB6_394 Depth=4
	s_or_b32 exec_lo, exec_lo, s38
	s_delay_alu instid0(SALU_CYCLE_1)
	s_and_b32 s36, s36, exec_lo
	s_or_saveexec_b32 s13, s13
	v_mov_b32_e32 v57, s37
	s_xor_b32 exec_lo, exec_lo, s13
	s_cbranch_execz .LBB6_832
.LBB6_2491:                             ;   in Loop: Header=BB6_394 Depth=4
	v_cmp_ne_u16_e32 vcc_lo, 0, v56
	v_mov_b32_e32 v57, 0
	s_and_not1_b32 s36, s36, exec_lo
	s_and_b32 vcc_lo, vcc_lo, exec_lo
	s_delay_alu instid0(SALU_CYCLE_1)
	s_or_b32 s36, s36, vcc_lo
	s_or_b32 exec_lo, exec_lo, s13
	s_and_saveexec_b32 s13, s36
	s_cbranch_execnz .LBB6_833
	s_branch .LBB6_834
.LBB6_2492:                             ;   in Loop: Header=BB6_394 Depth=4
	s_mov_b32 s13, -1
	s_mov_b32 s38, exec_lo
                                        ; implicit-def: $sgpr36
	v_cmpx_eq_u16_e32 0x80, v47
; %bb.2493:                             ;   in Loop: Header=BB6_394 Depth=4
	s_mov_b32 s36, 0x7f800001
	s_xor_b32 s13, exec_lo, -1
; %bb.2494:                             ;   in Loop: Header=BB6_394 Depth=4
	s_or_b32 exec_lo, exec_lo, s38
	s_delay_alu instid0(SALU_CYCLE_1)
	s_and_b32 s13, s13, exec_lo
	s_or_saveexec_b32 s37, s37
	v_mov_b32_e32 v58, s36
	s_xor_b32 exec_lo, exec_lo, s37
	s_cbranch_execz .LBB6_836
.LBB6_2495:                             ;   in Loop: Header=BB6_394 Depth=4
	v_cmp_ne_u16_e32 vcc_lo, 0, v47
	v_mov_b32_e32 v58, 0
	s_and_not1_b32 s13, s13, exec_lo
	s_and_b32 vcc_lo, vcc_lo, exec_lo
	s_delay_alu instid0(SALU_CYCLE_1)
	s_or_b32 s13, s13, vcc_lo
	s_or_b32 exec_lo, exec_lo, s37
	s_and_saveexec_b32 s36, s13
	s_cbranch_execnz .LBB6_837
	s_branch .LBB6_838
.LBB6_2496:                             ;   in Loop: Header=BB6_394 Depth=4
	s_mov_b32 s13, -1
	s_mov_b32 s38, exec_lo
                                        ; implicit-def: $sgpr36
	v_cmpx_eq_u16_e32 0x80, v56
; %bb.2497:                             ;   in Loop: Header=BB6_394 Depth=4
	s_mov_b32 s36, 0x7f800001
	s_xor_b32 s13, exec_lo, -1
; %bb.2498:                             ;   in Loop: Header=BB6_394 Depth=4
	s_or_b32 exec_lo, exec_lo, s38
	s_delay_alu instid0(SALU_CYCLE_1)
	s_and_b32 s13, s13, exec_lo
	s_or_saveexec_b32 s37, s37
	v_mov_b32_e32 v57, s36
	s_xor_b32 exec_lo, exec_lo, s37
	s_cbranch_execz .LBB6_843
.LBB6_2499:                             ;   in Loop: Header=BB6_394 Depth=4
	v_cmp_ne_u16_e32 vcc_lo, 0, v56
	v_mov_b32_e32 v57, 0
	s_and_not1_b32 s13, s13, exec_lo
	s_and_b32 vcc_lo, vcc_lo, exec_lo
	s_delay_alu instid0(SALU_CYCLE_1)
	s_or_b32 s13, s13, vcc_lo
	s_or_b32 exec_lo, exec_lo, s37
	s_and_saveexec_b32 s36, s13
	s_cbranch_execnz .LBB6_844
	s_branch .LBB6_845
.LBB6_2500:                             ;   in Loop: Header=BB6_394 Depth=4
	s_mov_b32 s13, -1
	s_mov_b32 s38, exec_lo
                                        ; implicit-def: $sgpr36
	v_cmpx_eq_u16_e32 0x80, v47
; %bb.2501:                             ;   in Loop: Header=BB6_394 Depth=4
	s_mov_b32 s36, 0x7f800001
	s_xor_b32 s13, exec_lo, -1
; %bb.2502:                             ;   in Loop: Header=BB6_394 Depth=4
	s_or_b32 exec_lo, exec_lo, s38
	s_delay_alu instid0(SALU_CYCLE_1)
	s_and_b32 s13, s13, exec_lo
	s_or_saveexec_b32 s37, s37
	v_mov_b32_e32 v51, s36
	s_xor_b32 exec_lo, exec_lo, s37
	s_cbranch_execz .LBB6_847
.LBB6_2503:                             ;   in Loop: Header=BB6_394 Depth=4
	v_cmp_ne_u16_e32 vcc_lo, 0, v47
	v_mov_b32_e32 v51, 0
	s_and_not1_b32 s13, s13, exec_lo
	s_and_b32 vcc_lo, vcc_lo, exec_lo
	s_delay_alu instid0(SALU_CYCLE_1)
	s_or_b32 s13, s13, vcc_lo
	s_or_b32 exec_lo, exec_lo, s37
	s_and_saveexec_b32 s36, s13
	s_cbranch_execnz .LBB6_848
	s_branch .LBB6_849
.LBB6_2504:                             ;   in Loop: Header=BB6_394 Depth=4
	s_mov_b32 s36, -1
	s_mov_b32 s38, exec_lo
                                        ; implicit-def: $sgpr37
	v_cmpx_eq_u16_e32 0x80, v51
; %bb.2505:                             ;   in Loop: Header=BB6_394 Depth=4
	s_mov_b32 s37, 0x7f800001
	s_xor_b32 s36, exec_lo, -1
; %bb.2506:                             ;   in Loop: Header=BB6_394 Depth=4
	s_or_b32 exec_lo, exec_lo, s38
	s_delay_alu instid0(SALU_CYCLE_1)
	s_and_b32 s36, s36, exec_lo
	s_or_saveexec_b32 s13, s13
	v_mov_b32_e32 v47, s37
	s_xor_b32 exec_lo, exec_lo, s13
	s_cbranch_execz .LBB6_861
.LBB6_2507:                             ;   in Loop: Header=BB6_394 Depth=4
	v_cmp_ne_u16_e32 vcc_lo, 0, v51
	v_mov_b32_e32 v47, 0
	s_and_not1_b32 s36, s36, exec_lo
	s_and_b32 vcc_lo, vcc_lo, exec_lo
	s_delay_alu instid0(SALU_CYCLE_1)
	s_or_b32 s36, s36, vcc_lo
	s_or_b32 exec_lo, exec_lo, s13
	s_and_saveexec_b32 s13, s36
	s_cbranch_execnz .LBB6_862
	s_branch .LBB6_863
.LBB6_2508:                             ;   in Loop: Header=BB6_394 Depth=4
	s_mov_b32 s13, -1
	s_mov_b32 s38, exec_lo
                                        ; implicit-def: $sgpr36
	v_cmpx_eq_u16_e32 0x80, v57
; %bb.2509:                             ;   in Loop: Header=BB6_394 Depth=4
	s_mov_b32 s36, 0x7f800001
	s_xor_b32 s13, exec_lo, -1
; %bb.2510:                             ;   in Loop: Header=BB6_394 Depth=4
	s_or_b32 exec_lo, exec_lo, s38
	s_delay_alu instid0(SALU_CYCLE_1)
	s_and_b32 s13, s13, exec_lo
                                        ; implicit-def: $vgpr57
	s_or_saveexec_b32 s37, s37
	v_mov_b32_e32 v56, s36
	s_xor_b32 exec_lo, exec_lo, s37
	s_cbranch_execz .LBB6_865
.LBB6_2511:                             ;   in Loop: Header=BB6_394 Depth=4
	v_cmp_ne_u16_e32 vcc_lo, 0, v57
	v_mov_b32_e32 v56, 0
	s_and_not1_b32 s13, s13, exec_lo
	s_and_b32 vcc_lo, vcc_lo, exec_lo
	s_delay_alu instid0(SALU_CYCLE_1)
	s_or_b32 s13, s13, vcc_lo
	s_or_b32 exec_lo, exec_lo, s37
	s_and_saveexec_b32 s36, s13
	s_cbranch_execnz .LBB6_866
	s_branch .LBB6_867
.LBB6_2512:                             ;   in Loop: Header=BB6_394 Depth=4
	s_mov_b32 s13, -1
	s_mov_b32 s38, exec_lo
                                        ; implicit-def: $sgpr36
	v_cmpx_eq_u16_e32 0x80, v51
; %bb.2513:                             ;   in Loop: Header=BB6_394 Depth=4
	s_mov_b32 s36, 0x7f800001
	s_xor_b32 s13, exec_lo, -1
; %bb.2514:                             ;   in Loop: Header=BB6_394 Depth=4
	s_or_b32 exec_lo, exec_lo, s38
	s_delay_alu instid0(SALU_CYCLE_1)
	s_and_b32 s13, s13, exec_lo
                                        ; implicit-def: $vgpr51
	s_or_saveexec_b32 s37, s37
	v_mov_b32_e32 v47, s36
	s_xor_b32 exec_lo, exec_lo, s37
	s_cbranch_execz .LBB6_872
.LBB6_2515:                             ;   in Loop: Header=BB6_394 Depth=4
	v_cmp_ne_u16_e32 vcc_lo, 0, v51
	v_mov_b32_e32 v47, 0
	s_and_not1_b32 s13, s13, exec_lo
	s_and_b32 vcc_lo, vcc_lo, exec_lo
	s_delay_alu instid0(SALU_CYCLE_1)
	s_or_b32 s13, s13, vcc_lo
	s_or_b32 exec_lo, exec_lo, s37
	s_and_saveexec_b32 s36, s13
	s_cbranch_execnz .LBB6_873
	s_branch .LBB6_874
.LBB6_2516:                             ;   in Loop: Header=BB6_394 Depth=4
	s_mov_b32 s13, -1
	s_mov_b32 s38, exec_lo
                                        ; implicit-def: $sgpr36
	v_cmpx_eq_u16_e32 0x80, v56
; %bb.2517:                             ;   in Loop: Header=BB6_394 Depth=4
	s_mov_b32 s36, 0x7f800001
	s_xor_b32 s13, exec_lo, -1
; %bb.2518:                             ;   in Loop: Header=BB6_394 Depth=4
	s_or_b32 exec_lo, exec_lo, s38
	s_delay_alu instid0(SALU_CYCLE_1)
	s_and_b32 s13, s13, exec_lo
                                        ; implicit-def: $vgpr56
	s_or_saveexec_b32 s37, s37
	v_mov_b32_e32 v51, s36
	s_xor_b32 exec_lo, exec_lo, s37
	s_cbranch_execz .LBB6_876
.LBB6_2519:                             ;   in Loop: Header=BB6_394 Depth=4
	v_cmp_ne_u16_e32 vcc_lo, 0, v56
	v_mov_b32_e32 v51, 0
	s_and_not1_b32 s13, s13, exec_lo
	s_and_b32 vcc_lo, vcc_lo, exec_lo
	s_delay_alu instid0(SALU_CYCLE_1)
	s_or_b32 s13, s13, vcc_lo
	s_or_b32 exec_lo, exec_lo, s37
	s_and_saveexec_b32 s36, s13
	s_cbranch_execnz .LBB6_877
	s_branch .LBB6_878
.LBB6_2520:                             ;   in Loop: Header=BB6_394 Depth=4
	s_mov_b32 s36, -1
	s_mov_b32 s38, exec_lo
                                        ; implicit-def: $sgpr37
	v_cmpx_eq_u16_e32 0x80, v56
; %bb.2521:                             ;   in Loop: Header=BB6_394 Depth=4
	s_mov_b32 s37, 0x7f800001
	s_xor_b32 s36, exec_lo, -1
; %bb.2522:                             ;   in Loop: Header=BB6_394 Depth=4
	s_or_b32 exec_lo, exec_lo, s38
	s_delay_alu instid0(SALU_CYCLE_1)
	s_and_b32 s36, s36, exec_lo
	s_or_saveexec_b32 s13, s13
	v_mov_b32_e32 v57, s37
	s_xor_b32 exec_lo, exec_lo, s13
	s_cbranch_execz .LBB6_890
.LBB6_2523:                             ;   in Loop: Header=BB6_394 Depth=4
	v_cmp_ne_u16_e32 vcc_lo, 0, v56
	v_mov_b32_e32 v57, 0
	s_and_not1_b32 s36, s36, exec_lo
	s_and_b32 vcc_lo, vcc_lo, exec_lo
	s_delay_alu instid0(SALU_CYCLE_1)
	s_or_b32 s36, s36, vcc_lo
	s_or_b32 exec_lo, exec_lo, s13
	s_and_saveexec_b32 s13, s36
	s_cbranch_execnz .LBB6_891
	s_branch .LBB6_892
.LBB6_2524:                             ;   in Loop: Header=BB6_394 Depth=4
	s_mov_b32 s13, -1
	s_mov_b32 s38, exec_lo
                                        ; implicit-def: $sgpr36
	v_cmpx_eq_u16_e32 0x80, v47
; %bb.2525:                             ;   in Loop: Header=BB6_394 Depth=4
	s_mov_b32 s36, 0x7f800001
	s_xor_b32 s13, exec_lo, -1
; %bb.2526:                             ;   in Loop: Header=BB6_394 Depth=4
	s_or_b32 exec_lo, exec_lo, s38
	s_delay_alu instid0(SALU_CYCLE_1)
	s_and_b32 s13, s13, exec_lo
	s_or_saveexec_b32 s37, s37
	v_mov_b32_e32 v58, s36
	s_xor_b32 exec_lo, exec_lo, s37
	s_cbranch_execz .LBB6_894
.LBB6_2527:                             ;   in Loop: Header=BB6_394 Depth=4
	v_cmp_ne_u16_e32 vcc_lo, 0, v47
	v_mov_b32_e32 v58, 0
	s_and_not1_b32 s13, s13, exec_lo
	s_and_b32 vcc_lo, vcc_lo, exec_lo
	s_delay_alu instid0(SALU_CYCLE_1)
	s_or_b32 s13, s13, vcc_lo
	s_or_b32 exec_lo, exec_lo, s37
	s_and_saveexec_b32 s36, s13
	s_cbranch_execnz .LBB6_895
	s_branch .LBB6_896
.LBB6_2528:                             ;   in Loop: Header=BB6_394 Depth=4
	s_mov_b32 s13, -1
	s_mov_b32 s38, exec_lo
                                        ; implicit-def: $sgpr36
	v_cmpx_eq_u16_e32 0x80, v56
; %bb.2529:                             ;   in Loop: Header=BB6_394 Depth=4
	s_mov_b32 s36, 0x7f800001
	s_xor_b32 s13, exec_lo, -1
; %bb.2530:                             ;   in Loop: Header=BB6_394 Depth=4
	s_or_b32 exec_lo, exec_lo, s38
	s_delay_alu instid0(SALU_CYCLE_1)
	s_and_b32 s13, s13, exec_lo
	s_or_saveexec_b32 s37, s37
	v_mov_b32_e32 v57, s36
	s_xor_b32 exec_lo, exec_lo, s37
	s_cbranch_execz .LBB6_901
.LBB6_2531:                             ;   in Loop: Header=BB6_394 Depth=4
	v_cmp_ne_u16_e32 vcc_lo, 0, v56
	v_mov_b32_e32 v57, 0
	s_and_not1_b32 s13, s13, exec_lo
	s_and_b32 vcc_lo, vcc_lo, exec_lo
	s_delay_alu instid0(SALU_CYCLE_1)
	s_or_b32 s13, s13, vcc_lo
	s_or_b32 exec_lo, exec_lo, s37
	s_and_saveexec_b32 s36, s13
	s_cbranch_execnz .LBB6_902
	s_branch .LBB6_903
.LBB6_2532:                             ;   in Loop: Header=BB6_394 Depth=4
	s_mov_b32 s13, -1
	s_mov_b32 s38, exec_lo
                                        ; implicit-def: $sgpr36
	v_cmpx_eq_u16_e32 0x80, v47
; %bb.2533:                             ;   in Loop: Header=BB6_394 Depth=4
	s_mov_b32 s36, 0x7f800001
	s_xor_b32 s13, exec_lo, -1
; %bb.2534:                             ;   in Loop: Header=BB6_394 Depth=4
	s_or_b32 exec_lo, exec_lo, s38
	s_delay_alu instid0(SALU_CYCLE_1)
	s_and_b32 s13, s13, exec_lo
	s_or_saveexec_b32 s37, s37
	v_mov_b32_e32 v56, s36
	s_xor_b32 exec_lo, exec_lo, s37
	s_cbranch_execz .LBB6_905
.LBB6_2535:                             ;   in Loop: Header=BB6_394 Depth=4
	v_cmp_ne_u16_e32 vcc_lo, 0, v47
	v_mov_b32_e32 v56, 0
	s_and_not1_b32 s13, s13, exec_lo
	s_and_b32 vcc_lo, vcc_lo, exec_lo
	s_delay_alu instid0(SALU_CYCLE_1)
	s_or_b32 s13, s13, vcc_lo
	s_or_b32 exec_lo, exec_lo, s37
	s_and_saveexec_b32 s36, s13
	s_cbranch_execnz .LBB6_906
	s_branch .LBB6_907
.LBB6_2536:                             ;   in Loop: Header=BB6_394 Depth=4
	s_mov_b32 s36, -1
	s_mov_b32 s38, exec_lo
                                        ; implicit-def: $sgpr37
	v_cmpx_eq_u16_e32 0x80, v58
; %bb.2537:                             ;   in Loop: Header=BB6_394 Depth=4
	s_mov_b32 s37, 0x7f800001
	s_xor_b32 s36, exec_lo, -1
; %bb.2538:                             ;   in Loop: Header=BB6_394 Depth=4
	s_or_b32 exec_lo, exec_lo, s38
	s_delay_alu instid0(SALU_CYCLE_1)
	s_and_b32 s36, s36, exec_lo
	s_or_saveexec_b32 s13, s13
	v_mov_b32_e32 v59, s37
	s_xor_b32 exec_lo, exec_lo, s13
	s_cbranch_execz .LBB6_919
.LBB6_2539:                             ;   in Loop: Header=BB6_394 Depth=4
	v_cmp_ne_u16_e32 vcc_lo, 0, v58
	v_mov_b32_e32 v59, 0
	s_and_not1_b32 s36, s36, exec_lo
	s_and_b32 vcc_lo, vcc_lo, exec_lo
	s_delay_alu instid0(SALU_CYCLE_1)
	s_or_b32 s36, s36, vcc_lo
	s_or_b32 exec_lo, exec_lo, s13
	s_and_saveexec_b32 s13, s36
	s_cbranch_execnz .LBB6_920
	s_branch .LBB6_921
.LBB6_2540:                             ;   in Loop: Header=BB6_394 Depth=4
	s_mov_b32 s13, -1
	s_mov_b32 s38, exec_lo
                                        ; implicit-def: $sgpr36
	v_cmpx_eq_u16_e32 0x80, v61
; %bb.2541:                             ;   in Loop: Header=BB6_394 Depth=4
	s_mov_b32 s36, 0x7f800001
	s_xor_b32 s13, exec_lo, -1
; %bb.2542:                             ;   in Loop: Header=BB6_394 Depth=4
	s_or_b32 exec_lo, exec_lo, s38
	s_delay_alu instid0(SALU_CYCLE_1)
	s_and_b32 s13, s13, exec_lo
                                        ; implicit-def: $vgpr61
	s_or_saveexec_b32 s37, s37
	v_mov_b32_e32 v60, s36
	s_xor_b32 exec_lo, exec_lo, s37
	s_cbranch_execz .LBB6_923
.LBB6_2543:                             ;   in Loop: Header=BB6_394 Depth=4
	v_cmp_ne_u16_e32 vcc_lo, 0, v61
	v_mov_b32_e32 v60, 0
	s_and_not1_b32 s13, s13, exec_lo
	s_and_b32 vcc_lo, vcc_lo, exec_lo
	s_delay_alu instid0(SALU_CYCLE_1)
	s_or_b32 s13, s13, vcc_lo
	s_or_b32 exec_lo, exec_lo, s37
	s_and_saveexec_b32 s36, s13
	s_cbranch_execnz .LBB6_924
	s_branch .LBB6_925
.LBB6_2544:                             ;   in Loop: Header=BB6_394 Depth=4
	s_mov_b32 s13, -1
	s_mov_b32 s38, exec_lo
                                        ; implicit-def: $sgpr36
	v_cmpx_eq_u16_e32 0x80, v58
; %bb.2545:                             ;   in Loop: Header=BB6_394 Depth=4
	s_mov_b32 s36, 0x7f800001
	s_xor_b32 s13, exec_lo, -1
; %bb.2546:                             ;   in Loop: Header=BB6_394 Depth=4
	s_or_b32 exec_lo, exec_lo, s38
	s_delay_alu instid0(SALU_CYCLE_1)
	s_and_b32 s13, s13, exec_lo
                                        ; implicit-def: $vgpr58
	s_or_saveexec_b32 s37, s37
	v_mov_b32_e32 v59, s36
	s_xor_b32 exec_lo, exec_lo, s37
	s_cbranch_execz .LBB6_930
.LBB6_2547:                             ;   in Loop: Header=BB6_394 Depth=4
	v_cmp_ne_u16_e32 vcc_lo, 0, v58
	v_mov_b32_e32 v59, 0
	s_and_not1_b32 s13, s13, exec_lo
	s_and_b32 vcc_lo, vcc_lo, exec_lo
	s_delay_alu instid0(SALU_CYCLE_1)
	s_or_b32 s13, s13, vcc_lo
	s_or_b32 exec_lo, exec_lo, s37
	s_and_saveexec_b32 s36, s13
	s_cbranch_execnz .LBB6_931
	s_branch .LBB6_932
.LBB6_2548:                             ;   in Loop: Header=BB6_394 Depth=4
	s_mov_b32 s13, -1
	s_mov_b32 s38, exec_lo
                                        ; implicit-def: $sgpr36
	v_cmpx_eq_u16_e32 0x80, v58
; %bb.2549:                             ;   in Loop: Header=BB6_394 Depth=4
	s_mov_b32 s36, 0x7f800001
	s_xor_b32 s13, exec_lo, -1
; %bb.2550:                             ;   in Loop: Header=BB6_394 Depth=4
	s_or_b32 exec_lo, exec_lo, s38
	s_delay_alu instid0(SALU_CYCLE_1)
	s_and_b32 s13, s13, exec_lo
                                        ; implicit-def: $vgpr58
	s_or_saveexec_b32 s37, s37
	v_mov_b32_e32 v57, s36
	s_xor_b32 exec_lo, exec_lo, s37
	s_cbranch_execz .LBB6_934
.LBB6_2551:                             ;   in Loop: Header=BB6_394 Depth=4
	v_cmp_ne_u16_e32 vcc_lo, 0, v58
	v_mov_b32_e32 v57, 0
	s_and_not1_b32 s13, s13, exec_lo
	s_and_b32 vcc_lo, vcc_lo, exec_lo
	s_delay_alu instid0(SALU_CYCLE_1)
	s_or_b32 s13, s13, vcc_lo
	s_or_b32 exec_lo, exec_lo, s37
	s_and_saveexec_b32 s36, s13
	s_cbranch_execnz .LBB6_935
	s_branch .LBB6_936
.LBB6_2552:                             ;   in Loop: Header=BB6_394 Depth=4
	s_mov_b32 s36, -1
	s_mov_b32 s38, exec_lo
                                        ; implicit-def: $sgpr37
	v_cmpx_eq_u16_e32 0x80, v58
; %bb.2553:                             ;   in Loop: Header=BB6_394 Depth=4
	s_mov_b32 s37, 0x7f800001
	s_xor_b32 s36, exec_lo, -1
; %bb.2554:                             ;   in Loop: Header=BB6_394 Depth=4
	s_or_b32 exec_lo, exec_lo, s38
	s_delay_alu instid0(SALU_CYCLE_1)
	s_and_b32 s36, s36, exec_lo
	s_or_saveexec_b32 s13, s13
	v_mov_b32_e32 v59, s37
	s_xor_b32 exec_lo, exec_lo, s13
	s_cbranch_execz .LBB6_948
.LBB6_2555:                             ;   in Loop: Header=BB6_394 Depth=4
	v_cmp_ne_u16_e32 vcc_lo, 0, v58
	v_mov_b32_e32 v59, 0
	s_and_not1_b32 s36, s36, exec_lo
	s_and_b32 vcc_lo, vcc_lo, exec_lo
	s_delay_alu instid0(SALU_CYCLE_1)
	s_or_b32 s36, s36, vcc_lo
	s_or_b32 exec_lo, exec_lo, s13
	s_and_saveexec_b32 s13, s36
	s_cbranch_execnz .LBB6_949
	s_branch .LBB6_950
.LBB6_2556:                             ;   in Loop: Header=BB6_394 Depth=4
	s_mov_b32 s13, -1
	s_mov_b32 s38, exec_lo
                                        ; implicit-def: $sgpr36
	v_cmpx_eq_u16_e32 0x80, v57
; %bb.2557:                             ;   in Loop: Header=BB6_394 Depth=4
	s_mov_b32 s36, 0x7f800001
	s_xor_b32 s13, exec_lo, -1
; %bb.2558:                             ;   in Loop: Header=BB6_394 Depth=4
	s_or_b32 exec_lo, exec_lo, s38
	s_delay_alu instid0(SALU_CYCLE_1)
	s_and_b32 s13, s13, exec_lo
	s_or_saveexec_b32 s37, s37
	v_mov_b32_e32 v60, s36
	s_xor_b32 exec_lo, exec_lo, s37
	s_cbranch_execz .LBB6_952
.LBB6_2559:                             ;   in Loop: Header=BB6_394 Depth=4
	v_cmp_ne_u16_e32 vcc_lo, 0, v57
	v_mov_b32_e32 v60, 0
	s_and_not1_b32 s13, s13, exec_lo
	s_and_b32 vcc_lo, vcc_lo, exec_lo
	s_delay_alu instid0(SALU_CYCLE_1)
	s_or_b32 s13, s13, vcc_lo
	s_or_b32 exec_lo, exec_lo, s37
	s_and_saveexec_b32 s36, s13
	s_cbranch_execnz .LBB6_953
	s_branch .LBB6_954
.LBB6_2560:                             ;   in Loop: Header=BB6_394 Depth=4
	s_mov_b32 s13, -1
	s_mov_b32 s38, exec_lo
                                        ; implicit-def: $sgpr36
	v_cmpx_eq_u16_e32 0x80, v58
; %bb.2561:                             ;   in Loop: Header=BB6_394 Depth=4
	s_mov_b32 s36, 0x7f800001
	s_xor_b32 s13, exec_lo, -1
; %bb.2562:                             ;   in Loop: Header=BB6_394 Depth=4
	s_or_b32 exec_lo, exec_lo, s38
	s_delay_alu instid0(SALU_CYCLE_1)
	s_and_b32 s13, s13, exec_lo
	s_or_saveexec_b32 s37, s37
	v_mov_b32_e32 v59, s36
	s_xor_b32 exec_lo, exec_lo, s37
	s_cbranch_execz .LBB6_959
.LBB6_2563:                             ;   in Loop: Header=BB6_394 Depth=4
	v_cmp_ne_u16_e32 vcc_lo, 0, v58
	v_mov_b32_e32 v59, 0
	s_and_not1_b32 s13, s13, exec_lo
	s_and_b32 vcc_lo, vcc_lo, exec_lo
	s_delay_alu instid0(SALU_CYCLE_1)
	s_or_b32 s13, s13, vcc_lo
	s_or_b32 exec_lo, exec_lo, s37
	s_and_saveexec_b32 s36, s13
	s_cbranch_execnz .LBB6_960
	s_branch .LBB6_961
.LBB6_2564:                             ;   in Loop: Header=BB6_394 Depth=4
	s_mov_b32 s13, -1
	s_mov_b32 s38, exec_lo
                                        ; implicit-def: $sgpr36
	v_cmpx_eq_u16_e32 0x80, v57
; %bb.2565:                             ;   in Loop: Header=BB6_394 Depth=4
	s_mov_b32 s36, 0x7f800001
	s_xor_b32 s13, exec_lo, -1
; %bb.2566:                             ;   in Loop: Header=BB6_394 Depth=4
	s_or_b32 exec_lo, exec_lo, s38
	s_delay_alu instid0(SALU_CYCLE_1)
	s_and_b32 s13, s13, exec_lo
	s_or_saveexec_b32 s37, s37
	v_mov_b32_e32 v32, s36
	s_xor_b32 exec_lo, exec_lo, s37
	s_cbranch_execz .LBB6_963
.LBB6_2567:                             ;   in Loop: Header=BB6_394 Depth=4
	v_cmp_ne_u16_e32 vcc_lo, 0, v57
	v_mov_b32_e32 v32, 0
	s_and_not1_b32 s13, s13, exec_lo
	s_and_b32 vcc_lo, vcc_lo, exec_lo
	s_delay_alu instid0(SALU_CYCLE_1)
	s_or_b32 s13, s13, vcc_lo
	s_or_b32 exec_lo, exec_lo, s37
	s_and_saveexec_b32 s36, s13
	s_cbranch_execnz .LBB6_964
	s_branch .LBB6_965
.LBB6_2568:                             ;   in Loop: Header=BB6_394 Depth=4
	s_mov_b32 s36, -1
	s_mov_b32 s38, exec_lo
                                        ; implicit-def: $sgpr37
	v_cmpx_eq_u16_e32 0x80, v32
; %bb.2569:                             ;   in Loop: Header=BB6_394 Depth=4
	s_mov_b32 s37, 0x7f800001
	s_xor_b32 s36, exec_lo, -1
; %bb.2570:                             ;   in Loop: Header=BB6_394 Depth=4
	s_or_b32 exec_lo, exec_lo, s38
	s_delay_alu instid0(SALU_CYCLE_1)
	s_and_b32 s36, s36, exec_lo
	s_or_saveexec_b32 s13, s13
	v_mov_b32_e32 v57, s37
	s_xor_b32 exec_lo, exec_lo, s13
	s_cbranch_execz .LBB6_977
.LBB6_2571:                             ;   in Loop: Header=BB6_394 Depth=4
	v_cmp_ne_u16_e32 vcc_lo, 0, v32
	v_mov_b32_e32 v57, 0
	s_and_not1_b32 s36, s36, exec_lo
	s_and_b32 vcc_lo, vcc_lo, exec_lo
	s_delay_alu instid0(SALU_CYCLE_1)
	s_or_b32 s36, s36, vcc_lo
	s_or_b32 exec_lo, exec_lo, s13
	s_and_saveexec_b32 s13, s36
	s_cbranch_execnz .LBB6_978
	s_branch .LBB6_979
.LBB6_2572:                             ;   in Loop: Header=BB6_394 Depth=4
	s_mov_b32 s13, -1
	s_mov_b32 s38, exec_lo
                                        ; implicit-def: $sgpr36
	v_cmpx_eq_u16_e32 0x80, v59
; %bb.2573:                             ;   in Loop: Header=BB6_394 Depth=4
	s_mov_b32 s36, 0x7f800001
	s_xor_b32 s13, exec_lo, -1
; %bb.2574:                             ;   in Loop: Header=BB6_394 Depth=4
	s_or_b32 exec_lo, exec_lo, s38
	s_delay_alu instid0(SALU_CYCLE_1)
	s_and_b32 s13, s13, exec_lo
                                        ; implicit-def: $vgpr59
	s_or_saveexec_b32 s37, s37
	v_mov_b32_e32 v58, s36
	s_xor_b32 exec_lo, exec_lo, s37
	s_cbranch_execz .LBB6_981
.LBB6_2575:                             ;   in Loop: Header=BB6_394 Depth=4
	v_cmp_ne_u16_e32 vcc_lo, 0, v59
	v_mov_b32_e32 v58, 0
	s_and_not1_b32 s13, s13, exec_lo
	s_and_b32 vcc_lo, vcc_lo, exec_lo
	s_delay_alu instid0(SALU_CYCLE_1)
	s_or_b32 s13, s13, vcc_lo
	s_or_b32 exec_lo, exec_lo, s37
	s_and_saveexec_b32 s36, s13
	s_cbranch_execnz .LBB6_982
	s_branch .LBB6_983
.LBB6_2576:                             ;   in Loop: Header=BB6_394 Depth=4
	s_mov_b32 s13, -1
	s_mov_b32 s38, exec_lo
                                        ; implicit-def: $sgpr36
	v_cmpx_eq_u16_e32 0x80, v32
; %bb.2577:                             ;   in Loop: Header=BB6_394 Depth=4
	s_mov_b32 s36, 0x7f800001
	s_xor_b32 s13, exec_lo, -1
; %bb.2578:                             ;   in Loop: Header=BB6_394 Depth=4
	s_or_b32 exec_lo, exec_lo, s38
	s_delay_alu instid0(SALU_CYCLE_1)
	s_and_b32 s13, s13, exec_lo
                                        ; implicit-def: $vgpr32
	s_or_saveexec_b32 s37, s37
	v_mov_b32_e32 v57, s36
	s_xor_b32 exec_lo, exec_lo, s37
	s_cbranch_execz .LBB6_988
.LBB6_2579:                             ;   in Loop: Header=BB6_394 Depth=4
	v_cmp_ne_u16_e32 vcc_lo, 0, v32
	v_mov_b32_e32 v57, 0
	s_and_not1_b32 s13, s13, exec_lo
	s_and_b32 vcc_lo, vcc_lo, exec_lo
	s_delay_alu instid0(SALU_CYCLE_1)
	s_or_b32 s13, s13, vcc_lo
	s_or_b32 exec_lo, exec_lo, s37
	s_and_saveexec_b32 s36, s13
	s_cbranch_execnz .LBB6_989
	s_branch .LBB6_990
.LBB6_2580:                             ;   in Loop: Header=BB6_394 Depth=4
	s_mov_b32 s13, -1
	s_mov_b32 s38, exec_lo
                                        ; implicit-def: $sgpr36
	v_cmpx_eq_u16_e32 0x80, v58
; %bb.2581:                             ;   in Loop: Header=BB6_394 Depth=4
	s_mov_b32 s36, 0x7f800001
	s_xor_b32 s13, exec_lo, -1
; %bb.2582:                             ;   in Loop: Header=BB6_394 Depth=4
	s_or_b32 exec_lo, exec_lo, s38
	s_delay_alu instid0(SALU_CYCLE_1)
	s_and_b32 s13, s13, exec_lo
                                        ; implicit-def: $vgpr58
	s_or_saveexec_b32 s37, s37
	v_mov_b32_e32 v32, s36
	s_xor_b32 exec_lo, exec_lo, s37
	s_cbranch_execz .LBB6_992
.LBB6_2583:                             ;   in Loop: Header=BB6_394 Depth=4
	v_cmp_ne_u16_e32 vcc_lo, 0, v58
	v_mov_b32_e32 v32, 0
	s_and_not1_b32 s13, s13, exec_lo
	s_and_b32 vcc_lo, vcc_lo, exec_lo
	s_delay_alu instid0(SALU_CYCLE_1)
	s_or_b32 s13, s13, vcc_lo
	s_or_b32 exec_lo, exec_lo, s37
	s_and_saveexec_b32 s36, s13
	s_cbranch_execnz .LBB6_993
	s_branch .LBB6_994
.LBB6_2584:                             ;   in Loop: Header=BB6_394 Depth=4
	s_mov_b32 s36, -1
	s_mov_b32 s38, exec_lo
                                        ; implicit-def: $sgpr37
	v_cmpx_eq_u16_e32 0x80, v58
; %bb.2585:                             ;   in Loop: Header=BB6_394 Depth=4
	s_mov_b32 s37, 0x7f800001
	s_xor_b32 s36, exec_lo, -1
; %bb.2586:                             ;   in Loop: Header=BB6_394 Depth=4
	s_or_b32 exec_lo, exec_lo, s38
	s_delay_alu instid0(SALU_CYCLE_1)
	s_and_b32 s36, s36, exec_lo
	s_or_saveexec_b32 s13, s13
	v_mov_b32_e32 v59, s37
	s_xor_b32 exec_lo, exec_lo, s13
	s_cbranch_execz .LBB6_1006
.LBB6_2587:                             ;   in Loop: Header=BB6_394 Depth=4
	v_cmp_ne_u16_e32 vcc_lo, 0, v58
	v_mov_b32_e32 v59, 0
	s_and_not1_b32 s36, s36, exec_lo
	s_and_b32 vcc_lo, vcc_lo, exec_lo
	s_delay_alu instid0(SALU_CYCLE_1)
	s_or_b32 s36, s36, vcc_lo
	s_or_b32 exec_lo, exec_lo, s13
	s_and_saveexec_b32 s13, s36
	s_cbranch_execnz .LBB6_1007
	s_branch .LBB6_1008
.LBB6_2588:                             ;   in Loop: Header=BB6_394 Depth=4
	s_mov_b32 s13, -1
	s_mov_b32 s38, exec_lo
                                        ; implicit-def: $sgpr36
	v_cmpx_eq_u16_e32 0x80, v57
; %bb.2589:                             ;   in Loop: Header=BB6_394 Depth=4
	s_mov_b32 s36, 0x7f800001
	s_xor_b32 s13, exec_lo, -1
; %bb.2590:                             ;   in Loop: Header=BB6_394 Depth=4
	s_or_b32 exec_lo, exec_lo, s38
	s_delay_alu instid0(SALU_CYCLE_1)
	s_and_b32 s13, s13, exec_lo
	s_or_saveexec_b32 s37, s37
	v_mov_b32_e32 v60, s36
	s_xor_b32 exec_lo, exec_lo, s37
	s_cbranch_execz .LBB6_1010
.LBB6_2591:                             ;   in Loop: Header=BB6_394 Depth=4
	v_cmp_ne_u16_e32 vcc_lo, 0, v57
	v_mov_b32_e32 v60, 0
	s_and_not1_b32 s13, s13, exec_lo
	s_and_b32 vcc_lo, vcc_lo, exec_lo
	s_delay_alu instid0(SALU_CYCLE_1)
	s_or_b32 s13, s13, vcc_lo
	s_or_b32 exec_lo, exec_lo, s37
	s_and_saveexec_b32 s36, s13
	s_cbranch_execnz .LBB6_1011
	s_branch .LBB6_1012
.LBB6_2592:                             ;   in Loop: Header=BB6_394 Depth=4
	s_mov_b32 s13, -1
	s_mov_b32 s38, exec_lo
                                        ; implicit-def: $sgpr36
	v_cmpx_eq_u16_e32 0x80, v58
; %bb.2593:                             ;   in Loop: Header=BB6_394 Depth=4
	s_mov_b32 s36, 0x7f800001
	s_xor_b32 s13, exec_lo, -1
; %bb.2594:                             ;   in Loop: Header=BB6_394 Depth=4
	s_or_b32 exec_lo, exec_lo, s38
	s_delay_alu instid0(SALU_CYCLE_1)
	s_and_b32 s13, s13, exec_lo
	s_or_saveexec_b32 s37, s37
	v_mov_b32_e32 v59, s36
	s_xor_b32 exec_lo, exec_lo, s37
	s_cbranch_execz .LBB6_1017
.LBB6_2595:                             ;   in Loop: Header=BB6_394 Depth=4
	v_cmp_ne_u16_e32 vcc_lo, 0, v58
	v_mov_b32_e32 v59, 0
	s_and_not1_b32 s13, s13, exec_lo
	s_and_b32 vcc_lo, vcc_lo, exec_lo
	s_delay_alu instid0(SALU_CYCLE_1)
	s_or_b32 s13, s13, vcc_lo
	s_or_b32 exec_lo, exec_lo, s37
	s_and_saveexec_b32 s36, s13
	s_cbranch_execnz .LBB6_1018
	s_branch .LBB6_1019
.LBB6_2596:                             ;   in Loop: Header=BB6_394 Depth=4
	s_mov_b32 s13, -1
	s_mov_b32 s38, exec_lo
                                        ; implicit-def: $sgpr36
	v_cmpx_eq_u16_e32 0x80, v57
; %bb.2597:                             ;   in Loop: Header=BB6_394 Depth=4
	s_mov_b32 s36, 0x7f800001
	s_xor_b32 s13, exec_lo, -1
; %bb.2598:                             ;   in Loop: Header=BB6_394 Depth=4
	s_or_b32 exec_lo, exec_lo, s38
	s_delay_alu instid0(SALU_CYCLE_1)
	s_and_b32 s13, s13, exec_lo
	s_or_saveexec_b32 s37, s37
	v_mov_b32_e32 v58, s36
	s_xor_b32 exec_lo, exec_lo, s37
	s_cbranch_execz .LBB6_1021
.LBB6_2599:                             ;   in Loop: Header=BB6_394 Depth=4
	v_cmp_ne_u16_e32 vcc_lo, 0, v57
	v_mov_b32_e32 v58, 0
	s_and_not1_b32 s13, s13, exec_lo
	s_and_b32 vcc_lo, vcc_lo, exec_lo
	s_delay_alu instid0(SALU_CYCLE_1)
	s_or_b32 s13, s13, vcc_lo
	s_or_b32 exec_lo, exec_lo, s37
	s_and_saveexec_b32 s36, s13
	s_cbranch_execnz .LBB6_1022
	s_branch .LBB6_1023
.LBB6_2600:                             ;   in Loop: Header=BB6_394 Depth=4
	s_mov_b32 s36, -1
	s_mov_b32 s38, exec_lo
                                        ; implicit-def: $sgpr37
	v_cmpx_eq_u16_e32 0x80, v60
; %bb.2601:                             ;   in Loop: Header=BB6_394 Depth=4
	s_mov_b32 s37, 0x7f800001
	s_xor_b32 s36, exec_lo, -1
; %bb.2602:                             ;   in Loop: Header=BB6_394 Depth=4
	s_or_b32 exec_lo, exec_lo, s38
	s_delay_alu instid0(SALU_CYCLE_1)
	s_and_b32 s36, s36, exec_lo
	s_or_saveexec_b32 s13, s13
	v_mov_b32_e32 v61, s37
	s_xor_b32 exec_lo, exec_lo, s13
	s_cbranch_execz .LBB6_1035
.LBB6_2603:                             ;   in Loop: Header=BB6_394 Depth=4
	v_cmp_ne_u16_e32 vcc_lo, 0, v60
	v_mov_b32_e32 v61, 0
	s_and_not1_b32 s36, s36, exec_lo
	s_and_b32 vcc_lo, vcc_lo, exec_lo
	s_delay_alu instid0(SALU_CYCLE_1)
	s_or_b32 s36, s36, vcc_lo
	s_or_b32 exec_lo, exec_lo, s13
	s_and_saveexec_b32 s13, s36
	s_cbranch_execnz .LBB6_1036
	s_branch .LBB6_1037
.LBB6_2604:                             ;   in Loop: Header=BB6_394 Depth=4
	s_mov_b32 s13, -1
	s_mov_b32 s38, exec_lo
                                        ; implicit-def: $sgpr36
	v_cmpx_eq_u16_e32 0x80, v63
; %bb.2605:                             ;   in Loop: Header=BB6_394 Depth=4
	s_mov_b32 s36, 0x7f800001
	s_xor_b32 s13, exec_lo, -1
; %bb.2606:                             ;   in Loop: Header=BB6_394 Depth=4
	s_or_b32 exec_lo, exec_lo, s38
	s_delay_alu instid0(SALU_CYCLE_1)
	s_and_b32 s13, s13, exec_lo
                                        ; implicit-def: $vgpr63
	s_or_saveexec_b32 s37, s37
	v_mov_b32_e32 v62, s36
	s_xor_b32 exec_lo, exec_lo, s37
	s_cbranch_execz .LBB6_1039
.LBB6_2607:                             ;   in Loop: Header=BB6_394 Depth=4
	v_cmp_ne_u16_e32 vcc_lo, 0, v63
	v_mov_b32_e32 v62, 0
	s_and_not1_b32 s13, s13, exec_lo
	s_and_b32 vcc_lo, vcc_lo, exec_lo
	s_delay_alu instid0(SALU_CYCLE_1)
	s_or_b32 s13, s13, vcc_lo
	s_or_b32 exec_lo, exec_lo, s37
	s_and_saveexec_b32 s36, s13
	s_cbranch_execnz .LBB6_1040
	s_branch .LBB6_1041
.LBB6_2608:                             ;   in Loop: Header=BB6_394 Depth=4
	s_mov_b32 s13, -1
	s_mov_b32 s38, exec_lo
                                        ; implicit-def: $sgpr36
	v_cmpx_eq_u16_e32 0x80, v60
; %bb.2609:                             ;   in Loop: Header=BB6_394 Depth=4
	s_mov_b32 s36, 0x7f800001
	s_xor_b32 s13, exec_lo, -1
; %bb.2610:                             ;   in Loop: Header=BB6_394 Depth=4
	s_or_b32 exec_lo, exec_lo, s38
	s_delay_alu instid0(SALU_CYCLE_1)
	s_and_b32 s13, s13, exec_lo
                                        ; implicit-def: $vgpr60
	s_or_saveexec_b32 s37, s37
	v_mov_b32_e32 v61, s36
	s_xor_b32 exec_lo, exec_lo, s37
	s_cbranch_execz .LBB6_1046
.LBB6_2611:                             ;   in Loop: Header=BB6_394 Depth=4
	v_cmp_ne_u16_e32 vcc_lo, 0, v60
	v_mov_b32_e32 v61, 0
	s_and_not1_b32 s13, s13, exec_lo
	s_and_b32 vcc_lo, vcc_lo, exec_lo
	s_delay_alu instid0(SALU_CYCLE_1)
	s_or_b32 s13, s13, vcc_lo
	s_or_b32 exec_lo, exec_lo, s37
	s_and_saveexec_b32 s36, s13
	s_cbranch_execnz .LBB6_1047
	s_branch .LBB6_1048
.LBB6_2612:                             ;   in Loop: Header=BB6_394 Depth=4
	s_mov_b32 s13, -1
	s_mov_b32 s38, exec_lo
                                        ; implicit-def: $sgpr36
	v_cmpx_eq_u16_e32 0x80, v60
; %bb.2613:                             ;   in Loop: Header=BB6_394 Depth=4
	s_mov_b32 s36, 0x7f800001
	s_xor_b32 s13, exec_lo, -1
; %bb.2614:                             ;   in Loop: Header=BB6_394 Depth=4
	s_or_b32 exec_lo, exec_lo, s38
	s_delay_alu instid0(SALU_CYCLE_1)
	s_and_b32 s13, s13, exec_lo
                                        ; implicit-def: $vgpr60
	s_or_saveexec_b32 s37, s37
	v_mov_b32_e32 v59, s36
	s_xor_b32 exec_lo, exec_lo, s37
	s_cbranch_execz .LBB6_1050
.LBB6_2615:                             ;   in Loop: Header=BB6_394 Depth=4
	v_cmp_ne_u16_e32 vcc_lo, 0, v60
	v_mov_b32_e32 v59, 0
	s_and_not1_b32 s13, s13, exec_lo
	s_and_b32 vcc_lo, vcc_lo, exec_lo
	s_delay_alu instid0(SALU_CYCLE_1)
	s_or_b32 s13, s13, vcc_lo
	s_or_b32 exec_lo, exec_lo, s37
	s_and_saveexec_b32 s36, s13
	s_cbranch_execnz .LBB6_1051
	s_branch .LBB6_1052
.LBB6_2616:                             ;   in Loop: Header=BB6_394 Depth=4
	s_mov_b32 s36, -1
	s_mov_b32 s38, exec_lo
                                        ; implicit-def: $sgpr37
	v_cmpx_eq_u16_e32 0x80, v60
; %bb.2617:                             ;   in Loop: Header=BB6_394 Depth=4
	s_mov_b32 s37, 0x7f800001
	s_xor_b32 s36, exec_lo, -1
; %bb.2618:                             ;   in Loop: Header=BB6_394 Depth=4
	s_or_b32 exec_lo, exec_lo, s38
	s_delay_alu instid0(SALU_CYCLE_1)
	s_and_b32 s36, s36, exec_lo
	s_or_saveexec_b32 s13, s13
	v_mov_b32_e32 v61, s37
	s_xor_b32 exec_lo, exec_lo, s13
	s_cbranch_execz .LBB6_1064
.LBB6_2619:                             ;   in Loop: Header=BB6_394 Depth=4
	v_cmp_ne_u16_e32 vcc_lo, 0, v60
	v_mov_b32_e32 v61, 0
	s_and_not1_b32 s36, s36, exec_lo
	s_and_b32 vcc_lo, vcc_lo, exec_lo
	s_delay_alu instid0(SALU_CYCLE_1)
	s_or_b32 s36, s36, vcc_lo
	s_or_b32 exec_lo, exec_lo, s13
	s_and_saveexec_b32 s13, s36
	s_cbranch_execnz .LBB6_1065
	s_branch .LBB6_1066
.LBB6_2620:                             ;   in Loop: Header=BB6_394 Depth=4
	s_mov_b32 s13, -1
	s_mov_b32 s38, exec_lo
                                        ; implicit-def: $sgpr36
	v_cmpx_eq_u16_e32 0x80, v59
; %bb.2621:                             ;   in Loop: Header=BB6_394 Depth=4
	s_mov_b32 s36, 0x7f800001
	s_xor_b32 s13, exec_lo, -1
; %bb.2622:                             ;   in Loop: Header=BB6_394 Depth=4
	s_or_b32 exec_lo, exec_lo, s38
	s_delay_alu instid0(SALU_CYCLE_1)
	s_and_b32 s13, s13, exec_lo
	s_or_saveexec_b32 s37, s37
	v_mov_b32_e32 v62, s36
	s_xor_b32 exec_lo, exec_lo, s37
	s_cbranch_execz .LBB6_1068
.LBB6_2623:                             ;   in Loop: Header=BB6_394 Depth=4
	v_cmp_ne_u16_e32 vcc_lo, 0, v59
	v_mov_b32_e32 v62, 0
	s_and_not1_b32 s13, s13, exec_lo
	s_and_b32 vcc_lo, vcc_lo, exec_lo
	s_delay_alu instid0(SALU_CYCLE_1)
	s_or_b32 s13, s13, vcc_lo
	s_or_b32 exec_lo, exec_lo, s37
	s_and_saveexec_b32 s36, s13
	s_cbranch_execnz .LBB6_1069
	s_branch .LBB6_1070
.LBB6_2624:                             ;   in Loop: Header=BB6_394 Depth=4
	s_mov_b32 s13, -1
	s_mov_b32 s38, exec_lo
                                        ; implicit-def: $sgpr36
	v_cmpx_eq_u16_e32 0x80, v60
; %bb.2625:                             ;   in Loop: Header=BB6_394 Depth=4
	s_mov_b32 s36, 0x7f800001
	s_xor_b32 s13, exec_lo, -1
; %bb.2626:                             ;   in Loop: Header=BB6_394 Depth=4
	s_or_b32 exec_lo, exec_lo, s38
	s_delay_alu instid0(SALU_CYCLE_1)
	s_and_b32 s13, s13, exec_lo
	s_or_saveexec_b32 s37, s37
	v_mov_b32_e32 v61, s36
	s_xor_b32 exec_lo, exec_lo, s37
	s_cbranch_execz .LBB6_1075
.LBB6_2627:                             ;   in Loop: Header=BB6_394 Depth=4
	v_cmp_ne_u16_e32 vcc_lo, 0, v60
	v_mov_b32_e32 v61, 0
	s_and_not1_b32 s13, s13, exec_lo
	s_and_b32 vcc_lo, vcc_lo, exec_lo
	s_delay_alu instid0(SALU_CYCLE_1)
	s_or_b32 s13, s13, vcc_lo
	s_or_b32 exec_lo, exec_lo, s37
	s_and_saveexec_b32 s36, s13
	s_cbranch_execnz .LBB6_1076
	s_branch .LBB6_1077
.LBB6_2628:                             ;   in Loop: Header=BB6_394 Depth=4
	s_mov_b32 s13, -1
	s_mov_b32 s38, exec_lo
                                        ; implicit-def: $sgpr36
	v_cmpx_eq_u16_e32 0x80, v59
; %bb.2629:                             ;   in Loop: Header=BB6_394 Depth=4
	s_mov_b32 s36, 0x7f800001
	s_xor_b32 s13, exec_lo, -1
; %bb.2630:                             ;   in Loop: Header=BB6_394 Depth=4
	s_or_b32 exec_lo, exec_lo, s38
	s_delay_alu instid0(SALU_CYCLE_1)
	s_and_b32 s13, s13, exec_lo
	s_or_saveexec_b32 s37, s37
	v_mov_b32_e32 v33, s36
	s_xor_b32 exec_lo, exec_lo, s37
	s_cbranch_execz .LBB6_1079
.LBB6_2631:                             ;   in Loop: Header=BB6_394 Depth=4
	v_cmp_ne_u16_e32 vcc_lo, 0, v59
	v_mov_b32_e32 v33, 0
	s_and_not1_b32 s13, s13, exec_lo
	s_and_b32 vcc_lo, vcc_lo, exec_lo
	s_delay_alu instid0(SALU_CYCLE_1)
	s_or_b32 s13, s13, vcc_lo
	s_or_b32 exec_lo, exec_lo, s37
	s_and_saveexec_b32 s36, s13
	s_cbranch_execnz .LBB6_1080
	s_branch .LBB6_1081
.LBB6_2632:                             ;   in Loop: Header=BB6_394 Depth=4
	s_mov_b32 s36, -1
	s_mov_b32 s38, exec_lo
                                        ; implicit-def: $sgpr37
	v_cmpx_eq_u16_e32 0x80, v33
; %bb.2633:                             ;   in Loop: Header=BB6_394 Depth=4
	s_mov_b32 s37, 0x7f800001
	s_xor_b32 s36, exec_lo, -1
; %bb.2634:                             ;   in Loop: Header=BB6_394 Depth=4
	s_or_b32 exec_lo, exec_lo, s38
	s_delay_alu instid0(SALU_CYCLE_1)
	s_and_b32 s36, s36, exec_lo
	s_or_saveexec_b32 s13, s13
	v_mov_b32_e32 v59, s37
	s_xor_b32 exec_lo, exec_lo, s13
	s_cbranch_execz .LBB6_1093
.LBB6_2635:                             ;   in Loop: Header=BB6_394 Depth=4
	v_cmp_ne_u16_e32 vcc_lo, 0, v33
	v_mov_b32_e32 v59, 0
	s_and_not1_b32 s36, s36, exec_lo
	s_and_b32 vcc_lo, vcc_lo, exec_lo
	s_delay_alu instid0(SALU_CYCLE_1)
	s_or_b32 s36, s36, vcc_lo
	s_or_b32 exec_lo, exec_lo, s13
	s_and_saveexec_b32 s13, s36
	s_cbranch_execnz .LBB6_1094
	s_branch .LBB6_1095
.LBB6_2636:                             ;   in Loop: Header=BB6_394 Depth=4
	s_mov_b32 s13, -1
	s_mov_b32 s38, exec_lo
                                        ; implicit-def: $sgpr36
	v_cmpx_eq_u16_e32 0x80, v61
; %bb.2637:                             ;   in Loop: Header=BB6_394 Depth=4
	s_mov_b32 s36, 0x7f800001
	s_xor_b32 s13, exec_lo, -1
; %bb.2638:                             ;   in Loop: Header=BB6_394 Depth=4
	s_or_b32 exec_lo, exec_lo, s38
	s_delay_alu instid0(SALU_CYCLE_1)
	s_and_b32 s13, s13, exec_lo
                                        ; implicit-def: $vgpr61
	s_or_saveexec_b32 s37, s37
	v_mov_b32_e32 v60, s36
	s_xor_b32 exec_lo, exec_lo, s37
	s_cbranch_execz .LBB6_1097
.LBB6_2639:                             ;   in Loop: Header=BB6_394 Depth=4
	v_cmp_ne_u16_e32 vcc_lo, 0, v61
	v_mov_b32_e32 v60, 0
	s_and_not1_b32 s13, s13, exec_lo
	s_and_b32 vcc_lo, vcc_lo, exec_lo
	s_delay_alu instid0(SALU_CYCLE_1)
	s_or_b32 s13, s13, vcc_lo
	s_or_b32 exec_lo, exec_lo, s37
	s_and_saveexec_b32 s36, s13
	s_cbranch_execnz .LBB6_1098
	s_branch .LBB6_1099
.LBB6_2640:                             ;   in Loop: Header=BB6_394 Depth=4
	s_mov_b32 s13, -1
	s_mov_b32 s38, exec_lo
                                        ; implicit-def: $sgpr36
	v_cmpx_eq_u16_e32 0x80, v33
; %bb.2641:                             ;   in Loop: Header=BB6_394 Depth=4
	s_mov_b32 s36, 0x7f800001
	s_xor_b32 s13, exec_lo, -1
; %bb.2642:                             ;   in Loop: Header=BB6_394 Depth=4
	s_or_b32 exec_lo, exec_lo, s38
	s_delay_alu instid0(SALU_CYCLE_1)
	s_and_b32 s13, s13, exec_lo
                                        ; implicit-def: $vgpr33
	s_or_saveexec_b32 s37, s37
	v_mov_b32_e32 v59, s36
	s_xor_b32 exec_lo, exec_lo, s37
	s_cbranch_execz .LBB6_1104
.LBB6_2643:                             ;   in Loop: Header=BB6_394 Depth=4
	v_cmp_ne_u16_e32 vcc_lo, 0, v33
	v_mov_b32_e32 v59, 0
	s_and_not1_b32 s13, s13, exec_lo
	s_and_b32 vcc_lo, vcc_lo, exec_lo
	s_delay_alu instid0(SALU_CYCLE_1)
	s_or_b32 s13, s13, vcc_lo
	s_or_b32 exec_lo, exec_lo, s37
	s_and_saveexec_b32 s36, s13
	s_cbranch_execnz .LBB6_1105
	s_branch .LBB6_1106
.LBB6_2644:                             ;   in Loop: Header=BB6_394 Depth=4
	s_mov_b32 s13, -1
	s_mov_b32 s38, exec_lo
                                        ; implicit-def: $sgpr36
	v_cmpx_eq_u16_e32 0x80, v60
; %bb.2645:                             ;   in Loop: Header=BB6_394 Depth=4
	s_mov_b32 s36, 0x7f800001
	s_xor_b32 s13, exec_lo, -1
; %bb.2646:                             ;   in Loop: Header=BB6_394 Depth=4
	s_or_b32 exec_lo, exec_lo, s38
	s_delay_alu instid0(SALU_CYCLE_1)
	s_and_b32 s13, s13, exec_lo
                                        ; implicit-def: $vgpr60
	s_or_saveexec_b32 s37, s37
	v_mov_b32_e32 v33, s36
	s_xor_b32 exec_lo, exec_lo, s37
	s_cbranch_execz .LBB6_1108
.LBB6_2647:                             ;   in Loop: Header=BB6_394 Depth=4
	v_cmp_ne_u16_e32 vcc_lo, 0, v60
	v_mov_b32_e32 v33, 0
	s_and_not1_b32 s13, s13, exec_lo
	s_and_b32 vcc_lo, vcc_lo, exec_lo
	s_delay_alu instid0(SALU_CYCLE_1)
	s_or_b32 s13, s13, vcc_lo
	s_or_b32 exec_lo, exec_lo, s37
	s_and_saveexec_b32 s36, s13
	s_cbranch_execnz .LBB6_1109
	s_branch .LBB6_1110
.LBB6_2648:                             ;   in Loop: Header=BB6_394 Depth=4
	s_mov_b32 s36, -1
	s_mov_b32 s38, exec_lo
                                        ; implicit-def: $sgpr37
	v_cmpx_eq_u16_e32 0x80, v60
; %bb.2649:                             ;   in Loop: Header=BB6_394 Depth=4
	s_mov_b32 s37, 0x7f800001
	s_xor_b32 s36, exec_lo, -1
; %bb.2650:                             ;   in Loop: Header=BB6_394 Depth=4
	s_or_b32 exec_lo, exec_lo, s38
	s_delay_alu instid0(SALU_CYCLE_1)
	s_and_b32 s36, s36, exec_lo
	s_or_saveexec_b32 s13, s13
	v_mov_b32_e32 v61, s37
	s_xor_b32 exec_lo, exec_lo, s13
	s_cbranch_execz .LBB6_1122
.LBB6_2651:                             ;   in Loop: Header=BB6_394 Depth=4
	v_cmp_ne_u16_e32 vcc_lo, 0, v60
	v_mov_b32_e32 v61, 0
	s_and_not1_b32 s36, s36, exec_lo
	s_and_b32 vcc_lo, vcc_lo, exec_lo
	s_delay_alu instid0(SALU_CYCLE_1)
	s_or_b32 s36, s36, vcc_lo
	s_or_b32 exec_lo, exec_lo, s13
	s_and_saveexec_b32 s13, s36
	s_cbranch_execnz .LBB6_1123
	s_branch .LBB6_1124
.LBB6_2652:                             ;   in Loop: Header=BB6_394 Depth=4
	s_mov_b32 s13, -1
	s_mov_b32 s38, exec_lo
                                        ; implicit-def: $sgpr36
	v_cmpx_eq_u16_e32 0x80, v59
; %bb.2653:                             ;   in Loop: Header=BB6_394 Depth=4
	s_mov_b32 s36, 0x7f800001
	s_xor_b32 s13, exec_lo, -1
; %bb.2654:                             ;   in Loop: Header=BB6_394 Depth=4
	s_or_b32 exec_lo, exec_lo, s38
	s_delay_alu instid0(SALU_CYCLE_1)
	s_and_b32 s13, s13, exec_lo
	s_or_saveexec_b32 s37, s37
	v_mov_b32_e32 v62, s36
	s_xor_b32 exec_lo, exec_lo, s37
	s_cbranch_execz .LBB6_1126
.LBB6_2655:                             ;   in Loop: Header=BB6_394 Depth=4
	v_cmp_ne_u16_e32 vcc_lo, 0, v59
	v_mov_b32_e32 v62, 0
	s_and_not1_b32 s13, s13, exec_lo
	s_and_b32 vcc_lo, vcc_lo, exec_lo
	s_delay_alu instid0(SALU_CYCLE_1)
	s_or_b32 s13, s13, vcc_lo
	s_or_b32 exec_lo, exec_lo, s37
	s_and_saveexec_b32 s36, s13
	s_cbranch_execnz .LBB6_1127
	s_branch .LBB6_1128
.LBB6_2656:                             ;   in Loop: Header=BB6_394 Depth=4
	s_mov_b32 s13, -1
	s_mov_b32 s38, exec_lo
                                        ; implicit-def: $sgpr36
	v_cmpx_eq_u16_e32 0x80, v60
; %bb.2657:                             ;   in Loop: Header=BB6_394 Depth=4
	s_mov_b32 s36, 0x7f800001
	s_xor_b32 s13, exec_lo, -1
; %bb.2658:                             ;   in Loop: Header=BB6_394 Depth=4
	s_or_b32 exec_lo, exec_lo, s38
	s_delay_alu instid0(SALU_CYCLE_1)
	s_and_b32 s13, s13, exec_lo
	s_or_saveexec_b32 s37, s37
	v_mov_b32_e32 v61, s36
	s_xor_b32 exec_lo, exec_lo, s37
	s_cbranch_execz .LBB6_1133
.LBB6_2659:                             ;   in Loop: Header=BB6_394 Depth=4
	v_cmp_ne_u16_e32 vcc_lo, 0, v60
	v_mov_b32_e32 v61, 0
	s_and_not1_b32 s13, s13, exec_lo
	s_and_b32 vcc_lo, vcc_lo, exec_lo
	s_delay_alu instid0(SALU_CYCLE_1)
	s_or_b32 s13, s13, vcc_lo
	s_or_b32 exec_lo, exec_lo, s37
	s_and_saveexec_b32 s36, s13
	s_cbranch_execnz .LBB6_1134
	s_branch .LBB6_1135
.LBB6_2660:                             ;   in Loop: Header=BB6_394 Depth=4
	s_mov_b32 s13, -1
	s_mov_b32 s38, exec_lo
                                        ; implicit-def: $sgpr36
	v_cmpx_eq_u16_e32 0x80, v59
; %bb.2661:                             ;   in Loop: Header=BB6_394 Depth=4
	s_mov_b32 s36, 0x7f800001
	s_xor_b32 s13, exec_lo, -1
; %bb.2662:                             ;   in Loop: Header=BB6_394 Depth=4
	s_or_b32 exec_lo, exec_lo, s38
	s_delay_alu instid0(SALU_CYCLE_1)
	s_and_b32 s13, s13, exec_lo
	s_or_saveexec_b32 s37, s37
	v_mov_b32_e32 v60, s36
	s_xor_b32 exec_lo, exec_lo, s37
	s_cbranch_execz .LBB6_1137
.LBB6_2663:                             ;   in Loop: Header=BB6_394 Depth=4
	v_cmp_ne_u16_e32 vcc_lo, 0, v59
	v_mov_b32_e32 v60, 0
	s_and_not1_b32 s13, s13, exec_lo
	s_and_b32 vcc_lo, vcc_lo, exec_lo
	s_delay_alu instid0(SALU_CYCLE_1)
	s_or_b32 s13, s13, vcc_lo
	s_or_b32 exec_lo, exec_lo, s37
	s_and_saveexec_b32 s36, s13
	s_cbranch_execnz .LBB6_1138
	s_branch .LBB6_1139
.LBB6_2664:                             ;   in Loop: Header=BB6_394 Depth=4
	s_mov_b32 s36, -1
	s_mov_b32 s38, exec_lo
                                        ; implicit-def: $sgpr37
	v_cmpx_eq_u16_e32 0x80, v62
; %bb.2665:                             ;   in Loop: Header=BB6_394 Depth=4
	s_mov_b32 s37, 0x7f800001
	s_xor_b32 s36, exec_lo, -1
; %bb.2666:                             ;   in Loop: Header=BB6_394 Depth=4
	s_or_b32 exec_lo, exec_lo, s38
	s_delay_alu instid0(SALU_CYCLE_1)
	s_and_b32 s36, s36, exec_lo
	s_or_saveexec_b32 s13, s13
	v_mov_b32_e32 v63, s37
	s_xor_b32 exec_lo, exec_lo, s13
	s_cbranch_execz .LBB6_1151
.LBB6_2667:                             ;   in Loop: Header=BB6_394 Depth=4
	v_cmp_ne_u16_e32 vcc_lo, 0, v62
	v_mov_b32_e32 v63, 0
	s_and_not1_b32 s36, s36, exec_lo
	s_and_b32 vcc_lo, vcc_lo, exec_lo
	s_delay_alu instid0(SALU_CYCLE_1)
	s_or_b32 s36, s36, vcc_lo
	s_or_b32 exec_lo, exec_lo, s13
	s_and_saveexec_b32 s13, s36
	s_cbranch_execnz .LBB6_1152
	s_branch .LBB6_1153
.LBB6_2668:                             ;   in Loop: Header=BB6_394 Depth=4
	s_mov_b32 s13, -1
	s_mov_b32 s38, exec_lo
                                        ; implicit-def: $sgpr36
	v_cmpx_eq_u16_e32 0x80, v73
; %bb.2669:                             ;   in Loop: Header=BB6_394 Depth=4
	s_mov_b32 s36, 0x7f800001
	s_xor_b32 s13, exec_lo, -1
; %bb.2670:                             ;   in Loop: Header=BB6_394 Depth=4
	s_or_b32 exec_lo, exec_lo, s38
	s_delay_alu instid0(SALU_CYCLE_1)
	s_and_b32 s13, s13, exec_lo
                                        ; implicit-def: $vgpr73
	s_or_saveexec_b32 s37, s37
	v_mov_b32_e32 v72, s36
	s_xor_b32 exec_lo, exec_lo, s37
	s_cbranch_execz .LBB6_1155
.LBB6_2671:                             ;   in Loop: Header=BB6_394 Depth=4
	v_cmp_ne_u16_e32 vcc_lo, 0, v73
	v_mov_b32_e32 v72, 0
	s_and_not1_b32 s13, s13, exec_lo
	s_and_b32 vcc_lo, vcc_lo, exec_lo
	s_delay_alu instid0(SALU_CYCLE_1)
	s_or_b32 s13, s13, vcc_lo
	s_or_b32 exec_lo, exec_lo, s37
	s_and_saveexec_b32 s36, s13
	s_cbranch_execnz .LBB6_1156
	s_branch .LBB6_1157
.LBB6_2672:                             ;   in Loop: Header=BB6_394 Depth=4
	s_mov_b32 s13, -1
	s_mov_b32 s38, exec_lo
                                        ; implicit-def: $sgpr36
	v_cmpx_eq_u16_e32 0x80, v62
; %bb.2673:                             ;   in Loop: Header=BB6_394 Depth=4
	s_mov_b32 s36, 0x7f800001
	s_xor_b32 s13, exec_lo, -1
; %bb.2674:                             ;   in Loop: Header=BB6_394 Depth=4
	s_or_b32 exec_lo, exec_lo, s38
	s_delay_alu instid0(SALU_CYCLE_1)
	s_and_b32 s13, s13, exec_lo
                                        ; implicit-def: $vgpr62
	s_or_saveexec_b32 s37, s37
	v_mov_b32_e32 v63, s36
	s_xor_b32 exec_lo, exec_lo, s37
	s_cbranch_execz .LBB6_1162
.LBB6_2675:                             ;   in Loop: Header=BB6_394 Depth=4
	v_cmp_ne_u16_e32 vcc_lo, 0, v62
	v_mov_b32_e32 v63, 0
	s_and_not1_b32 s13, s13, exec_lo
	s_and_b32 vcc_lo, vcc_lo, exec_lo
	s_delay_alu instid0(SALU_CYCLE_1)
	s_or_b32 s13, s13, vcc_lo
	s_or_b32 exec_lo, exec_lo, s37
	s_and_saveexec_b32 s36, s13
	s_cbranch_execnz .LBB6_1163
	s_branch .LBB6_1164
.LBB6_2676:                             ;   in Loop: Header=BB6_394 Depth=4
	s_mov_b32 s13, -1
	s_mov_b32 s38, exec_lo
                                        ; implicit-def: $sgpr36
	v_cmpx_eq_u16_e32 0x80, v62
; %bb.2677:                             ;   in Loop: Header=BB6_394 Depth=4
	s_mov_b32 s36, 0x7f800001
	s_xor_b32 s13, exec_lo, -1
; %bb.2678:                             ;   in Loop: Header=BB6_394 Depth=4
	s_or_b32 exec_lo, exec_lo, s38
	s_delay_alu instid0(SALU_CYCLE_1)
	s_and_b32 s13, s13, exec_lo
                                        ; implicit-def: $vgpr62
	s_or_saveexec_b32 s37, s37
	v_mov_b32_e32 v61, s36
	s_xor_b32 exec_lo, exec_lo, s37
	s_cbranch_execz .LBB6_1166
.LBB6_2679:                             ;   in Loop: Header=BB6_394 Depth=4
	v_cmp_ne_u16_e32 vcc_lo, 0, v62
	v_mov_b32_e32 v61, 0
	s_and_not1_b32 s13, s13, exec_lo
	s_and_b32 vcc_lo, vcc_lo, exec_lo
	s_delay_alu instid0(SALU_CYCLE_1)
	s_or_b32 s13, s13, vcc_lo
	s_or_b32 exec_lo, exec_lo, s37
	s_and_saveexec_b32 s36, s13
	s_cbranch_execnz .LBB6_1167
	s_branch .LBB6_1168
.LBB6_2680:                             ;   in Loop: Header=BB6_394 Depth=4
	s_mov_b32 s36, -1
	s_mov_b32 s38, exec_lo
                                        ; implicit-def: $sgpr37
	v_cmpx_eq_u16_e32 0x80, v62
; %bb.2681:                             ;   in Loop: Header=BB6_394 Depth=4
	s_mov_b32 s37, 0x7f800001
	s_xor_b32 s36, exec_lo, -1
; %bb.2682:                             ;   in Loop: Header=BB6_394 Depth=4
	s_or_b32 exec_lo, exec_lo, s38
	s_delay_alu instid0(SALU_CYCLE_1)
	s_and_b32 s36, s36, exec_lo
	s_or_saveexec_b32 s13, s13
	v_mov_b32_e32 v63, s37
	s_xor_b32 exec_lo, exec_lo, s13
	s_cbranch_execz .LBB6_1180
.LBB6_2683:                             ;   in Loop: Header=BB6_394 Depth=4
	v_cmp_ne_u16_e32 vcc_lo, 0, v62
	v_mov_b32_e32 v63, 0
	s_and_not1_b32 s36, s36, exec_lo
	s_and_b32 vcc_lo, vcc_lo, exec_lo
	s_delay_alu instid0(SALU_CYCLE_1)
	s_or_b32 s36, s36, vcc_lo
	s_or_b32 exec_lo, exec_lo, s13
	s_and_saveexec_b32 s13, s36
	s_cbranch_execnz .LBB6_1181
	s_branch .LBB6_1182
.LBB6_2684:                             ;   in Loop: Header=BB6_394 Depth=4
	s_mov_b32 s13, -1
	s_mov_b32 s38, exec_lo
                                        ; implicit-def: $sgpr36
	v_cmpx_eq_u16_e32 0x80, v61
; %bb.2685:                             ;   in Loop: Header=BB6_394 Depth=4
	s_mov_b32 s36, 0x7f800001
	s_xor_b32 s13, exec_lo, -1
; %bb.2686:                             ;   in Loop: Header=BB6_394 Depth=4
	s_or_b32 exec_lo, exec_lo, s38
	s_delay_alu instid0(SALU_CYCLE_1)
	s_and_b32 s13, s13, exec_lo
	s_or_saveexec_b32 s37, s37
	v_mov_b32_e32 v72, s36
	s_xor_b32 exec_lo, exec_lo, s37
	s_cbranch_execz .LBB6_1184
.LBB6_2687:                             ;   in Loop: Header=BB6_394 Depth=4
	v_cmp_ne_u16_e32 vcc_lo, 0, v61
	v_mov_b32_e32 v72, 0
	s_and_not1_b32 s13, s13, exec_lo
	s_and_b32 vcc_lo, vcc_lo, exec_lo
	s_delay_alu instid0(SALU_CYCLE_1)
	s_or_b32 s13, s13, vcc_lo
	s_or_b32 exec_lo, exec_lo, s37
	s_and_saveexec_b32 s36, s13
	s_cbranch_execnz .LBB6_1185
	s_branch .LBB6_1186
.LBB6_2688:                             ;   in Loop: Header=BB6_394 Depth=4
	s_mov_b32 s13, -1
	s_mov_b32 s38, exec_lo
                                        ; implicit-def: $sgpr36
	v_cmpx_eq_u16_e32 0x80, v62
; %bb.2689:                             ;   in Loop: Header=BB6_394 Depth=4
	s_mov_b32 s36, 0x7f800001
	s_xor_b32 s13, exec_lo, -1
; %bb.2690:                             ;   in Loop: Header=BB6_394 Depth=4
	s_or_b32 exec_lo, exec_lo, s38
	s_delay_alu instid0(SALU_CYCLE_1)
	s_and_b32 s13, s13, exec_lo
	s_or_saveexec_b32 s37, s37
	v_mov_b32_e32 v63, s36
	s_xor_b32 exec_lo, exec_lo, s37
	s_cbranch_execz .LBB6_1191
.LBB6_2691:                             ;   in Loop: Header=BB6_394 Depth=4
	v_cmp_ne_u16_e32 vcc_lo, 0, v62
	v_mov_b32_e32 v63, 0
	s_and_not1_b32 s13, s13, exec_lo
	s_and_b32 vcc_lo, vcc_lo, exec_lo
	s_delay_alu instid0(SALU_CYCLE_1)
	s_or_b32 s13, s13, vcc_lo
	s_or_b32 exec_lo, exec_lo, s37
	s_and_saveexec_b32 s36, s13
	s_cbranch_execnz .LBB6_1192
	s_branch .LBB6_1193
.LBB6_2692:                             ;   in Loop: Header=BB6_394 Depth=4
	s_mov_b32 s13, -1
	s_mov_b32 s38, exec_lo
                                        ; implicit-def: $sgpr36
	v_cmpx_eq_u16_e32 0x80, v61
; %bb.2693:                             ;   in Loop: Header=BB6_394 Depth=4
	s_mov_b32 s36, 0x7f800001
	s_xor_b32 s13, exec_lo, -1
; %bb.2694:                             ;   in Loop: Header=BB6_394 Depth=4
	s_or_b32 exec_lo, exec_lo, s38
	s_delay_alu instid0(SALU_CYCLE_1)
	s_and_b32 s13, s13, exec_lo
	s_or_saveexec_b32 s37, s37
	v_mov_b32_e32 v34, s36
	s_xor_b32 exec_lo, exec_lo, s37
	s_cbranch_execz .LBB6_1195
.LBB6_2695:                             ;   in Loop: Header=BB6_394 Depth=4
	v_cmp_ne_u16_e32 vcc_lo, 0, v61
	v_mov_b32_e32 v34, 0
	s_and_not1_b32 s13, s13, exec_lo
	s_and_b32 vcc_lo, vcc_lo, exec_lo
	s_delay_alu instid0(SALU_CYCLE_1)
	s_or_b32 s13, s13, vcc_lo
	s_or_b32 exec_lo, exec_lo, s37
	s_and_saveexec_b32 s36, s13
	s_cbranch_execnz .LBB6_1196
	s_branch .LBB6_1197
.LBB6_2696:                             ;   in Loop: Header=BB6_394 Depth=4
	s_mov_b32 s36, -1
	s_mov_b32 s38, exec_lo
                                        ; implicit-def: $sgpr37
	v_cmpx_eq_u16_e32 0x80, v34
; %bb.2697:                             ;   in Loop: Header=BB6_394 Depth=4
	s_mov_b32 s37, 0x7f800001
	s_xor_b32 s36, exec_lo, -1
; %bb.2698:                             ;   in Loop: Header=BB6_394 Depth=4
	s_or_b32 exec_lo, exec_lo, s38
	s_delay_alu instid0(SALU_CYCLE_1)
	s_and_b32 s36, s36, exec_lo
	s_or_saveexec_b32 s13, s13
	v_mov_b32_e32 v61, s37
	s_xor_b32 exec_lo, exec_lo, s13
	s_cbranch_execz .LBB6_1209
.LBB6_2699:                             ;   in Loop: Header=BB6_394 Depth=4
	v_cmp_ne_u16_e32 vcc_lo, 0, v34
	v_mov_b32_e32 v61, 0
	s_and_not1_b32 s36, s36, exec_lo
	s_and_b32 vcc_lo, vcc_lo, exec_lo
	s_delay_alu instid0(SALU_CYCLE_1)
	s_or_b32 s36, s36, vcc_lo
	s_or_b32 exec_lo, exec_lo, s13
	s_and_saveexec_b32 s13, s36
	s_cbranch_execnz .LBB6_1210
	s_branch .LBB6_1211
.LBB6_2700:                             ;   in Loop: Header=BB6_394 Depth=4
	s_mov_b32 s13, -1
	s_mov_b32 s38, exec_lo
                                        ; implicit-def: $sgpr36
	v_cmpx_eq_u16_e32 0x80, v63
; %bb.2701:                             ;   in Loop: Header=BB6_394 Depth=4
	s_mov_b32 s36, 0x7f800001
	s_xor_b32 s13, exec_lo, -1
; %bb.2702:                             ;   in Loop: Header=BB6_394 Depth=4
	s_or_b32 exec_lo, exec_lo, s38
	s_delay_alu instid0(SALU_CYCLE_1)
	s_and_b32 s13, s13, exec_lo
                                        ; implicit-def: $vgpr63
	s_or_saveexec_b32 s37, s37
	v_mov_b32_e32 v62, s36
	s_xor_b32 exec_lo, exec_lo, s37
	s_cbranch_execz .LBB6_1213
.LBB6_2703:                             ;   in Loop: Header=BB6_394 Depth=4
	v_cmp_ne_u16_e32 vcc_lo, 0, v63
	v_mov_b32_e32 v62, 0
	s_and_not1_b32 s13, s13, exec_lo
	s_and_b32 vcc_lo, vcc_lo, exec_lo
	s_delay_alu instid0(SALU_CYCLE_1)
	s_or_b32 s13, s13, vcc_lo
	s_or_b32 exec_lo, exec_lo, s37
	s_and_saveexec_b32 s36, s13
	s_cbranch_execnz .LBB6_1214
	s_branch .LBB6_1215
.LBB6_2704:                             ;   in Loop: Header=BB6_394 Depth=4
	s_mov_b32 s13, -1
	s_mov_b32 s38, exec_lo
                                        ; implicit-def: $sgpr36
	v_cmpx_eq_u16_e32 0x80, v34
; %bb.2705:                             ;   in Loop: Header=BB6_394 Depth=4
	s_mov_b32 s36, 0x7f800001
	s_xor_b32 s13, exec_lo, -1
; %bb.2706:                             ;   in Loop: Header=BB6_394 Depth=4
	s_or_b32 exec_lo, exec_lo, s38
	s_delay_alu instid0(SALU_CYCLE_1)
	s_and_b32 s13, s13, exec_lo
                                        ; implicit-def: $vgpr34
	s_or_saveexec_b32 s37, s37
	v_mov_b32_e32 v61, s36
	s_xor_b32 exec_lo, exec_lo, s37
	s_cbranch_execz .LBB6_1220
.LBB6_2707:                             ;   in Loop: Header=BB6_394 Depth=4
	v_cmp_ne_u16_e32 vcc_lo, 0, v34
	v_mov_b32_e32 v61, 0
	s_and_not1_b32 s13, s13, exec_lo
	s_and_b32 vcc_lo, vcc_lo, exec_lo
	s_delay_alu instid0(SALU_CYCLE_1)
	s_or_b32 s13, s13, vcc_lo
	s_or_b32 exec_lo, exec_lo, s37
	s_and_saveexec_b32 s36, s13
	s_cbranch_execnz .LBB6_1221
	s_branch .LBB6_1222
.LBB6_2708:                             ;   in Loop: Header=BB6_394 Depth=4
	s_mov_b32 s13, -1
	s_mov_b32 s38, exec_lo
                                        ; implicit-def: $sgpr36
	v_cmpx_eq_u16_e32 0x80, v62
; %bb.2709:                             ;   in Loop: Header=BB6_394 Depth=4
	s_mov_b32 s36, 0x7f800001
	s_xor_b32 s13, exec_lo, -1
; %bb.2710:                             ;   in Loop: Header=BB6_394 Depth=4
	s_or_b32 exec_lo, exec_lo, s38
	s_delay_alu instid0(SALU_CYCLE_1)
	s_and_b32 s13, s13, exec_lo
                                        ; implicit-def: $vgpr62
	s_or_saveexec_b32 s37, s37
	v_mov_b32_e32 v34, s36
	s_xor_b32 exec_lo, exec_lo, s37
	s_cbranch_execz .LBB6_1224
.LBB6_2711:                             ;   in Loop: Header=BB6_394 Depth=4
	v_cmp_ne_u16_e32 vcc_lo, 0, v62
	v_mov_b32_e32 v34, 0
	s_and_not1_b32 s13, s13, exec_lo
	s_and_b32 vcc_lo, vcc_lo, exec_lo
	s_delay_alu instid0(SALU_CYCLE_1)
	s_or_b32 s13, s13, vcc_lo
	s_or_b32 exec_lo, exec_lo, s37
	s_and_saveexec_b32 s36, s13
	s_cbranch_execnz .LBB6_1225
	s_branch .LBB6_1226
.LBB6_2712:                             ;   in Loop: Header=BB6_394 Depth=4
	s_mov_b32 s36, -1
	s_mov_b32 s38, exec_lo
                                        ; implicit-def: $sgpr37
	v_cmpx_eq_u16_e32 0x80, v62
; %bb.2713:                             ;   in Loop: Header=BB6_394 Depth=4
	s_mov_b32 s37, 0x7f800001
	s_xor_b32 s36, exec_lo, -1
; %bb.2714:                             ;   in Loop: Header=BB6_394 Depth=4
	s_or_b32 exec_lo, exec_lo, s38
	s_delay_alu instid0(SALU_CYCLE_1)
	s_and_b32 s36, s36, exec_lo
	s_or_saveexec_b32 s13, s13
	v_mov_b32_e32 v63, s37
	s_xor_b32 exec_lo, exec_lo, s13
	s_cbranch_execz .LBB6_1238
.LBB6_2715:                             ;   in Loop: Header=BB6_394 Depth=4
	v_cmp_ne_u16_e32 vcc_lo, 0, v62
	v_mov_b32_e32 v63, 0
	s_and_not1_b32 s36, s36, exec_lo
	s_and_b32 vcc_lo, vcc_lo, exec_lo
	s_delay_alu instid0(SALU_CYCLE_1)
	s_or_b32 s36, s36, vcc_lo
	s_or_b32 exec_lo, exec_lo, s13
	s_and_saveexec_b32 s13, s36
	s_cbranch_execnz .LBB6_1239
	s_branch .LBB6_1240
.LBB6_2716:                             ;   in Loop: Header=BB6_394 Depth=4
	s_mov_b32 s13, -1
	s_mov_b32 s38, exec_lo
                                        ; implicit-def: $sgpr36
	v_cmpx_eq_u16_e32 0x80, v61
; %bb.2717:                             ;   in Loop: Header=BB6_394 Depth=4
	s_mov_b32 s36, 0x7f800001
	s_xor_b32 s13, exec_lo, -1
; %bb.2718:                             ;   in Loop: Header=BB6_394 Depth=4
	s_or_b32 exec_lo, exec_lo, s38
	s_delay_alu instid0(SALU_CYCLE_1)
	s_and_b32 s13, s13, exec_lo
	s_or_saveexec_b32 s37, s37
	v_mov_b32_e32 v72, s36
	s_xor_b32 exec_lo, exec_lo, s37
	s_cbranch_execz .LBB6_1242
.LBB6_2719:                             ;   in Loop: Header=BB6_394 Depth=4
	v_cmp_ne_u16_e32 vcc_lo, 0, v61
	v_mov_b32_e32 v72, 0
	s_and_not1_b32 s13, s13, exec_lo
	s_and_b32 vcc_lo, vcc_lo, exec_lo
	s_delay_alu instid0(SALU_CYCLE_1)
	s_or_b32 s13, s13, vcc_lo
	s_or_b32 exec_lo, exec_lo, s37
	s_and_saveexec_b32 s36, s13
	s_cbranch_execnz .LBB6_1243
	s_branch .LBB6_1244
.LBB6_2720:                             ;   in Loop: Header=BB6_394 Depth=4
	s_mov_b32 s13, -1
	s_mov_b32 s38, exec_lo
                                        ; implicit-def: $sgpr36
	v_cmpx_eq_u16_e32 0x80, v62
; %bb.2721:                             ;   in Loop: Header=BB6_394 Depth=4
	s_mov_b32 s36, 0x7f800001
	s_xor_b32 s13, exec_lo, -1
; %bb.2722:                             ;   in Loop: Header=BB6_394 Depth=4
	s_or_b32 exec_lo, exec_lo, s38
	s_delay_alu instid0(SALU_CYCLE_1)
	s_and_b32 s13, s13, exec_lo
	s_or_saveexec_b32 s37, s37
	v_mov_b32_e32 v63, s36
	s_xor_b32 exec_lo, exec_lo, s37
	s_cbranch_execz .LBB6_1249
.LBB6_2723:                             ;   in Loop: Header=BB6_394 Depth=4
	v_cmp_ne_u16_e32 vcc_lo, 0, v62
	v_mov_b32_e32 v63, 0
	s_and_not1_b32 s13, s13, exec_lo
	s_and_b32 vcc_lo, vcc_lo, exec_lo
	s_delay_alu instid0(SALU_CYCLE_1)
	s_or_b32 s13, s13, vcc_lo
	s_or_b32 exec_lo, exec_lo, s37
	s_and_saveexec_b32 s36, s13
	s_cbranch_execnz .LBB6_1250
	s_branch .LBB6_1251
.LBB6_2724:                             ;   in Loop: Header=BB6_394 Depth=4
	s_mov_b32 s13, -1
	s_mov_b32 s38, exec_lo
                                        ; implicit-def: $sgpr36
	v_cmpx_eq_u16_e32 0x80, v61
; %bb.2725:                             ;   in Loop: Header=BB6_394 Depth=4
	s_mov_b32 s36, 0x7f800001
	s_xor_b32 s13, exec_lo, -1
; %bb.2726:                             ;   in Loop: Header=BB6_394 Depth=4
	s_or_b32 exec_lo, exec_lo, s38
	s_delay_alu instid0(SALU_CYCLE_1)
	s_and_b32 s13, s13, exec_lo
	s_or_saveexec_b32 s37, s37
	v_mov_b32_e32 v62, s36
	s_xor_b32 exec_lo, exec_lo, s37
	s_cbranch_execz .LBB6_1253
.LBB6_2727:                             ;   in Loop: Header=BB6_394 Depth=4
	v_cmp_ne_u16_e32 vcc_lo, 0, v61
	v_mov_b32_e32 v62, 0
	s_and_not1_b32 s13, s13, exec_lo
	s_and_b32 vcc_lo, vcc_lo, exec_lo
	s_delay_alu instid0(SALU_CYCLE_1)
	s_or_b32 s13, s13, vcc_lo
	s_or_b32 exec_lo, exec_lo, s37
	s_and_saveexec_b32 s36, s13
	s_cbranch_execnz .LBB6_1254
	s_branch .LBB6_1255
.LBB6_2728:                             ;   in Loop: Header=BB6_394 Depth=4
	s_mov_b32 s36, -1
	s_mov_b32 s38, exec_lo
                                        ; implicit-def: $sgpr37
	v_cmpx_eq_u16_e32 0x80, v72
; %bb.2729:                             ;   in Loop: Header=BB6_394 Depth=4
	s_mov_b32 s37, 0x7f800001
	s_xor_b32 s36, exec_lo, -1
; %bb.2730:                             ;   in Loop: Header=BB6_394 Depth=4
	s_or_b32 exec_lo, exec_lo, s38
	s_delay_alu instid0(SALU_CYCLE_1)
	s_and_b32 s36, s36, exec_lo
	s_or_saveexec_b32 s13, s13
	v_mov_b32_e32 v73, s37
	s_xor_b32 exec_lo, exec_lo, s13
	s_cbranch_execz .LBB6_1267
.LBB6_2731:                             ;   in Loop: Header=BB6_394 Depth=4
	v_cmp_ne_u16_e32 vcc_lo, 0, v72
	v_mov_b32_e32 v73, 0
	s_and_not1_b32 s36, s36, exec_lo
	s_and_b32 vcc_lo, vcc_lo, exec_lo
	s_delay_alu instid0(SALU_CYCLE_1)
	s_or_b32 s36, s36, vcc_lo
	s_or_b32 exec_lo, exec_lo, s13
	s_and_saveexec_b32 s13, s36
	s_cbranch_execnz .LBB6_1268
	s_branch .LBB6_1269
.LBB6_2732:                             ;   in Loop: Header=BB6_394 Depth=4
	s_mov_b32 s13, -1
	s_mov_b32 s38, exec_lo
                                        ; implicit-def: $sgpr36
	v_cmpx_eq_u16_e32 0x80, v75
; %bb.2733:                             ;   in Loop: Header=BB6_394 Depth=4
	s_mov_b32 s36, 0x7f800001
	s_xor_b32 s13, exec_lo, -1
; %bb.2734:                             ;   in Loop: Header=BB6_394 Depth=4
	s_or_b32 exec_lo, exec_lo, s38
	s_delay_alu instid0(SALU_CYCLE_1)
	s_and_b32 s13, s13, exec_lo
                                        ; implicit-def: $vgpr75
	s_or_saveexec_b32 s37, s37
	v_mov_b32_e32 v74, s36
	s_xor_b32 exec_lo, exec_lo, s37
	s_cbranch_execz .LBB6_1271
.LBB6_2735:                             ;   in Loop: Header=BB6_394 Depth=4
	v_cmp_ne_u16_e32 vcc_lo, 0, v75
	v_mov_b32_e32 v74, 0
	s_and_not1_b32 s13, s13, exec_lo
	s_and_b32 vcc_lo, vcc_lo, exec_lo
	s_delay_alu instid0(SALU_CYCLE_1)
	s_or_b32 s13, s13, vcc_lo
	s_or_b32 exec_lo, exec_lo, s37
	s_and_saveexec_b32 s36, s13
	s_cbranch_execnz .LBB6_1272
	s_branch .LBB6_1273
.LBB6_2736:                             ;   in Loop: Header=BB6_394 Depth=4
	s_mov_b32 s13, -1
	s_mov_b32 s38, exec_lo
                                        ; implicit-def: $sgpr36
	v_cmpx_eq_u16_e32 0x80, v72
; %bb.2737:                             ;   in Loop: Header=BB6_394 Depth=4
	s_mov_b32 s36, 0x7f800001
	s_xor_b32 s13, exec_lo, -1
; %bb.2738:                             ;   in Loop: Header=BB6_394 Depth=4
	s_or_b32 exec_lo, exec_lo, s38
	s_delay_alu instid0(SALU_CYCLE_1)
	s_and_b32 s13, s13, exec_lo
                                        ; implicit-def: $vgpr72
	s_or_saveexec_b32 s37, s37
	v_mov_b32_e32 v73, s36
	s_xor_b32 exec_lo, exec_lo, s37
	s_cbranch_execz .LBB6_1278
.LBB6_2739:                             ;   in Loop: Header=BB6_394 Depth=4
	v_cmp_ne_u16_e32 vcc_lo, 0, v72
	v_mov_b32_e32 v73, 0
	s_and_not1_b32 s13, s13, exec_lo
	s_and_b32 vcc_lo, vcc_lo, exec_lo
	s_delay_alu instid0(SALU_CYCLE_1)
	s_or_b32 s13, s13, vcc_lo
	s_or_b32 exec_lo, exec_lo, s37
	s_and_saveexec_b32 s36, s13
	s_cbranch_execnz .LBB6_1279
	s_branch .LBB6_1280
.LBB6_2740:                             ;   in Loop: Header=BB6_394 Depth=4
	s_mov_b32 s13, -1
	s_mov_b32 s38, exec_lo
                                        ; implicit-def: $sgpr36
	v_cmpx_eq_u16_e32 0x80, v72
; %bb.2741:                             ;   in Loop: Header=BB6_394 Depth=4
	s_mov_b32 s36, 0x7f800001
	s_xor_b32 s13, exec_lo, -1
; %bb.2742:                             ;   in Loop: Header=BB6_394 Depth=4
	s_or_b32 exec_lo, exec_lo, s38
	s_delay_alu instid0(SALU_CYCLE_1)
	s_and_b32 s13, s13, exec_lo
                                        ; implicit-def: $vgpr72
	s_or_saveexec_b32 s37, s37
	v_mov_b32_e32 v63, s36
	s_xor_b32 exec_lo, exec_lo, s37
	s_cbranch_execz .LBB6_1282
.LBB6_2743:                             ;   in Loop: Header=BB6_394 Depth=4
	v_cmp_ne_u16_e32 vcc_lo, 0, v72
	v_mov_b32_e32 v63, 0
	s_and_not1_b32 s13, s13, exec_lo
	s_and_b32 vcc_lo, vcc_lo, exec_lo
	s_delay_alu instid0(SALU_CYCLE_1)
	s_or_b32 s13, s13, vcc_lo
	s_or_b32 exec_lo, exec_lo, s37
	s_and_saveexec_b32 s36, s13
	s_cbranch_execnz .LBB6_1283
	s_branch .LBB6_1284
.LBB6_2744:                             ;   in Loop: Header=BB6_394 Depth=4
	s_mov_b32 s36, -1
	s_mov_b32 s38, exec_lo
                                        ; implicit-def: $sgpr37
	v_cmpx_eq_u16_e32 0x80, v72
; %bb.2745:                             ;   in Loop: Header=BB6_394 Depth=4
	s_mov_b32 s37, 0x7f800001
	s_xor_b32 s36, exec_lo, -1
; %bb.2746:                             ;   in Loop: Header=BB6_394 Depth=4
	s_or_b32 exec_lo, exec_lo, s38
	s_delay_alu instid0(SALU_CYCLE_1)
	s_and_b32 s36, s36, exec_lo
	s_or_saveexec_b32 s13, s13
	v_mov_b32_e32 v73, s37
	s_xor_b32 exec_lo, exec_lo, s13
	s_cbranch_execz .LBB6_1296
.LBB6_2747:                             ;   in Loop: Header=BB6_394 Depth=4
	v_cmp_ne_u16_e32 vcc_lo, 0, v72
	v_mov_b32_e32 v73, 0
	s_and_not1_b32 s36, s36, exec_lo
	s_and_b32 vcc_lo, vcc_lo, exec_lo
	s_delay_alu instid0(SALU_CYCLE_1)
	s_or_b32 s36, s36, vcc_lo
	s_or_b32 exec_lo, exec_lo, s13
	s_and_saveexec_b32 s13, s36
	s_cbranch_execnz .LBB6_1297
	s_branch .LBB6_1298
.LBB6_2748:                             ;   in Loop: Header=BB6_394 Depth=4
	s_mov_b32 s13, -1
	s_mov_b32 s38, exec_lo
                                        ; implicit-def: $sgpr36
	v_cmpx_eq_u16_e32 0x80, v63
; %bb.2749:                             ;   in Loop: Header=BB6_394 Depth=4
	s_mov_b32 s36, 0x7f800001
	s_xor_b32 s13, exec_lo, -1
; %bb.2750:                             ;   in Loop: Header=BB6_394 Depth=4
	s_or_b32 exec_lo, exec_lo, s38
	s_delay_alu instid0(SALU_CYCLE_1)
	s_and_b32 s13, s13, exec_lo
	s_or_saveexec_b32 s37, s37
	v_mov_b32_e32 v74, s36
	s_xor_b32 exec_lo, exec_lo, s37
	s_cbranch_execz .LBB6_1300
.LBB6_2751:                             ;   in Loop: Header=BB6_394 Depth=4
	v_cmp_ne_u16_e32 vcc_lo, 0, v63
	v_mov_b32_e32 v74, 0
	s_and_not1_b32 s13, s13, exec_lo
	s_and_b32 vcc_lo, vcc_lo, exec_lo
	s_delay_alu instid0(SALU_CYCLE_1)
	s_or_b32 s13, s13, vcc_lo
	s_or_b32 exec_lo, exec_lo, s37
	s_and_saveexec_b32 s36, s13
	s_cbranch_execnz .LBB6_1301
	s_branch .LBB6_1302
.LBB6_2752:                             ;   in Loop: Header=BB6_394 Depth=4
	s_mov_b32 s13, -1
	s_mov_b32 s38, exec_lo
                                        ; implicit-def: $sgpr36
	v_cmpx_eq_u16_e32 0x80, v72
; %bb.2753:                             ;   in Loop: Header=BB6_394 Depth=4
	s_mov_b32 s36, 0x7f800001
	s_xor_b32 s13, exec_lo, -1
; %bb.2754:                             ;   in Loop: Header=BB6_394 Depth=4
	s_or_b32 exec_lo, exec_lo, s38
	s_delay_alu instid0(SALU_CYCLE_1)
	s_and_b32 s13, s13, exec_lo
	s_or_saveexec_b32 s37, s37
	v_mov_b32_e32 v73, s36
	s_xor_b32 exec_lo, exec_lo, s37
	s_cbranch_execz .LBB6_1307
.LBB6_2755:                             ;   in Loop: Header=BB6_394 Depth=4
	v_cmp_ne_u16_e32 vcc_lo, 0, v72
	v_mov_b32_e32 v73, 0
	s_and_not1_b32 s13, s13, exec_lo
	s_and_b32 vcc_lo, vcc_lo, exec_lo
	s_delay_alu instid0(SALU_CYCLE_1)
	s_or_b32 s13, s13, vcc_lo
	s_or_b32 exec_lo, exec_lo, s37
	s_and_saveexec_b32 s36, s13
	s_cbranch_execnz .LBB6_1308
	s_branch .LBB6_1309
.LBB6_2756:                             ;   in Loop: Header=BB6_394 Depth=4
	s_mov_b32 s13, -1
	s_mov_b32 s38, exec_lo
                                        ; implicit-def: $sgpr36
	v_cmpx_eq_u16_e32 0x80, v63
; %bb.2757:                             ;   in Loop: Header=BB6_394 Depth=4
	s_mov_b32 s36, 0x7f800001
	s_xor_b32 s13, exec_lo, -1
; %bb.2758:                             ;   in Loop: Header=BB6_394 Depth=4
	s_or_b32 exec_lo, exec_lo, s38
	s_delay_alu instid0(SALU_CYCLE_1)
	s_and_b32 s13, s13, exec_lo
	s_or_saveexec_b32 s37, s37
	v_mov_b32_e32 v35, s36
	s_xor_b32 exec_lo, exec_lo, s37
	s_cbranch_execz .LBB6_1311
.LBB6_2759:                             ;   in Loop: Header=BB6_394 Depth=4
	v_cmp_ne_u16_e32 vcc_lo, 0, v63
	v_mov_b32_e32 v35, 0
	s_and_not1_b32 s13, s13, exec_lo
	s_and_b32 vcc_lo, vcc_lo, exec_lo
	s_delay_alu instid0(SALU_CYCLE_1)
	s_or_b32 s13, s13, vcc_lo
	s_or_b32 exec_lo, exec_lo, s37
	s_and_saveexec_b32 s36, s13
	s_cbranch_execnz .LBB6_1312
	s_branch .LBB6_1313
.LBB6_2760:                             ;   in Loop: Header=BB6_394 Depth=4
	s_mov_b32 s36, -1
	s_mov_b32 s38, exec_lo
                                        ; implicit-def: $sgpr37
	v_cmpx_eq_u16_e32 0x80, v35
; %bb.2761:                             ;   in Loop: Header=BB6_394 Depth=4
	s_mov_b32 s37, 0x7f800001
	s_xor_b32 s36, exec_lo, -1
; %bb.2762:                             ;   in Loop: Header=BB6_394 Depth=4
	s_or_b32 exec_lo, exec_lo, s38
	s_delay_alu instid0(SALU_CYCLE_1)
	s_and_b32 s36, s36, exec_lo
	s_or_saveexec_b32 s13, s13
	v_mov_b32_e32 v63, s37
	s_xor_b32 exec_lo, exec_lo, s13
	s_cbranch_execz .LBB6_1325
.LBB6_2763:                             ;   in Loop: Header=BB6_394 Depth=4
	v_cmp_ne_u16_e32 vcc_lo, 0, v35
	v_mov_b32_e32 v63, 0
	s_and_not1_b32 s36, s36, exec_lo
	s_and_b32 vcc_lo, vcc_lo, exec_lo
	s_delay_alu instid0(SALU_CYCLE_1)
	s_or_b32 s36, s36, vcc_lo
	s_or_b32 exec_lo, exec_lo, s13
	s_and_saveexec_b32 s13, s36
	s_cbranch_execnz .LBB6_1326
	s_branch .LBB6_1327
.LBB6_2764:                             ;   in Loop: Header=BB6_394 Depth=4
	s_mov_b32 s13, -1
	s_mov_b32 s38, exec_lo
                                        ; implicit-def: $sgpr36
	v_cmpx_eq_u16_e32 0x80, v73
; %bb.2765:                             ;   in Loop: Header=BB6_394 Depth=4
	s_mov_b32 s36, 0x7f800001
	s_xor_b32 s13, exec_lo, -1
; %bb.2766:                             ;   in Loop: Header=BB6_394 Depth=4
	s_or_b32 exec_lo, exec_lo, s38
	s_delay_alu instid0(SALU_CYCLE_1)
	s_and_b32 s13, s13, exec_lo
                                        ; implicit-def: $vgpr73
	s_or_saveexec_b32 s37, s37
	v_mov_b32_e32 v72, s36
	s_xor_b32 exec_lo, exec_lo, s37
	s_cbranch_execz .LBB6_1329
.LBB6_2767:                             ;   in Loop: Header=BB6_394 Depth=4
	v_cmp_ne_u16_e32 vcc_lo, 0, v73
	v_mov_b32_e32 v72, 0
	s_and_not1_b32 s13, s13, exec_lo
	s_and_b32 vcc_lo, vcc_lo, exec_lo
	s_delay_alu instid0(SALU_CYCLE_1)
	s_or_b32 s13, s13, vcc_lo
	s_or_b32 exec_lo, exec_lo, s37
	s_and_saveexec_b32 s36, s13
	s_cbranch_execnz .LBB6_1330
	s_branch .LBB6_1331
.LBB6_2768:                             ;   in Loop: Header=BB6_394 Depth=4
	s_mov_b32 s13, -1
	s_mov_b32 s38, exec_lo
                                        ; implicit-def: $sgpr36
	v_cmpx_eq_u16_e32 0x80, v35
; %bb.2769:                             ;   in Loop: Header=BB6_394 Depth=4
	s_mov_b32 s36, 0x7f800001
	s_xor_b32 s13, exec_lo, -1
; %bb.2770:                             ;   in Loop: Header=BB6_394 Depth=4
	s_or_b32 exec_lo, exec_lo, s38
	s_delay_alu instid0(SALU_CYCLE_1)
	s_and_b32 s13, s13, exec_lo
                                        ; implicit-def: $vgpr35
	s_or_saveexec_b32 s37, s37
	v_mov_b32_e32 v63, s36
	s_xor_b32 exec_lo, exec_lo, s37
	s_cbranch_execz .LBB6_1336
.LBB6_2771:                             ;   in Loop: Header=BB6_394 Depth=4
	v_cmp_ne_u16_e32 vcc_lo, 0, v35
	v_mov_b32_e32 v63, 0
	s_and_not1_b32 s13, s13, exec_lo
	s_and_b32 vcc_lo, vcc_lo, exec_lo
	s_delay_alu instid0(SALU_CYCLE_1)
	s_or_b32 s13, s13, vcc_lo
	s_or_b32 exec_lo, exec_lo, s37
	s_and_saveexec_b32 s36, s13
	s_cbranch_execnz .LBB6_1337
	s_branch .LBB6_1338
.LBB6_2772:                             ;   in Loop: Header=BB6_394 Depth=4
	s_mov_b32 s13, -1
	s_mov_b32 s38, exec_lo
                                        ; implicit-def: $sgpr36
	v_cmpx_eq_u16_e32 0x80, v72
; %bb.2773:                             ;   in Loop: Header=BB6_394 Depth=4
	s_mov_b32 s36, 0x7f800001
	s_xor_b32 s13, exec_lo, -1
; %bb.2774:                             ;   in Loop: Header=BB6_394 Depth=4
	s_or_b32 exec_lo, exec_lo, s38
	s_delay_alu instid0(SALU_CYCLE_1)
	s_and_b32 s13, s13, exec_lo
                                        ; implicit-def: $vgpr72
	s_or_saveexec_b32 s37, s37
	v_mov_b32_e32 v35, s36
	s_xor_b32 exec_lo, exec_lo, s37
	s_cbranch_execz .LBB6_1340
.LBB6_2775:                             ;   in Loop: Header=BB6_394 Depth=4
	v_cmp_ne_u16_e32 vcc_lo, 0, v72
	v_mov_b32_e32 v35, 0
	s_and_not1_b32 s13, s13, exec_lo
	s_and_b32 vcc_lo, vcc_lo, exec_lo
	s_delay_alu instid0(SALU_CYCLE_1)
	s_or_b32 s13, s13, vcc_lo
	s_or_b32 exec_lo, exec_lo, s37
	s_and_saveexec_b32 s36, s13
	s_cbranch_execnz .LBB6_1341
	s_branch .LBB6_1342
.LBB6_2776:                             ;   in Loop: Header=BB6_394 Depth=4
	s_mov_b32 s36, -1
	s_mov_b32 s38, exec_lo
                                        ; implicit-def: $sgpr37
	v_cmpx_eq_u16_e32 0x80, v72
; %bb.2777:                             ;   in Loop: Header=BB6_394 Depth=4
	s_mov_b32 s37, 0x7f800001
	s_xor_b32 s36, exec_lo, -1
; %bb.2778:                             ;   in Loop: Header=BB6_394 Depth=4
	s_or_b32 exec_lo, exec_lo, s38
	s_delay_alu instid0(SALU_CYCLE_1)
	s_and_b32 s36, s36, exec_lo
	s_or_saveexec_b32 s13, s13
	v_mov_b32_e32 v73, s37
	s_xor_b32 exec_lo, exec_lo, s13
	s_cbranch_execz .LBB6_1354
.LBB6_2779:                             ;   in Loop: Header=BB6_394 Depth=4
	v_cmp_ne_u16_e32 vcc_lo, 0, v72
	v_mov_b32_e32 v73, 0
	s_and_not1_b32 s36, s36, exec_lo
	s_and_b32 vcc_lo, vcc_lo, exec_lo
	s_delay_alu instid0(SALU_CYCLE_1)
	s_or_b32 s36, s36, vcc_lo
	s_or_b32 exec_lo, exec_lo, s13
	s_and_saveexec_b32 s13, s36
	s_cbranch_execnz .LBB6_1355
	s_branch .LBB6_1356
.LBB6_2780:                             ;   in Loop: Header=BB6_394 Depth=4
	s_mov_b32 s13, -1
	s_mov_b32 s38, exec_lo
                                        ; implicit-def: $sgpr36
	v_cmpx_eq_u16_e32 0x80, v63
; %bb.2781:                             ;   in Loop: Header=BB6_394 Depth=4
	s_mov_b32 s36, 0x7f800001
	s_xor_b32 s13, exec_lo, -1
; %bb.2782:                             ;   in Loop: Header=BB6_394 Depth=4
	s_or_b32 exec_lo, exec_lo, s38
	s_delay_alu instid0(SALU_CYCLE_1)
	s_and_b32 s13, s13, exec_lo
	s_or_saveexec_b32 s37, s37
	v_mov_b32_e32 v74, s36
	s_xor_b32 exec_lo, exec_lo, s37
	s_cbranch_execz .LBB6_1358
.LBB6_2783:                             ;   in Loop: Header=BB6_394 Depth=4
	v_cmp_ne_u16_e32 vcc_lo, 0, v63
	v_mov_b32_e32 v74, 0
	s_and_not1_b32 s13, s13, exec_lo
	s_and_b32 vcc_lo, vcc_lo, exec_lo
	s_delay_alu instid0(SALU_CYCLE_1)
	s_or_b32 s13, s13, vcc_lo
	s_or_b32 exec_lo, exec_lo, s37
	s_and_saveexec_b32 s36, s13
	s_cbranch_execnz .LBB6_1359
	s_branch .LBB6_1360
.LBB6_2784:                             ;   in Loop: Header=BB6_394 Depth=4
	s_mov_b32 s13, -1
	s_mov_b32 s38, exec_lo
                                        ; implicit-def: $sgpr36
	v_cmpx_eq_u16_e32 0x80, v72
; %bb.2785:                             ;   in Loop: Header=BB6_394 Depth=4
	s_mov_b32 s36, 0x7f800001
	s_xor_b32 s13, exec_lo, -1
; %bb.2786:                             ;   in Loop: Header=BB6_394 Depth=4
	s_or_b32 exec_lo, exec_lo, s38
	s_delay_alu instid0(SALU_CYCLE_1)
	s_and_b32 s13, s13, exec_lo
	s_or_saveexec_b32 s37, s37
	v_mov_b32_e32 v73, s36
	s_xor_b32 exec_lo, exec_lo, s37
	s_cbranch_execz .LBB6_1365
.LBB6_2787:                             ;   in Loop: Header=BB6_394 Depth=4
	v_cmp_ne_u16_e32 vcc_lo, 0, v72
	v_mov_b32_e32 v73, 0
	s_and_not1_b32 s13, s13, exec_lo
	s_and_b32 vcc_lo, vcc_lo, exec_lo
	s_delay_alu instid0(SALU_CYCLE_1)
	s_or_b32 s13, s13, vcc_lo
	s_or_b32 exec_lo, exec_lo, s37
	s_and_saveexec_b32 s36, s13
	s_cbranch_execnz .LBB6_1366
	s_branch .LBB6_1367
.LBB6_2788:                             ;   in Loop: Header=BB6_394 Depth=4
	s_mov_b32 s13, -1
	s_mov_b32 s38, exec_lo
                                        ; implicit-def: $sgpr36
	v_cmpx_eq_u16_e32 0x80, v63
; %bb.2789:                             ;   in Loop: Header=BB6_394 Depth=4
	s_mov_b32 s36, 0x7f800001
	s_xor_b32 s13, exec_lo, -1
; %bb.2790:                             ;   in Loop: Header=BB6_394 Depth=4
	s_or_b32 exec_lo, exec_lo, s38
	s_delay_alu instid0(SALU_CYCLE_1)
	s_and_b32 s13, s13, exec_lo
	s_or_saveexec_b32 s37, s37
	v_mov_b32_e32 v72, s36
	s_xor_b32 exec_lo, exec_lo, s37
	s_cbranch_execz .LBB6_1369
.LBB6_2791:                             ;   in Loop: Header=BB6_394 Depth=4
	v_cmp_ne_u16_e32 vcc_lo, 0, v63
	v_mov_b32_e32 v72, 0
	s_and_not1_b32 s13, s13, exec_lo
	s_and_b32 vcc_lo, vcc_lo, exec_lo
	s_delay_alu instid0(SALU_CYCLE_1)
	s_or_b32 s13, s13, vcc_lo
	s_or_b32 exec_lo, exec_lo, s37
	s_and_saveexec_b32 s36, s13
	s_cbranch_execnz .LBB6_1370
	s_branch .LBB6_1371
.LBB6_2792:                             ;   in Loop: Header=BB6_394 Depth=4
	s_mov_b32 s36, -1
	s_mov_b32 s38, exec_lo
                                        ; implicit-def: $sgpr37
	v_cmpx_eq_u16_e32 0x80, v74
; %bb.2793:                             ;   in Loop: Header=BB6_394 Depth=4
	s_mov_b32 s37, 0x7f800001
	s_xor_b32 s36, exec_lo, -1
; %bb.2794:                             ;   in Loop: Header=BB6_394 Depth=4
	s_or_b32 exec_lo, exec_lo, s38
	s_delay_alu instid0(SALU_CYCLE_1)
	s_and_b32 s36, s36, exec_lo
	s_or_saveexec_b32 s13, s13
	v_mov_b32_e32 v75, s37
	s_xor_b32 exec_lo, exec_lo, s13
	s_cbranch_execz .LBB6_1383
.LBB6_2795:                             ;   in Loop: Header=BB6_394 Depth=4
	v_cmp_ne_u16_e32 vcc_lo, 0, v74
	v_mov_b32_e32 v75, 0
	s_and_not1_b32 s36, s36, exec_lo
	s_and_b32 vcc_lo, vcc_lo, exec_lo
	s_delay_alu instid0(SALU_CYCLE_1)
	s_or_b32 s36, s36, vcc_lo
	s_or_b32 exec_lo, exec_lo, s13
	s_and_saveexec_b32 s13, s36
	s_cbranch_execnz .LBB6_1384
	s_branch .LBB6_1385
.LBB6_2796:                             ;   in Loop: Header=BB6_394 Depth=4
	s_mov_b32 s13, -1
	s_mov_b32 s38, exec_lo
                                        ; implicit-def: $sgpr36
	v_cmpx_eq_u16_e32 0x80, v77
; %bb.2797:                             ;   in Loop: Header=BB6_394 Depth=4
	s_mov_b32 s36, 0x7f800001
	s_xor_b32 s13, exec_lo, -1
; %bb.2798:                             ;   in Loop: Header=BB6_394 Depth=4
	s_or_b32 exec_lo, exec_lo, s38
	s_delay_alu instid0(SALU_CYCLE_1)
	s_and_b32 s13, s13, exec_lo
                                        ; implicit-def: $vgpr77
	s_or_saveexec_b32 s37, s37
	v_mov_b32_e32 v76, s36
	s_xor_b32 exec_lo, exec_lo, s37
	s_cbranch_execz .LBB6_1387
.LBB6_2799:                             ;   in Loop: Header=BB6_394 Depth=4
	v_cmp_ne_u16_e32 vcc_lo, 0, v77
	v_mov_b32_e32 v76, 0
	s_and_not1_b32 s13, s13, exec_lo
	s_and_b32 vcc_lo, vcc_lo, exec_lo
	s_delay_alu instid0(SALU_CYCLE_1)
	s_or_b32 s13, s13, vcc_lo
	s_or_b32 exec_lo, exec_lo, s37
	s_and_saveexec_b32 s36, s13
	s_cbranch_execnz .LBB6_1388
	s_branch .LBB6_1389
.LBB6_2800:                             ;   in Loop: Header=BB6_394 Depth=4
	s_mov_b32 s13, -1
	s_mov_b32 s38, exec_lo
                                        ; implicit-def: $sgpr36
	v_cmpx_eq_u16_e32 0x80, v74
; %bb.2801:                             ;   in Loop: Header=BB6_394 Depth=4
	s_mov_b32 s36, 0x7f800001
	s_xor_b32 s13, exec_lo, -1
; %bb.2802:                             ;   in Loop: Header=BB6_394 Depth=4
	s_or_b32 exec_lo, exec_lo, s38
	s_delay_alu instid0(SALU_CYCLE_1)
	s_and_b32 s13, s13, exec_lo
                                        ; implicit-def: $vgpr74
	s_or_saveexec_b32 s37, s37
	v_mov_b32_e32 v75, s36
	s_xor_b32 exec_lo, exec_lo, s37
	s_cbranch_execz .LBB6_1394
.LBB6_2803:                             ;   in Loop: Header=BB6_394 Depth=4
	v_cmp_ne_u16_e32 vcc_lo, 0, v74
	v_mov_b32_e32 v75, 0
	s_and_not1_b32 s13, s13, exec_lo
	s_and_b32 vcc_lo, vcc_lo, exec_lo
	s_delay_alu instid0(SALU_CYCLE_1)
	s_or_b32 s13, s13, vcc_lo
	s_or_b32 exec_lo, exec_lo, s37
	s_and_saveexec_b32 s36, s13
	s_cbranch_execnz .LBB6_1395
	s_branch .LBB6_1396
.LBB6_2804:                             ;   in Loop: Header=BB6_394 Depth=4
	s_mov_b32 s13, -1
	s_mov_b32 s38, exec_lo
                                        ; implicit-def: $sgpr36
	v_cmpx_eq_u16_e32 0x80, v74
; %bb.2805:                             ;   in Loop: Header=BB6_394 Depth=4
	s_mov_b32 s36, 0x7f800001
	s_xor_b32 s13, exec_lo, -1
; %bb.2806:                             ;   in Loop: Header=BB6_394 Depth=4
	s_or_b32 exec_lo, exec_lo, s38
	s_delay_alu instid0(SALU_CYCLE_1)
	s_and_b32 s13, s13, exec_lo
                                        ; implicit-def: $vgpr74
	s_or_saveexec_b32 s37, s37
	v_mov_b32_e32 v73, s36
	s_xor_b32 exec_lo, exec_lo, s37
	s_cbranch_execz .LBB6_1398
.LBB6_2807:                             ;   in Loop: Header=BB6_394 Depth=4
	v_cmp_ne_u16_e32 vcc_lo, 0, v74
	v_mov_b32_e32 v73, 0
	s_and_not1_b32 s13, s13, exec_lo
	s_and_b32 vcc_lo, vcc_lo, exec_lo
	s_delay_alu instid0(SALU_CYCLE_1)
	s_or_b32 s13, s13, vcc_lo
	s_or_b32 exec_lo, exec_lo, s37
	s_and_saveexec_b32 s36, s13
	s_cbranch_execnz .LBB6_1399
	s_branch .LBB6_1400
.LBB6_2808:                             ;   in Loop: Header=BB6_394 Depth=4
	s_mov_b32 s36, -1
	s_mov_b32 s38, exec_lo
                                        ; implicit-def: $sgpr37
	v_cmpx_eq_u16_e32 0x80, v74
; %bb.2809:                             ;   in Loop: Header=BB6_394 Depth=4
	s_mov_b32 s37, 0x7f800001
	s_xor_b32 s36, exec_lo, -1
; %bb.2810:                             ;   in Loop: Header=BB6_394 Depth=4
	s_or_b32 exec_lo, exec_lo, s38
	s_delay_alu instid0(SALU_CYCLE_1)
	s_and_b32 s36, s36, exec_lo
	s_or_saveexec_b32 s13, s13
	v_mov_b32_e32 v75, s37
	s_xor_b32 exec_lo, exec_lo, s13
	s_cbranch_execz .LBB6_1412
.LBB6_2811:                             ;   in Loop: Header=BB6_394 Depth=4
	v_cmp_ne_u16_e32 vcc_lo, 0, v74
	v_mov_b32_e32 v75, 0
	s_and_not1_b32 s36, s36, exec_lo
	s_and_b32 vcc_lo, vcc_lo, exec_lo
	s_delay_alu instid0(SALU_CYCLE_1)
	s_or_b32 s36, s36, vcc_lo
	s_or_b32 exec_lo, exec_lo, s13
	s_and_saveexec_b32 s13, s36
	s_cbranch_execnz .LBB6_1413
	s_branch .LBB6_1414
.LBB6_2812:                             ;   in Loop: Header=BB6_394 Depth=4
	s_mov_b32 s13, -1
	s_mov_b32 s38, exec_lo
                                        ; implicit-def: $sgpr36
	v_cmpx_eq_u16_e32 0x80, v73
; %bb.2813:                             ;   in Loop: Header=BB6_394 Depth=4
	s_mov_b32 s36, 0x7f800001
	s_xor_b32 s13, exec_lo, -1
; %bb.2814:                             ;   in Loop: Header=BB6_394 Depth=4
	s_or_b32 exec_lo, exec_lo, s38
	s_delay_alu instid0(SALU_CYCLE_1)
	s_and_b32 s13, s13, exec_lo
	s_or_saveexec_b32 s37, s37
	v_mov_b32_e32 v76, s36
	s_xor_b32 exec_lo, exec_lo, s37
	s_cbranch_execz .LBB6_1416
.LBB6_2815:                             ;   in Loop: Header=BB6_394 Depth=4
	v_cmp_ne_u16_e32 vcc_lo, 0, v73
	v_mov_b32_e32 v76, 0
	s_and_not1_b32 s13, s13, exec_lo
	s_and_b32 vcc_lo, vcc_lo, exec_lo
	s_delay_alu instid0(SALU_CYCLE_1)
	s_or_b32 s13, s13, vcc_lo
	s_or_b32 exec_lo, exec_lo, s37
	s_and_saveexec_b32 s36, s13
	s_cbranch_execnz .LBB6_1417
	s_branch .LBB6_1418
.LBB6_2816:                             ;   in Loop: Header=BB6_394 Depth=4
	s_mov_b32 s13, -1
	s_mov_b32 s38, exec_lo
                                        ; implicit-def: $sgpr36
	v_cmpx_eq_u16_e32 0x80, v74
; %bb.2817:                             ;   in Loop: Header=BB6_394 Depth=4
	s_mov_b32 s36, 0x7f800001
	s_xor_b32 s13, exec_lo, -1
; %bb.2818:                             ;   in Loop: Header=BB6_394 Depth=4
	s_or_b32 exec_lo, exec_lo, s38
	s_delay_alu instid0(SALU_CYCLE_1)
	s_and_b32 s13, s13, exec_lo
	s_or_saveexec_b32 s37, s37
	v_mov_b32_e32 v75, s36
	s_xor_b32 exec_lo, exec_lo, s37
	s_cbranch_execz .LBB6_1423
.LBB6_2819:                             ;   in Loop: Header=BB6_394 Depth=4
	v_cmp_ne_u16_e32 vcc_lo, 0, v74
	v_mov_b32_e32 v75, 0
	s_and_not1_b32 s13, s13, exec_lo
	s_and_b32 vcc_lo, vcc_lo, exec_lo
	s_delay_alu instid0(SALU_CYCLE_1)
	s_or_b32 s13, s13, vcc_lo
	s_or_b32 exec_lo, exec_lo, s37
	s_and_saveexec_b32 s36, s13
	s_cbranch_execnz .LBB6_1424
	s_branch .LBB6_1425
.LBB6_2820:                             ;   in Loop: Header=BB6_394 Depth=4
	s_mov_b32 s13, -1
	s_mov_b32 s38, exec_lo
                                        ; implicit-def: $sgpr36
	v_cmpx_eq_u16_e32 0x80, v73
; %bb.2821:                             ;   in Loop: Header=BB6_394 Depth=4
	s_mov_b32 s36, 0x7f800001
	s_xor_b32 s13, exec_lo, -1
; %bb.2822:                             ;   in Loop: Header=BB6_394 Depth=4
	s_or_b32 exec_lo, exec_lo, s38
	s_delay_alu instid0(SALU_CYCLE_1)
	s_and_b32 s13, s13, exec_lo
	s_or_saveexec_b32 s37, s37
	v_mov_b32_e32 v20, s36
	s_xor_b32 exec_lo, exec_lo, s37
	s_cbranch_execz .LBB6_1427
.LBB6_2823:                             ;   in Loop: Header=BB6_394 Depth=4
	v_cmp_ne_u16_e32 vcc_lo, 0, v73
	v_mov_b32_e32 v20, 0
	s_and_not1_b32 s13, s13, exec_lo
	s_and_b32 vcc_lo, vcc_lo, exec_lo
	s_delay_alu instid0(SALU_CYCLE_1)
	s_or_b32 s13, s13, vcc_lo
	s_or_b32 exec_lo, exec_lo, s37
	s_and_saveexec_b32 s36, s13
	s_cbranch_execnz .LBB6_1428
	s_branch .LBB6_1429
.LBB6_2824:                             ;   in Loop: Header=BB6_394 Depth=4
	s_mov_b32 s36, -1
	s_mov_b32 s38, exec_lo
                                        ; implicit-def: $sgpr37
	v_cmpx_eq_u16_e32 0x80, v20
; %bb.2825:                             ;   in Loop: Header=BB6_394 Depth=4
	s_mov_b32 s37, 0x7f800001
	s_xor_b32 s36, exec_lo, -1
; %bb.2826:                             ;   in Loop: Header=BB6_394 Depth=4
	s_or_b32 exec_lo, exec_lo, s38
	s_delay_alu instid0(SALU_CYCLE_1)
	s_and_b32 s36, s36, exec_lo
	s_or_saveexec_b32 s13, s13
	v_mov_b32_e32 v73, s37
	s_xor_b32 exec_lo, exec_lo, s13
	s_cbranch_execz .LBB6_1441
.LBB6_2827:                             ;   in Loop: Header=BB6_394 Depth=4
	v_cmp_ne_u16_e32 vcc_lo, 0, v20
	v_mov_b32_e32 v73, 0
	s_and_not1_b32 s36, s36, exec_lo
	s_and_b32 vcc_lo, vcc_lo, exec_lo
	s_delay_alu instid0(SALU_CYCLE_1)
	s_or_b32 s36, s36, vcc_lo
	s_or_b32 exec_lo, exec_lo, s13
	s_and_saveexec_b32 s13, s36
	s_cbranch_execnz .LBB6_1442
	s_branch .LBB6_1443
.LBB6_2828:                             ;   in Loop: Header=BB6_394 Depth=4
	s_mov_b32 s13, -1
	s_mov_b32 s38, exec_lo
                                        ; implicit-def: $sgpr36
	v_cmpx_eq_u16_e32 0x80, v75
; %bb.2829:                             ;   in Loop: Header=BB6_394 Depth=4
	s_mov_b32 s36, 0x7f800001
	s_xor_b32 s13, exec_lo, -1
; %bb.2830:                             ;   in Loop: Header=BB6_394 Depth=4
	s_or_b32 exec_lo, exec_lo, s38
	s_delay_alu instid0(SALU_CYCLE_1)
	s_and_b32 s13, s13, exec_lo
                                        ; implicit-def: $vgpr75
	s_or_saveexec_b32 s37, s37
	v_mov_b32_e32 v74, s36
	s_xor_b32 exec_lo, exec_lo, s37
	s_cbranch_execz .LBB6_1445
.LBB6_2831:                             ;   in Loop: Header=BB6_394 Depth=4
	v_cmp_ne_u16_e32 vcc_lo, 0, v75
	v_mov_b32_e32 v74, 0
	s_and_not1_b32 s13, s13, exec_lo
	s_and_b32 vcc_lo, vcc_lo, exec_lo
	s_delay_alu instid0(SALU_CYCLE_1)
	s_or_b32 s13, s13, vcc_lo
	s_or_b32 exec_lo, exec_lo, s37
	s_and_saveexec_b32 s36, s13
	s_cbranch_execnz .LBB6_1446
	s_branch .LBB6_1447
.LBB6_2832:                             ;   in Loop: Header=BB6_394 Depth=4
	s_mov_b32 s13, -1
	s_mov_b32 s38, exec_lo
                                        ; implicit-def: $sgpr36
	v_cmpx_eq_u16_e32 0x80, v20
; %bb.2833:                             ;   in Loop: Header=BB6_394 Depth=4
	s_mov_b32 s36, 0x7f800001
	s_xor_b32 s13, exec_lo, -1
; %bb.2834:                             ;   in Loop: Header=BB6_394 Depth=4
	s_or_b32 exec_lo, exec_lo, s38
	s_delay_alu instid0(SALU_CYCLE_1)
	s_and_b32 s13, s13, exec_lo
                                        ; implicit-def: $vgpr20
	s_or_saveexec_b32 s37, s37
	v_mov_b32_e32 v73, s36
	s_xor_b32 exec_lo, exec_lo, s37
	s_cbranch_execz .LBB6_1452
.LBB6_2835:                             ;   in Loop: Header=BB6_394 Depth=4
	v_cmp_ne_u16_e32 vcc_lo, 0, v20
	v_mov_b32_e32 v73, 0
	s_and_not1_b32 s13, s13, exec_lo
	s_and_b32 vcc_lo, vcc_lo, exec_lo
	s_delay_alu instid0(SALU_CYCLE_1)
	s_or_b32 s13, s13, vcc_lo
	s_or_b32 exec_lo, exec_lo, s37
	s_and_saveexec_b32 s36, s13
	s_cbranch_execnz .LBB6_1453
	s_branch .LBB6_1454
.LBB6_2836:                             ;   in Loop: Header=BB6_394 Depth=4
	s_mov_b32 s13, -1
	s_mov_b32 s38, exec_lo
                                        ; implicit-def: $sgpr36
	v_cmpx_eq_u16_e32 0x80, v74
; %bb.2837:                             ;   in Loop: Header=BB6_394 Depth=4
	s_mov_b32 s36, 0x7f800001
	s_xor_b32 s13, exec_lo, -1
; %bb.2838:                             ;   in Loop: Header=BB6_394 Depth=4
	s_or_b32 exec_lo, exec_lo, s38
	s_delay_alu instid0(SALU_CYCLE_1)
	s_and_b32 s13, s13, exec_lo
                                        ; implicit-def: $vgpr74
	s_or_saveexec_b32 s37, s37
	v_mov_b32_e32 v20, s36
	s_xor_b32 exec_lo, exec_lo, s37
	s_cbranch_execz .LBB6_1456
.LBB6_2839:                             ;   in Loop: Header=BB6_394 Depth=4
	v_cmp_ne_u16_e32 vcc_lo, 0, v74
	v_mov_b32_e32 v20, 0
	s_and_not1_b32 s13, s13, exec_lo
	s_and_b32 vcc_lo, vcc_lo, exec_lo
	s_delay_alu instid0(SALU_CYCLE_1)
	s_or_b32 s13, s13, vcc_lo
	s_or_b32 exec_lo, exec_lo, s37
	s_and_saveexec_b32 s36, s13
	s_cbranch_execnz .LBB6_1457
	s_branch .LBB6_1458
.LBB6_2840:                             ;   in Loop: Header=BB6_394 Depth=4
	s_mov_b32 s36, -1
	s_mov_b32 s38, exec_lo
                                        ; implicit-def: $sgpr37
	v_cmpx_eq_u16_e32 0x80, v74
; %bb.2841:                             ;   in Loop: Header=BB6_394 Depth=4
	s_mov_b32 s37, 0x7f800001
	s_xor_b32 s36, exec_lo, -1
; %bb.2842:                             ;   in Loop: Header=BB6_394 Depth=4
	s_or_b32 exec_lo, exec_lo, s38
	s_delay_alu instid0(SALU_CYCLE_1)
	s_and_b32 s36, s36, exec_lo
	s_or_saveexec_b32 s13, s13
	v_mov_b32_e32 v75, s37
	s_xor_b32 exec_lo, exec_lo, s13
	s_cbranch_execz .LBB6_1470
.LBB6_2843:                             ;   in Loop: Header=BB6_394 Depth=4
	v_cmp_ne_u16_e32 vcc_lo, 0, v74
	v_mov_b32_e32 v75, 0
	s_and_not1_b32 s36, s36, exec_lo
	s_and_b32 vcc_lo, vcc_lo, exec_lo
	s_delay_alu instid0(SALU_CYCLE_1)
	s_or_b32 s36, s36, vcc_lo
	s_or_b32 exec_lo, exec_lo, s13
	s_and_saveexec_b32 s13, s36
	s_cbranch_execnz .LBB6_1471
	s_branch .LBB6_1472
.LBB6_2844:                             ;   in Loop: Header=BB6_394 Depth=4
	s_mov_b32 s13, -1
	s_mov_b32 s38, exec_lo
                                        ; implicit-def: $sgpr36
	v_cmpx_eq_u16_e32 0x80, v73
; %bb.2845:                             ;   in Loop: Header=BB6_394 Depth=4
	s_mov_b32 s36, 0x7f800001
	s_xor_b32 s13, exec_lo, -1
; %bb.2846:                             ;   in Loop: Header=BB6_394 Depth=4
	s_or_b32 exec_lo, exec_lo, s38
	s_delay_alu instid0(SALU_CYCLE_1)
	s_and_b32 s13, s13, exec_lo
	s_or_saveexec_b32 s37, s37
	v_mov_b32_e32 v76, s36
	s_xor_b32 exec_lo, exec_lo, s37
	s_cbranch_execz .LBB6_1474
.LBB6_2847:                             ;   in Loop: Header=BB6_394 Depth=4
	v_cmp_ne_u16_e32 vcc_lo, 0, v73
	v_mov_b32_e32 v76, 0
	s_and_not1_b32 s13, s13, exec_lo
	s_and_b32 vcc_lo, vcc_lo, exec_lo
	s_delay_alu instid0(SALU_CYCLE_1)
	s_or_b32 s13, s13, vcc_lo
	s_or_b32 exec_lo, exec_lo, s37
	s_and_saveexec_b32 s36, s13
	s_cbranch_execnz .LBB6_1475
	s_branch .LBB6_1476
.LBB6_2848:                             ;   in Loop: Header=BB6_394 Depth=4
	s_mov_b32 s13, -1
	s_mov_b32 s38, exec_lo
                                        ; implicit-def: $sgpr36
	v_cmpx_eq_u16_e32 0x80, v74
; %bb.2849:                             ;   in Loop: Header=BB6_394 Depth=4
	s_mov_b32 s36, 0x7f800001
	s_xor_b32 s13, exec_lo, -1
; %bb.2850:                             ;   in Loop: Header=BB6_394 Depth=4
	s_or_b32 exec_lo, exec_lo, s38
	s_delay_alu instid0(SALU_CYCLE_1)
	s_and_b32 s13, s13, exec_lo
	s_or_saveexec_b32 s37, s37
	v_mov_b32_e32 v75, s36
	s_xor_b32 exec_lo, exec_lo, s37
	s_cbranch_execz .LBB6_1481
.LBB6_2851:                             ;   in Loop: Header=BB6_394 Depth=4
	v_cmp_ne_u16_e32 vcc_lo, 0, v74
	v_mov_b32_e32 v75, 0
	s_and_not1_b32 s13, s13, exec_lo
	s_and_b32 vcc_lo, vcc_lo, exec_lo
	s_delay_alu instid0(SALU_CYCLE_1)
	s_or_b32 s13, s13, vcc_lo
	s_or_b32 exec_lo, exec_lo, s37
	s_and_saveexec_b32 s36, s13
	s_cbranch_execnz .LBB6_1482
	s_branch .LBB6_1483
.LBB6_2852:                             ;   in Loop: Header=BB6_394 Depth=4
	s_mov_b32 s13, -1
	s_mov_b32 s38, exec_lo
                                        ; implicit-def: $sgpr36
	v_cmpx_eq_u16_e32 0x80, v73
; %bb.2853:                             ;   in Loop: Header=BB6_394 Depth=4
	s_mov_b32 s36, 0x7f800001
	s_xor_b32 s13, exec_lo, -1
; %bb.2854:                             ;   in Loop: Header=BB6_394 Depth=4
	s_or_b32 exec_lo, exec_lo, s38
	s_delay_alu instid0(SALU_CYCLE_1)
	s_and_b32 s13, s13, exec_lo
	s_or_saveexec_b32 s37, s37
	v_mov_b32_e32 v74, s36
	s_xor_b32 exec_lo, exec_lo, s37
	s_cbranch_execz .LBB6_1485
.LBB6_2855:                             ;   in Loop: Header=BB6_394 Depth=4
	v_cmp_ne_u16_e32 vcc_lo, 0, v73
	v_mov_b32_e32 v74, 0
	s_and_not1_b32 s13, s13, exec_lo
	s_and_b32 vcc_lo, vcc_lo, exec_lo
	s_delay_alu instid0(SALU_CYCLE_1)
	s_or_b32 s13, s13, vcc_lo
	s_or_b32 exec_lo, exec_lo, s37
	s_and_saveexec_b32 s36, s13
	s_cbranch_execnz .LBB6_1486
	s_branch .LBB6_1487
.LBB6_2856:                             ;   in Loop: Header=BB6_394 Depth=4
	s_mov_b32 s36, -1
	s_mov_b32 s38, exec_lo
                                        ; implicit-def: $sgpr37
	v_cmpx_eq_u16_e32 0x80, v76
; %bb.2857:                             ;   in Loop: Header=BB6_394 Depth=4
	s_mov_b32 s37, 0x7f800001
	s_xor_b32 s36, exec_lo, -1
; %bb.2858:                             ;   in Loop: Header=BB6_394 Depth=4
	s_or_b32 exec_lo, exec_lo, s38
	s_delay_alu instid0(SALU_CYCLE_1)
	s_and_b32 s36, s36, exec_lo
	s_or_saveexec_b32 s13, s13
	v_mov_b32_e32 v77, s37
	s_xor_b32 exec_lo, exec_lo, s13
	s_cbranch_execz .LBB6_1499
.LBB6_2859:                             ;   in Loop: Header=BB6_394 Depth=4
	v_cmp_ne_u16_e32 vcc_lo, 0, v76
	v_mov_b32_e32 v77, 0
	s_and_not1_b32 s36, s36, exec_lo
	s_and_b32 vcc_lo, vcc_lo, exec_lo
	s_delay_alu instid0(SALU_CYCLE_1)
	s_or_b32 s36, s36, vcc_lo
	s_or_b32 exec_lo, exec_lo, s13
	s_and_saveexec_b32 s13, s36
	s_cbranch_execnz .LBB6_1500
	s_branch .LBB6_1501
.LBB6_2860:                             ;   in Loop: Header=BB6_394 Depth=4
	s_mov_b32 s13, -1
	s_mov_b32 s38, exec_lo
                                        ; implicit-def: $sgpr36
	v_cmpx_eq_u16_e32 0x80, v79
; %bb.2861:                             ;   in Loop: Header=BB6_394 Depth=4
	s_mov_b32 s36, 0x7f800001
	s_xor_b32 s13, exec_lo, -1
; %bb.2862:                             ;   in Loop: Header=BB6_394 Depth=4
	s_or_b32 exec_lo, exec_lo, s38
	s_delay_alu instid0(SALU_CYCLE_1)
	s_and_b32 s13, s13, exec_lo
                                        ; implicit-def: $vgpr79
	s_or_saveexec_b32 s37, s37
	v_mov_b32_e32 v78, s36
	s_xor_b32 exec_lo, exec_lo, s37
	s_cbranch_execz .LBB6_1503
.LBB6_2863:                             ;   in Loop: Header=BB6_394 Depth=4
	v_cmp_ne_u16_e32 vcc_lo, 0, v79
	v_mov_b32_e32 v78, 0
	s_and_not1_b32 s13, s13, exec_lo
	s_and_b32 vcc_lo, vcc_lo, exec_lo
	s_delay_alu instid0(SALU_CYCLE_1)
	s_or_b32 s13, s13, vcc_lo
	s_or_b32 exec_lo, exec_lo, s37
	s_and_saveexec_b32 s36, s13
	s_cbranch_execnz .LBB6_1504
	s_branch .LBB6_1505
.LBB6_2864:                             ;   in Loop: Header=BB6_394 Depth=4
	s_mov_b32 s13, -1
	s_mov_b32 s38, exec_lo
                                        ; implicit-def: $sgpr36
	v_cmpx_eq_u16_e32 0x80, v76
; %bb.2865:                             ;   in Loop: Header=BB6_394 Depth=4
	s_mov_b32 s36, 0x7f800001
	s_xor_b32 s13, exec_lo, -1
; %bb.2866:                             ;   in Loop: Header=BB6_394 Depth=4
	s_or_b32 exec_lo, exec_lo, s38
	s_delay_alu instid0(SALU_CYCLE_1)
	s_and_b32 s13, s13, exec_lo
                                        ; implicit-def: $vgpr76
	s_or_saveexec_b32 s37, s37
	v_mov_b32_e32 v77, s36
	s_xor_b32 exec_lo, exec_lo, s37
	s_cbranch_execz .LBB6_1510
.LBB6_2867:                             ;   in Loop: Header=BB6_394 Depth=4
	v_cmp_ne_u16_e32 vcc_lo, 0, v76
	v_mov_b32_e32 v77, 0
	s_and_not1_b32 s13, s13, exec_lo
	s_and_b32 vcc_lo, vcc_lo, exec_lo
	s_delay_alu instid0(SALU_CYCLE_1)
	s_or_b32 s13, s13, vcc_lo
	s_or_b32 exec_lo, exec_lo, s37
	s_and_saveexec_b32 s36, s13
	s_cbranch_execnz .LBB6_1511
	s_branch .LBB6_1512
.LBB6_2868:                             ;   in Loop: Header=BB6_394 Depth=4
	s_mov_b32 s13, -1
	s_mov_b32 s38, exec_lo
                                        ; implicit-def: $sgpr36
	v_cmpx_eq_u16_e32 0x80, v76
; %bb.2869:                             ;   in Loop: Header=BB6_394 Depth=4
	s_mov_b32 s36, 0x7f800001
	s_xor_b32 s13, exec_lo, -1
; %bb.2870:                             ;   in Loop: Header=BB6_394 Depth=4
	s_or_b32 exec_lo, exec_lo, s38
	s_delay_alu instid0(SALU_CYCLE_1)
	s_and_b32 s13, s13, exec_lo
                                        ; implicit-def: $vgpr76
	s_or_saveexec_b32 s37, s37
	v_mov_b32_e32 v75, s36
	s_xor_b32 exec_lo, exec_lo, s37
	s_cbranch_execz .LBB6_1514
.LBB6_2871:                             ;   in Loop: Header=BB6_394 Depth=4
	v_cmp_ne_u16_e32 vcc_lo, 0, v76
	v_mov_b32_e32 v75, 0
	s_and_not1_b32 s13, s13, exec_lo
	s_and_b32 vcc_lo, vcc_lo, exec_lo
	s_delay_alu instid0(SALU_CYCLE_1)
	s_or_b32 s13, s13, vcc_lo
	s_or_b32 exec_lo, exec_lo, s37
	s_and_saveexec_b32 s36, s13
	s_cbranch_execnz .LBB6_1515
	s_branch .LBB6_1516
.LBB6_2872:                             ;   in Loop: Header=BB6_394 Depth=4
	s_mov_b32 s36, -1
	s_mov_b32 s38, exec_lo
                                        ; implicit-def: $sgpr37
	v_cmpx_eq_u16_e32 0x80, v76
; %bb.2873:                             ;   in Loop: Header=BB6_394 Depth=4
	s_mov_b32 s37, 0x7f800001
	s_xor_b32 s36, exec_lo, -1
; %bb.2874:                             ;   in Loop: Header=BB6_394 Depth=4
	s_or_b32 exec_lo, exec_lo, s38
	s_delay_alu instid0(SALU_CYCLE_1)
	s_and_b32 s36, s36, exec_lo
	s_or_saveexec_b32 s13, s13
	v_mov_b32_e32 v77, s37
	s_xor_b32 exec_lo, exec_lo, s13
	s_cbranch_execz .LBB6_1528
.LBB6_2875:                             ;   in Loop: Header=BB6_394 Depth=4
	v_cmp_ne_u16_e32 vcc_lo, 0, v76
	v_mov_b32_e32 v77, 0
	s_and_not1_b32 s36, s36, exec_lo
	s_and_b32 vcc_lo, vcc_lo, exec_lo
	s_delay_alu instid0(SALU_CYCLE_1)
	s_or_b32 s36, s36, vcc_lo
	s_or_b32 exec_lo, exec_lo, s13
	s_and_saveexec_b32 s13, s36
	s_cbranch_execnz .LBB6_1529
	s_branch .LBB6_1530
.LBB6_2876:                             ;   in Loop: Header=BB6_394 Depth=4
	s_mov_b32 s13, -1
	s_mov_b32 s38, exec_lo
                                        ; implicit-def: $sgpr36
	v_cmpx_eq_u16_e32 0x80, v75
; %bb.2877:                             ;   in Loop: Header=BB6_394 Depth=4
	s_mov_b32 s36, 0x7f800001
	s_xor_b32 s13, exec_lo, -1
; %bb.2878:                             ;   in Loop: Header=BB6_394 Depth=4
	s_or_b32 exec_lo, exec_lo, s38
	s_delay_alu instid0(SALU_CYCLE_1)
	s_and_b32 s13, s13, exec_lo
	s_or_saveexec_b32 s37, s37
	v_mov_b32_e32 v78, s36
	s_xor_b32 exec_lo, exec_lo, s37
	s_cbranch_execz .LBB6_1532
.LBB6_2879:                             ;   in Loop: Header=BB6_394 Depth=4
	v_cmp_ne_u16_e32 vcc_lo, 0, v75
	v_mov_b32_e32 v78, 0
	s_and_not1_b32 s13, s13, exec_lo
	s_and_b32 vcc_lo, vcc_lo, exec_lo
	s_delay_alu instid0(SALU_CYCLE_1)
	s_or_b32 s13, s13, vcc_lo
	s_or_b32 exec_lo, exec_lo, s37
	s_and_saveexec_b32 s36, s13
	s_cbranch_execnz .LBB6_1533
	s_branch .LBB6_1534
.LBB6_2880:                             ;   in Loop: Header=BB6_394 Depth=4
	s_mov_b32 s13, -1
	s_mov_b32 s38, exec_lo
                                        ; implicit-def: $sgpr36
	v_cmpx_eq_u16_e32 0x80, v76
; %bb.2881:                             ;   in Loop: Header=BB6_394 Depth=4
	s_mov_b32 s36, 0x7f800001
	s_xor_b32 s13, exec_lo, -1
; %bb.2882:                             ;   in Loop: Header=BB6_394 Depth=4
	s_or_b32 exec_lo, exec_lo, s38
	s_delay_alu instid0(SALU_CYCLE_1)
	s_and_b32 s13, s13, exec_lo
	s_or_saveexec_b32 s37, s37
	v_mov_b32_e32 v77, s36
	s_xor_b32 exec_lo, exec_lo, s37
	s_cbranch_execz .LBB6_1539
.LBB6_2883:                             ;   in Loop: Header=BB6_394 Depth=4
	v_cmp_ne_u16_e32 vcc_lo, 0, v76
	v_mov_b32_e32 v77, 0
	s_and_not1_b32 s13, s13, exec_lo
	s_and_b32 vcc_lo, vcc_lo, exec_lo
	s_delay_alu instid0(SALU_CYCLE_1)
	s_or_b32 s13, s13, vcc_lo
	s_or_b32 exec_lo, exec_lo, s37
	s_and_saveexec_b32 s36, s13
	s_cbranch_execnz .LBB6_1540
	s_branch .LBB6_1541
.LBB6_2884:                             ;   in Loop: Header=BB6_394 Depth=4
	s_mov_b32 s13, -1
	s_mov_b32 s38, exec_lo
                                        ; implicit-def: $sgpr36
	v_cmpx_eq_u16_e32 0x80, v75
; %bb.2885:                             ;   in Loop: Header=BB6_394 Depth=4
	s_mov_b32 s36, 0x7f800001
	s_xor_b32 s13, exec_lo, -1
; %bb.2886:                             ;   in Loop: Header=BB6_394 Depth=4
	s_or_b32 exec_lo, exec_lo, s38
	s_delay_alu instid0(SALU_CYCLE_1)
	s_and_b32 s13, s13, exec_lo
	s_or_saveexec_b32 s37, s37
	v_mov_b32_e32 v21, s36
	s_xor_b32 exec_lo, exec_lo, s37
	s_cbranch_execz .LBB6_1543
.LBB6_2887:                             ;   in Loop: Header=BB6_394 Depth=4
	v_cmp_ne_u16_e32 vcc_lo, 0, v75
	v_mov_b32_e32 v21, 0
	s_and_not1_b32 s13, s13, exec_lo
	s_and_b32 vcc_lo, vcc_lo, exec_lo
	s_delay_alu instid0(SALU_CYCLE_1)
	s_or_b32 s13, s13, vcc_lo
	s_or_b32 exec_lo, exec_lo, s37
	s_and_saveexec_b32 s36, s13
	s_cbranch_execnz .LBB6_1544
	s_branch .LBB6_1545
.LBB6_2888:                             ;   in Loop: Header=BB6_394 Depth=4
	s_mov_b32 s36, -1
	s_mov_b32 s38, exec_lo
                                        ; implicit-def: $sgpr37
	v_cmpx_eq_u16_e32 0x80, v21
; %bb.2889:                             ;   in Loop: Header=BB6_394 Depth=4
	s_mov_b32 s37, 0x7f800001
	s_xor_b32 s36, exec_lo, -1
; %bb.2890:                             ;   in Loop: Header=BB6_394 Depth=4
	s_or_b32 exec_lo, exec_lo, s38
	s_delay_alu instid0(SALU_CYCLE_1)
	s_and_b32 s36, s36, exec_lo
	s_or_saveexec_b32 s13, s13
	v_mov_b32_e32 v75, s37
	s_xor_b32 exec_lo, exec_lo, s13
	s_cbranch_execz .LBB6_1557
.LBB6_2891:                             ;   in Loop: Header=BB6_394 Depth=4
	v_cmp_ne_u16_e32 vcc_lo, 0, v21
	v_mov_b32_e32 v75, 0
	s_and_not1_b32 s36, s36, exec_lo
	s_and_b32 vcc_lo, vcc_lo, exec_lo
	s_delay_alu instid0(SALU_CYCLE_1)
	s_or_b32 s36, s36, vcc_lo
	s_or_b32 exec_lo, exec_lo, s13
	s_and_saveexec_b32 s13, s36
	s_cbranch_execnz .LBB6_1558
	s_branch .LBB6_1559
.LBB6_2892:                             ;   in Loop: Header=BB6_394 Depth=4
	s_mov_b32 s13, -1
	s_mov_b32 s38, exec_lo
                                        ; implicit-def: $sgpr36
	v_cmpx_eq_u16_e32 0x80, v77
; %bb.2893:                             ;   in Loop: Header=BB6_394 Depth=4
	s_mov_b32 s36, 0x7f800001
	s_xor_b32 s13, exec_lo, -1
; %bb.2894:                             ;   in Loop: Header=BB6_394 Depth=4
	s_or_b32 exec_lo, exec_lo, s38
	s_delay_alu instid0(SALU_CYCLE_1)
	s_and_b32 s13, s13, exec_lo
                                        ; implicit-def: $vgpr77
	s_or_saveexec_b32 s37, s37
	v_mov_b32_e32 v76, s36
	s_xor_b32 exec_lo, exec_lo, s37
	s_cbranch_execz .LBB6_1561
.LBB6_2895:                             ;   in Loop: Header=BB6_394 Depth=4
	v_cmp_ne_u16_e32 vcc_lo, 0, v77
	v_mov_b32_e32 v76, 0
	s_and_not1_b32 s13, s13, exec_lo
	s_and_b32 vcc_lo, vcc_lo, exec_lo
	s_delay_alu instid0(SALU_CYCLE_1)
	s_or_b32 s13, s13, vcc_lo
	s_or_b32 exec_lo, exec_lo, s37
	s_and_saveexec_b32 s36, s13
	s_cbranch_execnz .LBB6_1562
	s_branch .LBB6_1563
.LBB6_2896:                             ;   in Loop: Header=BB6_394 Depth=4
	s_mov_b32 s13, -1
	s_mov_b32 s38, exec_lo
                                        ; implicit-def: $sgpr36
	v_cmpx_eq_u16_e32 0x80, v21
; %bb.2897:                             ;   in Loop: Header=BB6_394 Depth=4
	s_mov_b32 s36, 0x7f800001
	s_xor_b32 s13, exec_lo, -1
; %bb.2898:                             ;   in Loop: Header=BB6_394 Depth=4
	s_or_b32 exec_lo, exec_lo, s38
	s_delay_alu instid0(SALU_CYCLE_1)
	s_and_b32 s13, s13, exec_lo
                                        ; implicit-def: $vgpr21
	s_or_saveexec_b32 s37, s37
	v_mov_b32_e32 v75, s36
	s_xor_b32 exec_lo, exec_lo, s37
	s_cbranch_execz .LBB6_1568
.LBB6_2899:                             ;   in Loop: Header=BB6_394 Depth=4
	v_cmp_ne_u16_e32 vcc_lo, 0, v21
	v_mov_b32_e32 v75, 0
	s_and_not1_b32 s13, s13, exec_lo
	s_and_b32 vcc_lo, vcc_lo, exec_lo
	s_delay_alu instid0(SALU_CYCLE_1)
	s_or_b32 s13, s13, vcc_lo
	s_or_b32 exec_lo, exec_lo, s37
	s_and_saveexec_b32 s36, s13
	s_cbranch_execnz .LBB6_1569
	s_branch .LBB6_1570
.LBB6_2900:                             ;   in Loop: Header=BB6_394 Depth=4
	s_mov_b32 s13, -1
	s_mov_b32 s38, exec_lo
                                        ; implicit-def: $sgpr36
	v_cmpx_eq_u16_e32 0x80, v76
; %bb.2901:                             ;   in Loop: Header=BB6_394 Depth=4
	s_mov_b32 s36, 0x7f800001
	s_xor_b32 s13, exec_lo, -1
; %bb.2902:                             ;   in Loop: Header=BB6_394 Depth=4
	s_or_b32 exec_lo, exec_lo, s38
	s_delay_alu instid0(SALU_CYCLE_1)
	s_and_b32 s13, s13, exec_lo
                                        ; implicit-def: $vgpr76
	s_or_saveexec_b32 s37, s37
	v_mov_b32_e32 v21, s36
	s_xor_b32 exec_lo, exec_lo, s37
	s_cbranch_execz .LBB6_1572
.LBB6_2903:                             ;   in Loop: Header=BB6_394 Depth=4
	v_cmp_ne_u16_e32 vcc_lo, 0, v76
	v_mov_b32_e32 v21, 0
	s_and_not1_b32 s13, s13, exec_lo
	s_and_b32 vcc_lo, vcc_lo, exec_lo
	s_delay_alu instid0(SALU_CYCLE_1)
	s_or_b32 s13, s13, vcc_lo
	s_or_b32 exec_lo, exec_lo, s37
	s_and_saveexec_b32 s36, s13
	s_cbranch_execnz .LBB6_1573
	s_branch .LBB6_1574
.LBB6_2904:                             ;   in Loop: Header=BB6_394 Depth=4
	s_mov_b32 s36, -1
	s_mov_b32 s38, exec_lo
                                        ; implicit-def: $sgpr37
	v_cmpx_eq_u16_e32 0x80, v76
; %bb.2905:                             ;   in Loop: Header=BB6_394 Depth=4
	s_mov_b32 s37, 0x7f800001
	s_xor_b32 s36, exec_lo, -1
; %bb.2906:                             ;   in Loop: Header=BB6_394 Depth=4
	s_or_b32 exec_lo, exec_lo, s38
	s_delay_alu instid0(SALU_CYCLE_1)
	s_and_b32 s36, s36, exec_lo
	s_or_saveexec_b32 s13, s13
	v_mov_b32_e32 v77, s37
	s_xor_b32 exec_lo, exec_lo, s13
	s_cbranch_execz .LBB6_1586
.LBB6_2907:                             ;   in Loop: Header=BB6_394 Depth=4
	v_cmp_ne_u16_e32 vcc_lo, 0, v76
	v_mov_b32_e32 v77, 0
	s_and_not1_b32 s36, s36, exec_lo
	s_and_b32 vcc_lo, vcc_lo, exec_lo
	s_delay_alu instid0(SALU_CYCLE_1)
	s_or_b32 s36, s36, vcc_lo
	s_or_b32 exec_lo, exec_lo, s13
	s_and_saveexec_b32 s13, s36
	s_cbranch_execnz .LBB6_1587
	s_branch .LBB6_1588
.LBB6_2908:                             ;   in Loop: Header=BB6_394 Depth=4
	s_mov_b32 s13, -1
	s_mov_b32 s38, exec_lo
                                        ; implicit-def: $sgpr36
	v_cmpx_eq_u16_e32 0x80, v75
; %bb.2909:                             ;   in Loop: Header=BB6_394 Depth=4
	s_mov_b32 s36, 0x7f800001
	s_xor_b32 s13, exec_lo, -1
; %bb.2910:                             ;   in Loop: Header=BB6_394 Depth=4
	s_or_b32 exec_lo, exec_lo, s38
	s_delay_alu instid0(SALU_CYCLE_1)
	s_and_b32 s13, s13, exec_lo
	s_or_saveexec_b32 s37, s37
	v_mov_b32_e32 v78, s36
	s_xor_b32 exec_lo, exec_lo, s37
	s_cbranch_execz .LBB6_1590
.LBB6_2911:                             ;   in Loop: Header=BB6_394 Depth=4
	v_cmp_ne_u16_e32 vcc_lo, 0, v75
	v_mov_b32_e32 v78, 0
	s_and_not1_b32 s13, s13, exec_lo
	s_and_b32 vcc_lo, vcc_lo, exec_lo
	s_delay_alu instid0(SALU_CYCLE_1)
	s_or_b32 s13, s13, vcc_lo
	s_or_b32 exec_lo, exec_lo, s37
	s_and_saveexec_b32 s36, s13
	s_cbranch_execnz .LBB6_1591
	s_branch .LBB6_1592
.LBB6_2912:                             ;   in Loop: Header=BB6_394 Depth=4
	s_mov_b32 s13, -1
	s_mov_b32 s38, exec_lo
                                        ; implicit-def: $sgpr36
	v_cmpx_eq_u16_e32 0x80, v76
; %bb.2913:                             ;   in Loop: Header=BB6_394 Depth=4
	s_mov_b32 s36, 0x7f800001
	s_xor_b32 s13, exec_lo, -1
; %bb.2914:                             ;   in Loop: Header=BB6_394 Depth=4
	s_or_b32 exec_lo, exec_lo, s38
	s_delay_alu instid0(SALU_CYCLE_1)
	s_and_b32 s13, s13, exec_lo
	s_or_saveexec_b32 s37, s37
	v_mov_b32_e32 v77, s36
	s_xor_b32 exec_lo, exec_lo, s37
	s_cbranch_execz .LBB6_1597
.LBB6_2915:                             ;   in Loop: Header=BB6_394 Depth=4
	v_cmp_ne_u16_e32 vcc_lo, 0, v76
	v_mov_b32_e32 v77, 0
	s_and_not1_b32 s13, s13, exec_lo
	s_and_b32 vcc_lo, vcc_lo, exec_lo
	s_delay_alu instid0(SALU_CYCLE_1)
	s_or_b32 s13, s13, vcc_lo
	s_or_b32 exec_lo, exec_lo, s37
	s_and_saveexec_b32 s36, s13
	s_cbranch_execnz .LBB6_1598
	s_branch .LBB6_1599
.LBB6_2916:                             ;   in Loop: Header=BB6_394 Depth=4
	s_mov_b32 s13, -1
	s_mov_b32 s38, exec_lo
                                        ; implicit-def: $sgpr36
	v_cmpx_eq_u16_e32 0x80, v75
; %bb.2917:                             ;   in Loop: Header=BB6_394 Depth=4
	s_mov_b32 s36, 0x7f800001
	s_xor_b32 s13, exec_lo, -1
; %bb.2918:                             ;   in Loop: Header=BB6_394 Depth=4
	s_or_b32 exec_lo, exec_lo, s38
	s_delay_alu instid0(SALU_CYCLE_1)
	s_and_b32 s13, s13, exec_lo
	s_or_saveexec_b32 s37, s37
	v_mov_b32_e32 v76, s36
	s_xor_b32 exec_lo, exec_lo, s37
	s_cbranch_execz .LBB6_1601
.LBB6_2919:                             ;   in Loop: Header=BB6_394 Depth=4
	v_cmp_ne_u16_e32 vcc_lo, 0, v75
	v_mov_b32_e32 v76, 0
	s_and_not1_b32 s13, s13, exec_lo
	s_and_b32 vcc_lo, vcc_lo, exec_lo
	s_delay_alu instid0(SALU_CYCLE_1)
	s_or_b32 s13, s13, vcc_lo
	s_or_b32 exec_lo, exec_lo, s37
	s_and_saveexec_b32 s36, s13
	s_cbranch_execnz .LBB6_1602
	s_branch .LBB6_1603
.LBB6_2920:                             ;   in Loop: Header=BB6_394 Depth=4
	s_mov_b32 s36, -1
	s_mov_b32 s38, exec_lo
                                        ; implicit-def: $sgpr37
	v_cmpx_eq_u16_e32 0x80, v78
; %bb.2921:                             ;   in Loop: Header=BB6_394 Depth=4
	s_mov_b32 s37, 0x7f800001
	s_xor_b32 s36, exec_lo, -1
; %bb.2922:                             ;   in Loop: Header=BB6_394 Depth=4
	s_or_b32 exec_lo, exec_lo, s38
	s_delay_alu instid0(SALU_CYCLE_1)
	s_and_b32 s36, s36, exec_lo
	s_or_saveexec_b32 s13, s13
	v_mov_b32_e32 v79, s37
	s_xor_b32 exec_lo, exec_lo, s13
	s_cbranch_execz .LBB6_1615
.LBB6_2923:                             ;   in Loop: Header=BB6_394 Depth=4
	v_cmp_ne_u16_e32 vcc_lo, 0, v78
	v_mov_b32_e32 v79, 0
	s_and_not1_b32 s36, s36, exec_lo
	s_and_b32 vcc_lo, vcc_lo, exec_lo
	s_delay_alu instid0(SALU_CYCLE_1)
	s_or_b32 s36, s36, vcc_lo
	s_or_b32 exec_lo, exec_lo, s13
	s_and_saveexec_b32 s13, s36
	s_cbranch_execnz .LBB6_1616
	s_branch .LBB6_1617
.LBB6_2924:                             ;   in Loop: Header=BB6_394 Depth=4
	s_mov_b32 s13, -1
	s_mov_b32 s38, exec_lo
                                        ; implicit-def: $sgpr36
	v_cmpx_eq_u16_e32 0x80, v89
; %bb.2925:                             ;   in Loop: Header=BB6_394 Depth=4
	s_mov_b32 s36, 0x7f800001
	s_xor_b32 s13, exec_lo, -1
; %bb.2926:                             ;   in Loop: Header=BB6_394 Depth=4
	s_or_b32 exec_lo, exec_lo, s38
	s_delay_alu instid0(SALU_CYCLE_1)
	s_and_b32 s13, s13, exec_lo
                                        ; implicit-def: $vgpr89
	s_or_saveexec_b32 s37, s37
	v_mov_b32_e32 v88, s36
	s_xor_b32 exec_lo, exec_lo, s37
	s_cbranch_execz .LBB6_1619
.LBB6_2927:                             ;   in Loop: Header=BB6_394 Depth=4
	v_cmp_ne_u16_e32 vcc_lo, 0, v89
	v_mov_b32_e32 v88, 0
	s_and_not1_b32 s13, s13, exec_lo
	s_and_b32 vcc_lo, vcc_lo, exec_lo
	s_delay_alu instid0(SALU_CYCLE_1)
	s_or_b32 s13, s13, vcc_lo
	s_or_b32 exec_lo, exec_lo, s37
	s_and_saveexec_b32 s36, s13
	s_cbranch_execnz .LBB6_1620
	s_branch .LBB6_1621
.LBB6_2928:                             ;   in Loop: Header=BB6_394 Depth=4
	s_mov_b32 s13, -1
	s_mov_b32 s38, exec_lo
                                        ; implicit-def: $sgpr36
	v_cmpx_eq_u16_e32 0x80, v78
; %bb.2929:                             ;   in Loop: Header=BB6_394 Depth=4
	s_mov_b32 s36, 0x7f800001
	s_xor_b32 s13, exec_lo, -1
; %bb.2930:                             ;   in Loop: Header=BB6_394 Depth=4
	s_or_b32 exec_lo, exec_lo, s38
	s_delay_alu instid0(SALU_CYCLE_1)
	s_and_b32 s13, s13, exec_lo
                                        ; implicit-def: $vgpr78
	s_or_saveexec_b32 s37, s37
	v_mov_b32_e32 v79, s36
	s_xor_b32 exec_lo, exec_lo, s37
	s_cbranch_execz .LBB6_1626
.LBB6_2931:                             ;   in Loop: Header=BB6_394 Depth=4
	v_cmp_ne_u16_e32 vcc_lo, 0, v78
	v_mov_b32_e32 v79, 0
	s_and_not1_b32 s13, s13, exec_lo
	s_and_b32 vcc_lo, vcc_lo, exec_lo
	s_delay_alu instid0(SALU_CYCLE_1)
	s_or_b32 s13, s13, vcc_lo
	s_or_b32 exec_lo, exec_lo, s37
	s_and_saveexec_b32 s36, s13
	s_cbranch_execnz .LBB6_1627
	s_branch .LBB6_1628
.LBB6_2932:                             ;   in Loop: Header=BB6_394 Depth=4
	s_mov_b32 s13, -1
	s_mov_b32 s38, exec_lo
                                        ; implicit-def: $sgpr36
	v_cmpx_eq_u16_e32 0x80, v78
; %bb.2933:                             ;   in Loop: Header=BB6_394 Depth=4
	s_mov_b32 s36, 0x7f800001
	s_xor_b32 s13, exec_lo, -1
; %bb.2934:                             ;   in Loop: Header=BB6_394 Depth=4
	s_or_b32 exec_lo, exec_lo, s38
	s_delay_alu instid0(SALU_CYCLE_1)
	s_and_b32 s13, s13, exec_lo
                                        ; implicit-def: $vgpr78
	s_or_saveexec_b32 s37, s37
	v_mov_b32_e32 v77, s36
	s_xor_b32 exec_lo, exec_lo, s37
	s_cbranch_execz .LBB6_1630
.LBB6_2935:                             ;   in Loop: Header=BB6_394 Depth=4
	v_cmp_ne_u16_e32 vcc_lo, 0, v78
	v_mov_b32_e32 v77, 0
	s_and_not1_b32 s13, s13, exec_lo
	s_and_b32 vcc_lo, vcc_lo, exec_lo
	s_delay_alu instid0(SALU_CYCLE_1)
	s_or_b32 s13, s13, vcc_lo
	s_or_b32 exec_lo, exec_lo, s37
	s_and_saveexec_b32 s36, s13
	s_cbranch_execnz .LBB6_1631
	s_branch .LBB6_1632
.LBB6_2936:                             ;   in Loop: Header=BB6_394 Depth=4
	s_mov_b32 s36, -1
	s_mov_b32 s38, exec_lo
                                        ; implicit-def: $sgpr37
	v_cmpx_eq_u16_e32 0x80, v78
; %bb.2937:                             ;   in Loop: Header=BB6_394 Depth=4
	s_mov_b32 s37, 0x7f800001
	s_xor_b32 s36, exec_lo, -1
; %bb.2938:                             ;   in Loop: Header=BB6_394 Depth=4
	s_or_b32 exec_lo, exec_lo, s38
	s_delay_alu instid0(SALU_CYCLE_1)
	s_and_b32 s36, s36, exec_lo
	s_or_saveexec_b32 s13, s13
	v_mov_b32_e32 v79, s37
	s_xor_b32 exec_lo, exec_lo, s13
	s_cbranch_execz .LBB6_1644
.LBB6_2939:                             ;   in Loop: Header=BB6_394 Depth=4
	v_cmp_ne_u16_e32 vcc_lo, 0, v78
	v_mov_b32_e32 v79, 0
	s_and_not1_b32 s36, s36, exec_lo
	s_and_b32 vcc_lo, vcc_lo, exec_lo
	s_delay_alu instid0(SALU_CYCLE_1)
	s_or_b32 s36, s36, vcc_lo
	s_or_b32 exec_lo, exec_lo, s13
	s_and_saveexec_b32 s13, s36
	s_cbranch_execnz .LBB6_1645
	s_branch .LBB6_1646
.LBB6_2940:                             ;   in Loop: Header=BB6_394 Depth=4
	s_mov_b32 s13, -1
	s_mov_b32 s38, exec_lo
                                        ; implicit-def: $sgpr36
	v_cmpx_eq_u16_e32 0x80, v77
; %bb.2941:                             ;   in Loop: Header=BB6_394 Depth=4
	s_mov_b32 s36, 0x7f800001
	s_xor_b32 s13, exec_lo, -1
; %bb.2942:                             ;   in Loop: Header=BB6_394 Depth=4
	s_or_b32 exec_lo, exec_lo, s38
	s_delay_alu instid0(SALU_CYCLE_1)
	s_and_b32 s13, s13, exec_lo
	s_or_saveexec_b32 s37, s37
	v_mov_b32_e32 v88, s36
	s_xor_b32 exec_lo, exec_lo, s37
	s_cbranch_execz .LBB6_1648
.LBB6_2943:                             ;   in Loop: Header=BB6_394 Depth=4
	v_cmp_ne_u16_e32 vcc_lo, 0, v77
	v_mov_b32_e32 v88, 0
	s_and_not1_b32 s13, s13, exec_lo
	s_and_b32 vcc_lo, vcc_lo, exec_lo
	s_delay_alu instid0(SALU_CYCLE_1)
	s_or_b32 s13, s13, vcc_lo
	s_or_b32 exec_lo, exec_lo, s37
	s_and_saveexec_b32 s36, s13
	s_cbranch_execnz .LBB6_1649
	s_branch .LBB6_1650
.LBB6_2944:                             ;   in Loop: Header=BB6_394 Depth=4
	s_mov_b32 s13, -1
	s_mov_b32 s38, exec_lo
                                        ; implicit-def: $sgpr36
	v_cmpx_eq_u16_e32 0x80, v78
; %bb.2945:                             ;   in Loop: Header=BB6_394 Depth=4
	s_mov_b32 s36, 0x7f800001
	s_xor_b32 s13, exec_lo, -1
; %bb.2946:                             ;   in Loop: Header=BB6_394 Depth=4
	s_or_b32 exec_lo, exec_lo, s38
	s_delay_alu instid0(SALU_CYCLE_1)
	s_and_b32 s13, s13, exec_lo
	s_or_saveexec_b32 s37, s37
	v_mov_b32_e32 v79, s36
	s_xor_b32 exec_lo, exec_lo, s37
	s_cbranch_execz .LBB6_1655
.LBB6_2947:                             ;   in Loop: Header=BB6_394 Depth=4
	v_cmp_ne_u16_e32 vcc_lo, 0, v78
	v_mov_b32_e32 v79, 0
	s_and_not1_b32 s13, s13, exec_lo
	s_and_b32 vcc_lo, vcc_lo, exec_lo
	s_delay_alu instid0(SALU_CYCLE_1)
	s_or_b32 s13, s13, vcc_lo
	s_or_b32 exec_lo, exec_lo, s37
	s_and_saveexec_b32 s36, s13
	s_cbranch_execnz .LBB6_1656
	s_branch .LBB6_1657
.LBB6_2948:                             ;   in Loop: Header=BB6_394 Depth=4
	s_mov_b32 s13, -1
	s_mov_b32 s38, exec_lo
                                        ; implicit-def: $sgpr36
	v_cmpx_eq_u16_e32 0x80, v77
; %bb.2949:                             ;   in Loop: Header=BB6_394 Depth=4
	s_mov_b32 s36, 0x7f800001
	s_xor_b32 s13, exec_lo, -1
; %bb.2950:                             ;   in Loop: Header=BB6_394 Depth=4
	s_or_b32 exec_lo, exec_lo, s38
	s_delay_alu instid0(SALU_CYCLE_1)
	s_and_b32 s13, s13, exec_lo
	s_or_saveexec_b32 s37, s37
	v_mov_b32_e32 v22, s36
	s_xor_b32 exec_lo, exec_lo, s37
	s_cbranch_execz .LBB6_1659
.LBB6_2951:                             ;   in Loop: Header=BB6_394 Depth=4
	v_cmp_ne_u16_e32 vcc_lo, 0, v77
	v_mov_b32_e32 v22, 0
	s_and_not1_b32 s13, s13, exec_lo
	s_and_b32 vcc_lo, vcc_lo, exec_lo
	s_delay_alu instid0(SALU_CYCLE_1)
	s_or_b32 s13, s13, vcc_lo
	s_or_b32 exec_lo, exec_lo, s37
	s_and_saveexec_b32 s36, s13
	s_cbranch_execnz .LBB6_1660
	s_branch .LBB6_1661
.LBB6_2952:                             ;   in Loop: Header=BB6_394 Depth=4
	s_mov_b32 s36, -1
	s_mov_b32 s38, exec_lo
                                        ; implicit-def: $sgpr37
	v_cmpx_eq_u16_e32 0x80, v22
; %bb.2953:                             ;   in Loop: Header=BB6_394 Depth=4
	s_mov_b32 s37, 0x7f800001
	s_xor_b32 s36, exec_lo, -1
; %bb.2954:                             ;   in Loop: Header=BB6_394 Depth=4
	s_or_b32 exec_lo, exec_lo, s38
	s_delay_alu instid0(SALU_CYCLE_1)
	s_and_b32 s36, s36, exec_lo
	s_or_saveexec_b32 s13, s13
	v_mov_b32_e32 v77, s37
	s_xor_b32 exec_lo, exec_lo, s13
	s_cbranch_execz .LBB6_1673
.LBB6_2955:                             ;   in Loop: Header=BB6_394 Depth=4
	v_cmp_ne_u16_e32 vcc_lo, 0, v22
	v_mov_b32_e32 v77, 0
	s_and_not1_b32 s36, s36, exec_lo
	s_and_b32 vcc_lo, vcc_lo, exec_lo
	s_delay_alu instid0(SALU_CYCLE_1)
	s_or_b32 s36, s36, vcc_lo
	s_or_b32 exec_lo, exec_lo, s13
	s_and_saveexec_b32 s13, s36
	s_cbranch_execnz .LBB6_1674
	s_branch .LBB6_1675
.LBB6_2956:                             ;   in Loop: Header=BB6_394 Depth=4
	s_mov_b32 s13, -1
	s_mov_b32 s38, exec_lo
                                        ; implicit-def: $sgpr36
	v_cmpx_eq_u16_e32 0x80, v79
; %bb.2957:                             ;   in Loop: Header=BB6_394 Depth=4
	s_mov_b32 s36, 0x7f800001
	s_xor_b32 s13, exec_lo, -1
; %bb.2958:                             ;   in Loop: Header=BB6_394 Depth=4
	s_or_b32 exec_lo, exec_lo, s38
	s_delay_alu instid0(SALU_CYCLE_1)
	s_and_b32 s13, s13, exec_lo
                                        ; implicit-def: $vgpr79
	s_or_saveexec_b32 s37, s37
	v_mov_b32_e32 v78, s36
	s_xor_b32 exec_lo, exec_lo, s37
	s_cbranch_execz .LBB6_1677
.LBB6_2959:                             ;   in Loop: Header=BB6_394 Depth=4
	v_cmp_ne_u16_e32 vcc_lo, 0, v79
	v_mov_b32_e32 v78, 0
	s_and_not1_b32 s13, s13, exec_lo
	s_and_b32 vcc_lo, vcc_lo, exec_lo
	s_delay_alu instid0(SALU_CYCLE_1)
	s_or_b32 s13, s13, vcc_lo
	s_or_b32 exec_lo, exec_lo, s37
	s_and_saveexec_b32 s36, s13
	s_cbranch_execnz .LBB6_1678
	s_branch .LBB6_1679
.LBB6_2960:                             ;   in Loop: Header=BB6_394 Depth=4
	s_mov_b32 s13, -1
	s_mov_b32 s38, exec_lo
                                        ; implicit-def: $sgpr36
	v_cmpx_eq_u16_e32 0x80, v22
; %bb.2961:                             ;   in Loop: Header=BB6_394 Depth=4
	s_mov_b32 s36, 0x7f800001
	s_xor_b32 s13, exec_lo, -1
; %bb.2962:                             ;   in Loop: Header=BB6_394 Depth=4
	s_or_b32 exec_lo, exec_lo, s38
	s_delay_alu instid0(SALU_CYCLE_1)
	s_and_b32 s13, s13, exec_lo
                                        ; implicit-def: $vgpr22
	s_or_saveexec_b32 s37, s37
	v_mov_b32_e32 v77, s36
	s_xor_b32 exec_lo, exec_lo, s37
	s_cbranch_execz .LBB6_1684
.LBB6_2963:                             ;   in Loop: Header=BB6_394 Depth=4
	v_cmp_ne_u16_e32 vcc_lo, 0, v22
	v_mov_b32_e32 v77, 0
	s_and_not1_b32 s13, s13, exec_lo
	s_and_b32 vcc_lo, vcc_lo, exec_lo
	s_delay_alu instid0(SALU_CYCLE_1)
	s_or_b32 s13, s13, vcc_lo
	s_or_b32 exec_lo, exec_lo, s37
	s_and_saveexec_b32 s36, s13
	s_cbranch_execnz .LBB6_1685
	s_branch .LBB6_1686
.LBB6_2964:                             ;   in Loop: Header=BB6_394 Depth=4
	s_mov_b32 s13, -1
	s_mov_b32 s38, exec_lo
                                        ; implicit-def: $sgpr36
	v_cmpx_eq_u16_e32 0x80, v78
; %bb.2965:                             ;   in Loop: Header=BB6_394 Depth=4
	s_mov_b32 s36, 0x7f800001
	s_xor_b32 s13, exec_lo, -1
; %bb.2966:                             ;   in Loop: Header=BB6_394 Depth=4
	s_or_b32 exec_lo, exec_lo, s38
	s_delay_alu instid0(SALU_CYCLE_1)
	s_and_b32 s13, s13, exec_lo
                                        ; implicit-def: $vgpr78
	s_or_saveexec_b32 s37, s37
	v_mov_b32_e32 v22, s36
	s_xor_b32 exec_lo, exec_lo, s37
	s_cbranch_execz .LBB6_1688
.LBB6_2967:                             ;   in Loop: Header=BB6_394 Depth=4
	v_cmp_ne_u16_e32 vcc_lo, 0, v78
	v_mov_b32_e32 v22, 0
	s_and_not1_b32 s13, s13, exec_lo
	s_and_b32 vcc_lo, vcc_lo, exec_lo
	s_delay_alu instid0(SALU_CYCLE_1)
	s_or_b32 s13, s13, vcc_lo
	s_or_b32 exec_lo, exec_lo, s37
	s_and_saveexec_b32 s36, s13
	s_cbranch_execnz .LBB6_1689
	s_branch .LBB6_1690
.LBB6_2968:                             ;   in Loop: Header=BB6_394 Depth=4
	s_mov_b32 s36, -1
	s_mov_b32 s38, exec_lo
                                        ; implicit-def: $sgpr37
	v_cmpx_eq_u16_e32 0x80, v78
; %bb.2969:                             ;   in Loop: Header=BB6_394 Depth=4
	s_mov_b32 s37, 0x7f800001
	s_xor_b32 s36, exec_lo, -1
; %bb.2970:                             ;   in Loop: Header=BB6_394 Depth=4
	s_or_b32 exec_lo, exec_lo, s38
	s_delay_alu instid0(SALU_CYCLE_1)
	s_and_b32 s36, s36, exec_lo
	s_or_saveexec_b32 s13, s13
	v_mov_b32_e32 v79, s37
	s_xor_b32 exec_lo, exec_lo, s13
	s_cbranch_execz .LBB6_1702
.LBB6_2971:                             ;   in Loop: Header=BB6_394 Depth=4
	v_cmp_ne_u16_e32 vcc_lo, 0, v78
	v_mov_b32_e32 v79, 0
	s_and_not1_b32 s36, s36, exec_lo
	s_and_b32 vcc_lo, vcc_lo, exec_lo
	s_delay_alu instid0(SALU_CYCLE_1)
	s_or_b32 s36, s36, vcc_lo
	s_or_b32 exec_lo, exec_lo, s13
	s_and_saveexec_b32 s13, s36
	s_cbranch_execnz .LBB6_1703
	s_branch .LBB6_1704
.LBB6_2972:                             ;   in Loop: Header=BB6_394 Depth=4
	s_mov_b32 s13, -1
	s_mov_b32 s38, exec_lo
                                        ; implicit-def: $sgpr36
	v_cmpx_eq_u16_e32 0x80, v77
; %bb.2973:                             ;   in Loop: Header=BB6_394 Depth=4
	s_mov_b32 s36, 0x7f800001
	s_xor_b32 s13, exec_lo, -1
; %bb.2974:                             ;   in Loop: Header=BB6_394 Depth=4
	s_or_b32 exec_lo, exec_lo, s38
	s_delay_alu instid0(SALU_CYCLE_1)
	s_and_b32 s13, s13, exec_lo
	s_or_saveexec_b32 s37, s37
	v_mov_b32_e32 v88, s36
	s_xor_b32 exec_lo, exec_lo, s37
	s_cbranch_execz .LBB6_1706
.LBB6_2975:                             ;   in Loop: Header=BB6_394 Depth=4
	v_cmp_ne_u16_e32 vcc_lo, 0, v77
	v_mov_b32_e32 v88, 0
	s_and_not1_b32 s13, s13, exec_lo
	s_and_b32 vcc_lo, vcc_lo, exec_lo
	s_delay_alu instid0(SALU_CYCLE_1)
	s_or_b32 s13, s13, vcc_lo
	s_or_b32 exec_lo, exec_lo, s37
	s_and_saveexec_b32 s36, s13
	s_cbranch_execnz .LBB6_1707
	s_branch .LBB6_1708
.LBB6_2976:                             ;   in Loop: Header=BB6_394 Depth=4
	s_mov_b32 s13, -1
	s_mov_b32 s38, exec_lo
                                        ; implicit-def: $sgpr36
	v_cmpx_eq_u16_e32 0x80, v78
; %bb.2977:                             ;   in Loop: Header=BB6_394 Depth=4
	s_mov_b32 s36, 0x7f800001
	s_xor_b32 s13, exec_lo, -1
; %bb.2978:                             ;   in Loop: Header=BB6_394 Depth=4
	s_or_b32 exec_lo, exec_lo, s38
	s_delay_alu instid0(SALU_CYCLE_1)
	s_and_b32 s13, s13, exec_lo
	s_or_saveexec_b32 s37, s37
	v_mov_b32_e32 v79, s36
	s_xor_b32 exec_lo, exec_lo, s37
	s_cbranch_execz .LBB6_1713
.LBB6_2979:                             ;   in Loop: Header=BB6_394 Depth=4
	v_cmp_ne_u16_e32 vcc_lo, 0, v78
	v_mov_b32_e32 v79, 0
	s_and_not1_b32 s13, s13, exec_lo
	s_and_b32 vcc_lo, vcc_lo, exec_lo
	s_delay_alu instid0(SALU_CYCLE_1)
	s_or_b32 s13, s13, vcc_lo
	s_or_b32 exec_lo, exec_lo, s37
	s_and_saveexec_b32 s36, s13
	s_cbranch_execnz .LBB6_1714
	s_branch .LBB6_1715
.LBB6_2980:                             ;   in Loop: Header=BB6_394 Depth=4
	s_mov_b32 s13, -1
	s_mov_b32 s38, exec_lo
                                        ; implicit-def: $sgpr36
	v_cmpx_eq_u16_e32 0x80, v77
; %bb.2981:                             ;   in Loop: Header=BB6_394 Depth=4
	s_mov_b32 s36, 0x7f800001
	s_xor_b32 s13, exec_lo, -1
; %bb.2982:                             ;   in Loop: Header=BB6_394 Depth=4
	s_or_b32 exec_lo, exec_lo, s38
	s_delay_alu instid0(SALU_CYCLE_1)
	s_and_b32 s13, s13, exec_lo
	s_or_saveexec_b32 s37, s37
	v_mov_b32_e32 v78, s36
	s_xor_b32 exec_lo, exec_lo, s37
	s_cbranch_execz .LBB6_1717
.LBB6_2983:                             ;   in Loop: Header=BB6_394 Depth=4
	v_cmp_ne_u16_e32 vcc_lo, 0, v77
	v_mov_b32_e32 v78, 0
	s_and_not1_b32 s13, s13, exec_lo
	s_and_b32 vcc_lo, vcc_lo, exec_lo
	s_delay_alu instid0(SALU_CYCLE_1)
	s_or_b32 s13, s13, vcc_lo
	s_or_b32 exec_lo, exec_lo, s37
	s_and_saveexec_b32 s36, s13
	s_cbranch_execnz .LBB6_1718
	s_branch .LBB6_1719
.LBB6_2984:                             ;   in Loop: Header=BB6_394 Depth=4
	s_mov_b32 s36, -1
	s_mov_b32 s38, exec_lo
                                        ; implicit-def: $sgpr37
	v_cmpx_eq_u16_e32 0x80, v88
; %bb.2985:                             ;   in Loop: Header=BB6_394 Depth=4
	s_mov_b32 s37, 0x7f800001
	s_xor_b32 s36, exec_lo, -1
; %bb.2986:                             ;   in Loop: Header=BB6_394 Depth=4
	s_or_b32 exec_lo, exec_lo, s38
	s_delay_alu instid0(SALU_CYCLE_1)
	s_and_b32 s36, s36, exec_lo
	s_or_saveexec_b32 s13, s13
	v_mov_b32_e32 v89, s37
	s_xor_b32 exec_lo, exec_lo, s13
	s_cbranch_execz .LBB6_1731
.LBB6_2987:                             ;   in Loop: Header=BB6_394 Depth=4
	v_cmp_ne_u16_e32 vcc_lo, 0, v88
	v_mov_b32_e32 v89, 0
	s_and_not1_b32 s36, s36, exec_lo
	s_and_b32 vcc_lo, vcc_lo, exec_lo
	s_delay_alu instid0(SALU_CYCLE_1)
	s_or_b32 s36, s36, vcc_lo
	s_or_b32 exec_lo, exec_lo, s13
	s_and_saveexec_b32 s13, s36
	s_cbranch_execnz .LBB6_1732
	s_branch .LBB6_1733
.LBB6_2988:                             ;   in Loop: Header=BB6_394 Depth=4
	s_mov_b32 s13, -1
	s_mov_b32 s38, exec_lo
                                        ; implicit-def: $sgpr36
	v_cmpx_eq_u16_e32 0x80, v91
; %bb.2989:                             ;   in Loop: Header=BB6_394 Depth=4
	s_mov_b32 s36, 0x7f800001
	s_xor_b32 s13, exec_lo, -1
; %bb.2990:                             ;   in Loop: Header=BB6_394 Depth=4
	s_or_b32 exec_lo, exec_lo, s38
	s_delay_alu instid0(SALU_CYCLE_1)
	s_and_b32 s13, s13, exec_lo
                                        ; implicit-def: $vgpr91
	s_or_saveexec_b32 s37, s37
	v_mov_b32_e32 v90, s36
	s_xor_b32 exec_lo, exec_lo, s37
	s_cbranch_execz .LBB6_1735
.LBB6_2991:                             ;   in Loop: Header=BB6_394 Depth=4
	v_cmp_ne_u16_e32 vcc_lo, 0, v91
	v_mov_b32_e32 v90, 0
	s_and_not1_b32 s13, s13, exec_lo
	s_and_b32 vcc_lo, vcc_lo, exec_lo
	s_delay_alu instid0(SALU_CYCLE_1)
	s_or_b32 s13, s13, vcc_lo
	s_or_b32 exec_lo, exec_lo, s37
	s_and_saveexec_b32 s36, s13
	s_cbranch_execnz .LBB6_1736
	s_branch .LBB6_1737
.LBB6_2992:                             ;   in Loop: Header=BB6_394 Depth=4
	s_mov_b32 s13, -1
	s_mov_b32 s38, exec_lo
                                        ; implicit-def: $sgpr36
	v_cmpx_eq_u16_e32 0x80, v88
; %bb.2993:                             ;   in Loop: Header=BB6_394 Depth=4
	s_mov_b32 s36, 0x7f800001
	s_xor_b32 s13, exec_lo, -1
; %bb.2994:                             ;   in Loop: Header=BB6_394 Depth=4
	s_or_b32 exec_lo, exec_lo, s38
	s_delay_alu instid0(SALU_CYCLE_1)
	s_and_b32 s13, s13, exec_lo
                                        ; implicit-def: $vgpr88
	s_or_saveexec_b32 s37, s37
	v_mov_b32_e32 v89, s36
	s_xor_b32 exec_lo, exec_lo, s37
	s_cbranch_execz .LBB6_1742
.LBB6_2995:                             ;   in Loop: Header=BB6_394 Depth=4
	v_cmp_ne_u16_e32 vcc_lo, 0, v88
	v_mov_b32_e32 v89, 0
	s_and_not1_b32 s13, s13, exec_lo
	s_and_b32 vcc_lo, vcc_lo, exec_lo
	s_delay_alu instid0(SALU_CYCLE_1)
	s_or_b32 s13, s13, vcc_lo
	s_or_b32 exec_lo, exec_lo, s37
	s_and_saveexec_b32 s36, s13
	s_cbranch_execnz .LBB6_1743
	s_branch .LBB6_1744
.LBB6_2996:                             ;   in Loop: Header=BB6_394 Depth=4
	s_mov_b32 s13, -1
	s_mov_b32 s38, exec_lo
                                        ; implicit-def: $sgpr36
	v_cmpx_eq_u16_e32 0x80, v88
; %bb.2997:                             ;   in Loop: Header=BB6_394 Depth=4
	s_mov_b32 s36, 0x7f800001
	s_xor_b32 s13, exec_lo, -1
; %bb.2998:                             ;   in Loop: Header=BB6_394 Depth=4
	s_or_b32 exec_lo, exec_lo, s38
	s_delay_alu instid0(SALU_CYCLE_1)
	s_and_b32 s13, s13, exec_lo
                                        ; implicit-def: $vgpr88
	s_or_saveexec_b32 s37, s37
	v_mov_b32_e32 v79, s36
	s_xor_b32 exec_lo, exec_lo, s37
	s_cbranch_execz .LBB6_1746
.LBB6_2999:                             ;   in Loop: Header=BB6_394 Depth=4
	v_cmp_ne_u16_e32 vcc_lo, 0, v88
	v_mov_b32_e32 v79, 0
	s_and_not1_b32 s13, s13, exec_lo
	s_and_b32 vcc_lo, vcc_lo, exec_lo
	s_delay_alu instid0(SALU_CYCLE_1)
	s_or_b32 s13, s13, vcc_lo
	s_or_b32 exec_lo, exec_lo, s37
	s_and_saveexec_b32 s36, s13
	s_cbranch_execnz .LBB6_1747
	s_branch .LBB6_1748
.LBB6_3000:                             ;   in Loop: Header=BB6_394 Depth=4
	s_mov_b32 s36, -1
	s_mov_b32 s38, exec_lo
                                        ; implicit-def: $sgpr37
	v_cmpx_eq_u16_e32 0x80, v88
; %bb.3001:                             ;   in Loop: Header=BB6_394 Depth=4
	s_mov_b32 s37, 0x7f800001
	s_xor_b32 s36, exec_lo, -1
; %bb.3002:                             ;   in Loop: Header=BB6_394 Depth=4
	s_or_b32 exec_lo, exec_lo, s38
	s_delay_alu instid0(SALU_CYCLE_1)
	s_and_b32 s36, s36, exec_lo
	s_or_saveexec_b32 s13, s13
	v_mov_b32_e32 v89, s37
	s_xor_b32 exec_lo, exec_lo, s13
	s_cbranch_execz .LBB6_1760
.LBB6_3003:                             ;   in Loop: Header=BB6_394 Depth=4
	v_cmp_ne_u16_e32 vcc_lo, 0, v88
	v_mov_b32_e32 v89, 0
	s_and_not1_b32 s36, s36, exec_lo
	s_and_b32 vcc_lo, vcc_lo, exec_lo
	s_delay_alu instid0(SALU_CYCLE_1)
	s_or_b32 s36, s36, vcc_lo
	s_or_b32 exec_lo, exec_lo, s13
	s_and_saveexec_b32 s13, s36
	s_cbranch_execnz .LBB6_1761
	s_branch .LBB6_1762
.LBB6_3004:                             ;   in Loop: Header=BB6_394 Depth=4
	s_mov_b32 s13, -1
	s_mov_b32 s38, exec_lo
                                        ; implicit-def: $sgpr36
	v_cmpx_eq_u16_e32 0x80, v79
; %bb.3005:                             ;   in Loop: Header=BB6_394 Depth=4
	s_mov_b32 s36, 0x7f800001
	s_xor_b32 s13, exec_lo, -1
; %bb.3006:                             ;   in Loop: Header=BB6_394 Depth=4
	s_or_b32 exec_lo, exec_lo, s38
	s_delay_alu instid0(SALU_CYCLE_1)
	s_and_b32 s13, s13, exec_lo
	s_or_saveexec_b32 s37, s37
	v_mov_b32_e32 v90, s36
	s_xor_b32 exec_lo, exec_lo, s37
	s_cbranch_execz .LBB6_1764
.LBB6_3007:                             ;   in Loop: Header=BB6_394 Depth=4
	v_cmp_ne_u16_e32 vcc_lo, 0, v79
	v_mov_b32_e32 v90, 0
	s_and_not1_b32 s13, s13, exec_lo
	s_and_b32 vcc_lo, vcc_lo, exec_lo
	s_delay_alu instid0(SALU_CYCLE_1)
	s_or_b32 s13, s13, vcc_lo
	s_or_b32 exec_lo, exec_lo, s37
	s_and_saveexec_b32 s36, s13
	s_cbranch_execnz .LBB6_1765
	s_branch .LBB6_1766
.LBB6_3008:                             ;   in Loop: Header=BB6_394 Depth=4
	s_mov_b32 s13, -1
	s_mov_b32 s38, exec_lo
                                        ; implicit-def: $sgpr36
	v_cmpx_eq_u16_e32 0x80, v88
; %bb.3009:                             ;   in Loop: Header=BB6_394 Depth=4
	s_mov_b32 s36, 0x7f800001
	s_xor_b32 s13, exec_lo, -1
; %bb.3010:                             ;   in Loop: Header=BB6_394 Depth=4
	s_or_b32 exec_lo, exec_lo, s38
	s_delay_alu instid0(SALU_CYCLE_1)
	s_and_b32 s13, s13, exec_lo
	s_or_saveexec_b32 s37, s37
	v_mov_b32_e32 v89, s36
	s_xor_b32 exec_lo, exec_lo, s37
	s_cbranch_execz .LBB6_1771
.LBB6_3011:                             ;   in Loop: Header=BB6_394 Depth=4
	v_cmp_ne_u16_e32 vcc_lo, 0, v88
	v_mov_b32_e32 v89, 0
	s_and_not1_b32 s13, s13, exec_lo
	s_and_b32 vcc_lo, vcc_lo, exec_lo
	s_delay_alu instid0(SALU_CYCLE_1)
	s_or_b32 s13, s13, vcc_lo
	s_or_b32 exec_lo, exec_lo, s37
	s_and_saveexec_b32 s36, s13
	s_cbranch_execnz .LBB6_1772
	s_branch .LBB6_1773
.LBB6_3012:                             ;   in Loop: Header=BB6_394 Depth=4
	s_mov_b32 s13, -1
	s_mov_b32 s38, exec_lo
                                        ; implicit-def: $sgpr36
	v_cmpx_eq_u16_e32 0x80, v79
; %bb.3013:                             ;   in Loop: Header=BB6_394 Depth=4
	s_mov_b32 s36, 0x7f800001
	s_xor_b32 s13, exec_lo, -1
; %bb.3014:                             ;   in Loop: Header=BB6_394 Depth=4
	s_or_b32 exec_lo, exec_lo, s38
	s_delay_alu instid0(SALU_CYCLE_1)
	s_and_b32 s13, s13, exec_lo
	s_or_saveexec_b32 s37, s37
	v_mov_b32_e32 v23, s36
	s_xor_b32 exec_lo, exec_lo, s37
	s_cbranch_execz .LBB6_1775
.LBB6_3015:                             ;   in Loop: Header=BB6_394 Depth=4
	v_cmp_ne_u16_e32 vcc_lo, 0, v79
	v_mov_b32_e32 v23, 0
	s_and_not1_b32 s13, s13, exec_lo
	s_and_b32 vcc_lo, vcc_lo, exec_lo
	s_delay_alu instid0(SALU_CYCLE_1)
	s_or_b32 s13, s13, vcc_lo
	s_or_b32 exec_lo, exec_lo, s37
	s_and_saveexec_b32 s36, s13
	s_cbranch_execnz .LBB6_1776
	s_branch .LBB6_1777
.LBB6_3016:                             ;   in Loop: Header=BB6_394 Depth=4
	s_mov_b32 s36, -1
	s_mov_b32 s38, exec_lo
                                        ; implicit-def: $sgpr37
	v_cmpx_eq_u16_e32 0x80, v23
; %bb.3017:                             ;   in Loop: Header=BB6_394 Depth=4
	s_mov_b32 s37, 0x7f800001
	s_xor_b32 s36, exec_lo, -1
; %bb.3018:                             ;   in Loop: Header=BB6_394 Depth=4
	s_or_b32 exec_lo, exec_lo, s38
	s_delay_alu instid0(SALU_CYCLE_1)
	s_and_b32 s36, s36, exec_lo
	s_or_saveexec_b32 s13, s13
	v_mov_b32_e32 v79, s37
	s_xor_b32 exec_lo, exec_lo, s13
	s_cbranch_execz .LBB6_1789
.LBB6_3019:                             ;   in Loop: Header=BB6_394 Depth=4
	v_cmp_ne_u16_e32 vcc_lo, 0, v23
	v_mov_b32_e32 v79, 0
	s_and_not1_b32 s36, s36, exec_lo
	s_and_b32 vcc_lo, vcc_lo, exec_lo
	s_delay_alu instid0(SALU_CYCLE_1)
	s_or_b32 s36, s36, vcc_lo
	s_or_b32 exec_lo, exec_lo, s13
	s_and_saveexec_b32 s13, s36
	s_cbranch_execnz .LBB6_1790
	s_branch .LBB6_1791
.LBB6_3020:                             ;   in Loop: Header=BB6_394 Depth=4
	s_mov_b32 s13, -1
	s_mov_b32 s38, exec_lo
                                        ; implicit-def: $sgpr36
	v_cmpx_eq_u16_e32 0x80, v89
; %bb.3021:                             ;   in Loop: Header=BB6_394 Depth=4
	s_mov_b32 s36, 0x7f800001
	s_xor_b32 s13, exec_lo, -1
; %bb.3022:                             ;   in Loop: Header=BB6_394 Depth=4
	s_or_b32 exec_lo, exec_lo, s38
	s_delay_alu instid0(SALU_CYCLE_1)
	s_and_b32 s13, s13, exec_lo
                                        ; implicit-def: $vgpr89
	s_or_saveexec_b32 s37, s37
	v_mov_b32_e32 v88, s36
	s_xor_b32 exec_lo, exec_lo, s37
	s_cbranch_execz .LBB6_1793
.LBB6_3023:                             ;   in Loop: Header=BB6_394 Depth=4
	v_cmp_ne_u16_e32 vcc_lo, 0, v89
	v_mov_b32_e32 v88, 0
	s_and_not1_b32 s13, s13, exec_lo
	s_and_b32 vcc_lo, vcc_lo, exec_lo
	s_delay_alu instid0(SALU_CYCLE_1)
	s_or_b32 s13, s13, vcc_lo
	s_or_b32 exec_lo, exec_lo, s37
	s_and_saveexec_b32 s36, s13
	s_cbranch_execnz .LBB6_1794
	s_branch .LBB6_1795
.LBB6_3024:                             ;   in Loop: Header=BB6_394 Depth=4
	s_mov_b32 s13, -1
	s_mov_b32 s38, exec_lo
                                        ; implicit-def: $sgpr36
	v_cmpx_eq_u16_e32 0x80, v23
; %bb.3025:                             ;   in Loop: Header=BB6_394 Depth=4
	s_mov_b32 s36, 0x7f800001
	s_xor_b32 s13, exec_lo, -1
; %bb.3026:                             ;   in Loop: Header=BB6_394 Depth=4
	s_or_b32 exec_lo, exec_lo, s38
	s_delay_alu instid0(SALU_CYCLE_1)
	s_and_b32 s13, s13, exec_lo
                                        ; implicit-def: $vgpr23
	s_or_saveexec_b32 s37, s37
	v_mov_b32_e32 v79, s36
	s_xor_b32 exec_lo, exec_lo, s37
	s_cbranch_execz .LBB6_1800
.LBB6_3027:                             ;   in Loop: Header=BB6_394 Depth=4
	v_cmp_ne_u16_e32 vcc_lo, 0, v23
	v_mov_b32_e32 v79, 0
	s_and_not1_b32 s13, s13, exec_lo
	s_and_b32 vcc_lo, vcc_lo, exec_lo
	s_delay_alu instid0(SALU_CYCLE_1)
	s_or_b32 s13, s13, vcc_lo
	s_or_b32 exec_lo, exec_lo, s37
	s_and_saveexec_b32 s36, s13
	s_cbranch_execnz .LBB6_1801
	s_branch .LBB6_1802
.LBB6_3028:                             ;   in Loop: Header=BB6_394 Depth=4
	s_mov_b32 s13, -1
	s_mov_b32 s38, exec_lo
                                        ; implicit-def: $sgpr36
	v_cmpx_eq_u16_e32 0x80, v88
; %bb.3029:                             ;   in Loop: Header=BB6_394 Depth=4
	s_mov_b32 s36, 0x7f800001
	s_xor_b32 s13, exec_lo, -1
; %bb.3030:                             ;   in Loop: Header=BB6_394 Depth=4
	s_or_b32 exec_lo, exec_lo, s38
	s_delay_alu instid0(SALU_CYCLE_1)
	s_and_b32 s13, s13, exec_lo
                                        ; implicit-def: $vgpr88
	s_or_saveexec_b32 s37, s37
	v_mov_b32_e32 v23, s36
	s_xor_b32 exec_lo, exec_lo, s37
	s_cbranch_execz .LBB6_1804
.LBB6_3031:                             ;   in Loop: Header=BB6_394 Depth=4
	v_cmp_ne_u16_e32 vcc_lo, 0, v88
	v_mov_b32_e32 v23, 0
	s_and_not1_b32 s13, s13, exec_lo
	s_and_b32 vcc_lo, vcc_lo, exec_lo
	s_delay_alu instid0(SALU_CYCLE_1)
	s_or_b32 s13, s13, vcc_lo
	s_or_b32 exec_lo, exec_lo, s37
	s_and_saveexec_b32 s36, s13
	s_cbranch_execnz .LBB6_1805
	s_branch .LBB6_1806
.LBB6_3032:                             ;   in Loop: Header=BB6_394 Depth=4
	s_mov_b32 s36, -1
	s_mov_b32 s38, exec_lo
                                        ; implicit-def: $sgpr37
	v_cmpx_eq_u16_e32 0x80, v88
; %bb.3033:                             ;   in Loop: Header=BB6_394 Depth=4
	s_mov_b32 s37, 0x7f800001
	s_xor_b32 s36, exec_lo, -1
; %bb.3034:                             ;   in Loop: Header=BB6_394 Depth=4
	s_or_b32 exec_lo, exec_lo, s38
	s_delay_alu instid0(SALU_CYCLE_1)
	s_and_b32 s36, s36, exec_lo
	s_or_saveexec_b32 s13, s13
	v_mov_b32_e32 v89, s37
	s_xor_b32 exec_lo, exec_lo, s13
	s_cbranch_execz .LBB6_1818
.LBB6_3035:                             ;   in Loop: Header=BB6_394 Depth=4
	v_cmp_ne_u16_e32 vcc_lo, 0, v88
	v_mov_b32_e32 v89, 0
	s_and_not1_b32 s36, s36, exec_lo
	s_and_b32 vcc_lo, vcc_lo, exec_lo
	s_delay_alu instid0(SALU_CYCLE_1)
	s_or_b32 s36, s36, vcc_lo
	s_or_b32 exec_lo, exec_lo, s13
	s_and_saveexec_b32 s13, s36
	s_cbranch_execnz .LBB6_1819
	s_branch .LBB6_1820
.LBB6_3036:                             ;   in Loop: Header=BB6_394 Depth=4
	s_mov_b32 s13, -1
	s_mov_b32 s38, exec_lo
                                        ; implicit-def: $sgpr36
	v_cmpx_eq_u16_e32 0x80, v79
; %bb.3037:                             ;   in Loop: Header=BB6_394 Depth=4
	s_mov_b32 s36, 0x7f800001
	s_xor_b32 s13, exec_lo, -1
; %bb.3038:                             ;   in Loop: Header=BB6_394 Depth=4
	s_or_b32 exec_lo, exec_lo, s38
	s_delay_alu instid0(SALU_CYCLE_1)
	s_and_b32 s13, s13, exec_lo
	s_or_saveexec_b32 s37, s37
	v_mov_b32_e32 v90, s36
	s_xor_b32 exec_lo, exec_lo, s37
	s_cbranch_execz .LBB6_1822
.LBB6_3039:                             ;   in Loop: Header=BB6_394 Depth=4
	v_cmp_ne_u16_e32 vcc_lo, 0, v79
	v_mov_b32_e32 v90, 0
	s_and_not1_b32 s13, s13, exec_lo
	s_and_b32 vcc_lo, vcc_lo, exec_lo
	s_delay_alu instid0(SALU_CYCLE_1)
	s_or_b32 s13, s13, vcc_lo
	s_or_b32 exec_lo, exec_lo, s37
	s_and_saveexec_b32 s36, s13
	s_cbranch_execnz .LBB6_1823
	s_branch .LBB6_1824
.LBB6_3040:                             ;   in Loop: Header=BB6_394 Depth=4
	s_mov_b32 s13, -1
	s_mov_b32 s38, exec_lo
                                        ; implicit-def: $sgpr36
	v_cmpx_eq_u16_e32 0x80, v88
; %bb.3041:                             ;   in Loop: Header=BB6_394 Depth=4
	s_mov_b32 s36, 0x7f800001
	s_xor_b32 s13, exec_lo, -1
; %bb.3042:                             ;   in Loop: Header=BB6_394 Depth=4
	s_or_b32 exec_lo, exec_lo, s38
	s_delay_alu instid0(SALU_CYCLE_1)
	s_and_b32 s13, s13, exec_lo
	s_or_saveexec_b32 s37, s37
	v_mov_b32_e32 v89, s36
	s_xor_b32 exec_lo, exec_lo, s37
	s_cbranch_execz .LBB6_1829
.LBB6_3043:                             ;   in Loop: Header=BB6_394 Depth=4
	v_cmp_ne_u16_e32 vcc_lo, 0, v88
	v_mov_b32_e32 v89, 0
	s_and_not1_b32 s13, s13, exec_lo
	s_and_b32 vcc_lo, vcc_lo, exec_lo
	s_delay_alu instid0(SALU_CYCLE_1)
	s_or_b32 s13, s13, vcc_lo
	s_or_b32 exec_lo, exec_lo, s37
	s_and_saveexec_b32 s36, s13
	s_cbranch_execnz .LBB6_1830
	s_branch .LBB6_1831
.LBB6_3044:                             ;   in Loop: Header=BB6_394 Depth=4
	s_mov_b32 s13, -1
	s_mov_b32 s38, exec_lo
                                        ; implicit-def: $sgpr36
	v_cmpx_eq_u16_e32 0x80, v79
; %bb.3045:                             ;   in Loop: Header=BB6_394 Depth=4
	s_mov_b32 s36, 0x7f800001
	s_xor_b32 s13, exec_lo, -1
; %bb.3046:                             ;   in Loop: Header=BB6_394 Depth=4
	s_or_b32 exec_lo, exec_lo, s38
	s_delay_alu instid0(SALU_CYCLE_1)
	s_and_b32 s13, s13, exec_lo
	s_or_saveexec_b32 s37, s37
	v_mov_b32_e32 v88, s36
	s_xor_b32 exec_lo, exec_lo, s37
	s_cbranch_execz .LBB6_1833
.LBB6_3047:                             ;   in Loop: Header=BB6_394 Depth=4
	v_cmp_ne_u16_e32 vcc_lo, 0, v79
	v_mov_b32_e32 v88, 0
	s_and_not1_b32 s13, s13, exec_lo
	s_and_b32 vcc_lo, vcc_lo, exec_lo
	s_delay_alu instid0(SALU_CYCLE_1)
	s_or_b32 s13, s13, vcc_lo
	s_or_b32 exec_lo, exec_lo, s37
	s_and_saveexec_b32 s36, s13
	s_cbranch_execnz .LBB6_1834
	s_branch .LBB6_1835
.LBB6_3048:                             ;   in Loop: Header=BB6_394 Depth=4
	s_mov_b32 s36, -1
	s_mov_b32 s38, exec_lo
                                        ; implicit-def: $sgpr37
	v_cmpx_eq_u16_e32 0x80, v90
; %bb.3049:                             ;   in Loop: Header=BB6_394 Depth=4
	s_mov_b32 s37, 0x7f800001
	s_xor_b32 s36, exec_lo, -1
; %bb.3050:                             ;   in Loop: Header=BB6_394 Depth=4
	s_or_b32 exec_lo, exec_lo, s38
	s_delay_alu instid0(SALU_CYCLE_1)
	s_and_b32 s36, s36, exec_lo
	s_or_saveexec_b32 s13, s13
	v_mov_b32_e32 v91, s37
	s_xor_b32 exec_lo, exec_lo, s13
	s_cbranch_execz .LBB6_1847
.LBB6_3051:                             ;   in Loop: Header=BB6_394 Depth=4
	v_cmp_ne_u16_e32 vcc_lo, 0, v90
	v_mov_b32_e32 v91, 0
	s_and_not1_b32 s36, s36, exec_lo
	s_and_b32 vcc_lo, vcc_lo, exec_lo
	s_delay_alu instid0(SALU_CYCLE_1)
	s_or_b32 s36, s36, vcc_lo
	s_or_b32 exec_lo, exec_lo, s13
	s_and_saveexec_b32 s13, s36
	s_cbranch_execnz .LBB6_1848
	s_branch .LBB6_1849
.LBB6_3052:                             ;   in Loop: Header=BB6_394 Depth=4
	s_mov_b32 s13, -1
	s_mov_b32 s38, exec_lo
                                        ; implicit-def: $sgpr36
	v_cmpx_eq_u16_e32 0x80, v93
; %bb.3053:                             ;   in Loop: Header=BB6_394 Depth=4
	s_mov_b32 s36, 0x7f800001
	s_xor_b32 s13, exec_lo, -1
; %bb.3054:                             ;   in Loop: Header=BB6_394 Depth=4
	s_or_b32 exec_lo, exec_lo, s38
	s_delay_alu instid0(SALU_CYCLE_1)
	s_and_b32 s13, s13, exec_lo
                                        ; implicit-def: $vgpr93
	s_or_saveexec_b32 s37, s37
	v_mov_b32_e32 v92, s36
	s_xor_b32 exec_lo, exec_lo, s37
	s_cbranch_execz .LBB6_1851
.LBB6_3055:                             ;   in Loop: Header=BB6_394 Depth=4
	v_cmp_ne_u16_e32 vcc_lo, 0, v93
	v_mov_b32_e32 v92, 0
	s_and_not1_b32 s13, s13, exec_lo
	s_and_b32 vcc_lo, vcc_lo, exec_lo
	s_delay_alu instid0(SALU_CYCLE_1)
	s_or_b32 s13, s13, vcc_lo
	s_or_b32 exec_lo, exec_lo, s37
	s_and_saveexec_b32 s36, s13
	s_cbranch_execnz .LBB6_1852
	s_branch .LBB6_1853
.LBB6_3056:                             ;   in Loop: Header=BB6_394 Depth=4
	s_mov_b32 s13, -1
	s_mov_b32 s38, exec_lo
                                        ; implicit-def: $sgpr36
	v_cmpx_eq_u16_e32 0x80, v90
; %bb.3057:                             ;   in Loop: Header=BB6_394 Depth=4
	s_mov_b32 s36, 0x7f800001
	s_xor_b32 s13, exec_lo, -1
; %bb.3058:                             ;   in Loop: Header=BB6_394 Depth=4
	s_or_b32 exec_lo, exec_lo, s38
	s_delay_alu instid0(SALU_CYCLE_1)
	s_and_b32 s13, s13, exec_lo
                                        ; implicit-def: $vgpr90
	s_or_saveexec_b32 s37, s37
	v_mov_b32_e32 v91, s36
	s_xor_b32 exec_lo, exec_lo, s37
	s_cbranch_execz .LBB6_1858
.LBB6_3059:                             ;   in Loop: Header=BB6_394 Depth=4
	v_cmp_ne_u16_e32 vcc_lo, 0, v90
	v_mov_b32_e32 v91, 0
	s_and_not1_b32 s13, s13, exec_lo
	s_and_b32 vcc_lo, vcc_lo, exec_lo
	s_delay_alu instid0(SALU_CYCLE_1)
	s_or_b32 s13, s13, vcc_lo
	s_or_b32 exec_lo, exec_lo, s37
	s_and_saveexec_b32 s36, s13
	s_cbranch_execnz .LBB6_1859
	s_branch .LBB6_1860
.LBB6_3060:                             ;   in Loop: Header=BB6_394 Depth=4
	s_mov_b32 s13, -1
	s_mov_b32 s38, exec_lo
                                        ; implicit-def: $sgpr36
	v_cmpx_eq_u16_e32 0x80, v90
; %bb.3061:                             ;   in Loop: Header=BB6_394 Depth=4
	s_mov_b32 s36, 0x7f800001
	s_xor_b32 s13, exec_lo, -1
; %bb.3062:                             ;   in Loop: Header=BB6_394 Depth=4
	s_or_b32 exec_lo, exec_lo, s38
	s_delay_alu instid0(SALU_CYCLE_1)
	s_and_b32 s13, s13, exec_lo
                                        ; implicit-def: $vgpr90
	s_or_saveexec_b32 s37, s37
	v_mov_b32_e32 v89, s36
	s_xor_b32 exec_lo, exec_lo, s37
	s_cbranch_execz .LBB6_1862
.LBB6_3063:                             ;   in Loop: Header=BB6_394 Depth=4
	v_cmp_ne_u16_e32 vcc_lo, 0, v90
	v_mov_b32_e32 v89, 0
	s_and_not1_b32 s13, s13, exec_lo
	s_and_b32 vcc_lo, vcc_lo, exec_lo
	s_delay_alu instid0(SALU_CYCLE_1)
	s_or_b32 s13, s13, vcc_lo
	s_or_b32 exec_lo, exec_lo, s37
	s_and_saveexec_b32 s36, s13
	s_cbranch_execnz .LBB6_1863
	s_branch .LBB6_1864
.LBB6_3064:                             ;   in Loop: Header=BB6_394 Depth=4
	s_mov_b32 s36, -1
	s_mov_b32 s38, exec_lo
                                        ; implicit-def: $sgpr37
	v_cmpx_eq_u16_e32 0x80, v90
; %bb.3065:                             ;   in Loop: Header=BB6_394 Depth=4
	s_mov_b32 s37, 0x7f800001
	s_xor_b32 s36, exec_lo, -1
; %bb.3066:                             ;   in Loop: Header=BB6_394 Depth=4
	s_or_b32 exec_lo, exec_lo, s38
	s_delay_alu instid0(SALU_CYCLE_1)
	s_and_b32 s36, s36, exec_lo
	s_or_saveexec_b32 s13, s13
	v_mov_b32_e32 v91, s37
	s_xor_b32 exec_lo, exec_lo, s13
	s_cbranch_execz .LBB6_1876
.LBB6_3067:                             ;   in Loop: Header=BB6_394 Depth=4
	v_cmp_ne_u16_e32 vcc_lo, 0, v90
	v_mov_b32_e32 v91, 0
	s_and_not1_b32 s36, s36, exec_lo
	s_and_b32 vcc_lo, vcc_lo, exec_lo
	s_delay_alu instid0(SALU_CYCLE_1)
	s_or_b32 s36, s36, vcc_lo
	s_or_b32 exec_lo, exec_lo, s13
	s_and_saveexec_b32 s13, s36
	s_cbranch_execnz .LBB6_1877
	s_branch .LBB6_1878
.LBB6_3068:                             ;   in Loop: Header=BB6_394 Depth=4
	s_mov_b32 s13, -1
	s_mov_b32 s38, exec_lo
                                        ; implicit-def: $sgpr36
	v_cmpx_eq_u16_e32 0x80, v89
; %bb.3069:                             ;   in Loop: Header=BB6_394 Depth=4
	s_mov_b32 s36, 0x7f800001
	s_xor_b32 s13, exec_lo, -1
; %bb.3070:                             ;   in Loop: Header=BB6_394 Depth=4
	s_or_b32 exec_lo, exec_lo, s38
	s_delay_alu instid0(SALU_CYCLE_1)
	s_and_b32 s13, s13, exec_lo
	s_or_saveexec_b32 s37, s37
	v_mov_b32_e32 v92, s36
	s_xor_b32 exec_lo, exec_lo, s37
	s_cbranch_execz .LBB6_1880
.LBB6_3071:                             ;   in Loop: Header=BB6_394 Depth=4
	v_cmp_ne_u16_e32 vcc_lo, 0, v89
	v_mov_b32_e32 v92, 0
	s_and_not1_b32 s13, s13, exec_lo
	s_and_b32 vcc_lo, vcc_lo, exec_lo
	s_delay_alu instid0(SALU_CYCLE_1)
	s_or_b32 s13, s13, vcc_lo
	s_or_b32 exec_lo, exec_lo, s37
	s_and_saveexec_b32 s36, s13
	s_cbranch_execnz .LBB6_1881
	s_branch .LBB6_1882
.LBB6_3072:                             ;   in Loop: Header=BB6_394 Depth=4
	s_mov_b32 s13, -1
	s_mov_b32 s38, exec_lo
                                        ; implicit-def: $sgpr36
	v_cmpx_eq_u16_e32 0x80, v90
; %bb.3073:                             ;   in Loop: Header=BB6_394 Depth=4
	s_mov_b32 s36, 0x7f800001
	s_xor_b32 s13, exec_lo, -1
; %bb.3074:                             ;   in Loop: Header=BB6_394 Depth=4
	s_or_b32 exec_lo, exec_lo, s38
	s_delay_alu instid0(SALU_CYCLE_1)
	s_and_b32 s13, s13, exec_lo
	s_or_saveexec_b32 s37, s37
	v_mov_b32_e32 v91, s36
	s_xor_b32 exec_lo, exec_lo, s37
	s_cbranch_execz .LBB6_1887
.LBB6_3075:                             ;   in Loop: Header=BB6_394 Depth=4
	v_cmp_ne_u16_e32 vcc_lo, 0, v90
	v_mov_b32_e32 v91, 0
	s_and_not1_b32 s13, s13, exec_lo
	s_and_b32 vcc_lo, vcc_lo, exec_lo
	s_delay_alu instid0(SALU_CYCLE_1)
	s_or_b32 s13, s13, vcc_lo
	s_or_b32 exec_lo, exec_lo, s37
	s_and_saveexec_b32 s36, s13
	s_cbranch_execnz .LBB6_1888
	s_branch .LBB6_1889
.LBB6_3076:                             ;   in Loop: Header=BB6_394 Depth=4
	s_mov_b32 s13, -1
	s_mov_b32 s38, exec_lo
                                        ; implicit-def: $sgpr36
	v_cmpx_eq_u16_e32 0x80, v89
; %bb.3077:                             ;   in Loop: Header=BB6_394 Depth=4
	s_mov_b32 s36, 0x7f800001
	s_xor_b32 s13, exec_lo, -1
; %bb.3078:                             ;   in Loop: Header=BB6_394 Depth=4
	s_or_b32 exec_lo, exec_lo, s38
	s_delay_alu instid0(SALU_CYCLE_1)
	s_and_b32 s13, s13, exec_lo
	s_or_saveexec_b32 s37, s37
	v_mov_b32_e32 v12, s36
	s_xor_b32 exec_lo, exec_lo, s37
	s_cbranch_execz .LBB6_1891
.LBB6_3079:                             ;   in Loop: Header=BB6_394 Depth=4
	v_cmp_ne_u16_e32 vcc_lo, 0, v89
	v_mov_b32_e32 v12, 0
	s_and_not1_b32 s13, s13, exec_lo
	s_and_b32 vcc_lo, vcc_lo, exec_lo
	s_delay_alu instid0(SALU_CYCLE_1)
	s_or_b32 s13, s13, vcc_lo
	s_or_b32 exec_lo, exec_lo, s37
	s_and_saveexec_b32 s36, s13
	s_cbranch_execnz .LBB6_1892
	s_branch .LBB6_1893
.LBB6_3080:                             ;   in Loop: Header=BB6_394 Depth=4
	s_mov_b32 s36, -1
	s_mov_b32 s38, exec_lo
                                        ; implicit-def: $sgpr37
	v_cmpx_eq_u16_e32 0x80, v12
; %bb.3081:                             ;   in Loop: Header=BB6_394 Depth=4
	s_mov_b32 s37, 0x7f800001
	s_xor_b32 s36, exec_lo, -1
; %bb.3082:                             ;   in Loop: Header=BB6_394 Depth=4
	s_or_b32 exec_lo, exec_lo, s38
	s_delay_alu instid0(SALU_CYCLE_1)
	s_and_b32 s36, s36, exec_lo
	s_or_saveexec_b32 s13, s13
	v_mov_b32_e32 v89, s37
	s_xor_b32 exec_lo, exec_lo, s13
	s_cbranch_execz .LBB6_1905
.LBB6_3083:                             ;   in Loop: Header=BB6_394 Depth=4
	v_cmp_ne_u16_e32 vcc_lo, 0, v12
	v_mov_b32_e32 v89, 0
	s_and_not1_b32 s36, s36, exec_lo
	s_and_b32 vcc_lo, vcc_lo, exec_lo
	s_delay_alu instid0(SALU_CYCLE_1)
	s_or_b32 s36, s36, vcc_lo
	s_or_b32 exec_lo, exec_lo, s13
	s_and_saveexec_b32 s13, s36
	s_cbranch_execnz .LBB6_1906
	s_branch .LBB6_1907
.LBB6_3084:                             ;   in Loop: Header=BB6_394 Depth=4
	s_mov_b32 s13, -1
	s_mov_b32 s38, exec_lo
                                        ; implicit-def: $sgpr36
	v_cmpx_eq_u16_e32 0x80, v91
; %bb.3085:                             ;   in Loop: Header=BB6_394 Depth=4
	s_mov_b32 s36, 0x7f800001
	s_xor_b32 s13, exec_lo, -1
; %bb.3086:                             ;   in Loop: Header=BB6_394 Depth=4
	s_or_b32 exec_lo, exec_lo, s38
	s_delay_alu instid0(SALU_CYCLE_1)
	s_and_b32 s13, s13, exec_lo
                                        ; implicit-def: $vgpr91
	s_or_saveexec_b32 s37, s37
	v_mov_b32_e32 v90, s36
	s_xor_b32 exec_lo, exec_lo, s37
	s_cbranch_execz .LBB6_1909
.LBB6_3087:                             ;   in Loop: Header=BB6_394 Depth=4
	v_cmp_ne_u16_e32 vcc_lo, 0, v91
	v_mov_b32_e32 v90, 0
	s_and_not1_b32 s13, s13, exec_lo
	s_and_b32 vcc_lo, vcc_lo, exec_lo
	s_delay_alu instid0(SALU_CYCLE_1)
	s_or_b32 s13, s13, vcc_lo
	s_or_b32 exec_lo, exec_lo, s37
	s_and_saveexec_b32 s36, s13
	s_cbranch_execnz .LBB6_1910
	s_branch .LBB6_1911
.LBB6_3088:                             ;   in Loop: Header=BB6_394 Depth=4
	s_mov_b32 s13, -1
	s_mov_b32 s38, exec_lo
                                        ; implicit-def: $sgpr36
	v_cmpx_eq_u16_e32 0x80, v12
; %bb.3089:                             ;   in Loop: Header=BB6_394 Depth=4
	s_mov_b32 s36, 0x7f800001
	s_xor_b32 s13, exec_lo, -1
; %bb.3090:                             ;   in Loop: Header=BB6_394 Depth=4
	s_or_b32 exec_lo, exec_lo, s38
	s_delay_alu instid0(SALU_CYCLE_1)
	s_and_b32 s13, s13, exec_lo
                                        ; implicit-def: $vgpr12
	s_or_saveexec_b32 s37, s37
	v_mov_b32_e32 v89, s36
	s_xor_b32 exec_lo, exec_lo, s37
	s_cbranch_execz .LBB6_1916
.LBB6_3091:                             ;   in Loop: Header=BB6_394 Depth=4
	v_cmp_ne_u16_e32 vcc_lo, 0, v12
	v_mov_b32_e32 v89, 0
	s_and_not1_b32 s13, s13, exec_lo
	s_and_b32 vcc_lo, vcc_lo, exec_lo
	s_delay_alu instid0(SALU_CYCLE_1)
	s_or_b32 s13, s13, vcc_lo
	s_or_b32 exec_lo, exec_lo, s37
	s_and_saveexec_b32 s36, s13
	s_cbranch_execnz .LBB6_1917
	s_branch .LBB6_1918
.LBB6_3092:                             ;   in Loop: Header=BB6_394 Depth=4
	s_mov_b32 s13, -1
	s_mov_b32 s38, exec_lo
                                        ; implicit-def: $sgpr36
	v_cmpx_eq_u16_e32 0x80, v90
; %bb.3093:                             ;   in Loop: Header=BB6_394 Depth=4
	s_mov_b32 s36, 0x7f800001
	s_xor_b32 s13, exec_lo, -1
; %bb.3094:                             ;   in Loop: Header=BB6_394 Depth=4
	s_or_b32 exec_lo, exec_lo, s38
	s_delay_alu instid0(SALU_CYCLE_1)
	s_and_b32 s13, s13, exec_lo
                                        ; implicit-def: $vgpr90
	s_or_saveexec_b32 s37, s37
	v_mov_b32_e32 v12, s36
	s_xor_b32 exec_lo, exec_lo, s37
	s_cbranch_execz .LBB6_1920
.LBB6_3095:                             ;   in Loop: Header=BB6_394 Depth=4
	v_cmp_ne_u16_e32 vcc_lo, 0, v90
	v_mov_b32_e32 v12, 0
	s_and_not1_b32 s13, s13, exec_lo
	s_and_b32 vcc_lo, vcc_lo, exec_lo
	s_delay_alu instid0(SALU_CYCLE_1)
	s_or_b32 s13, s13, vcc_lo
	s_or_b32 exec_lo, exec_lo, s37
	s_and_saveexec_b32 s36, s13
	s_cbranch_execnz .LBB6_1921
	s_branch .LBB6_1922
.LBB6_3096:                             ;   in Loop: Header=BB6_394 Depth=4
	s_mov_b32 s36, -1
	s_mov_b32 s38, exec_lo
                                        ; implicit-def: $sgpr37
	v_cmpx_eq_u16_e32 0x80, v90
; %bb.3097:                             ;   in Loop: Header=BB6_394 Depth=4
	s_mov_b32 s37, 0x7f800001
	s_xor_b32 s36, exec_lo, -1
; %bb.3098:                             ;   in Loop: Header=BB6_394 Depth=4
	s_or_b32 exec_lo, exec_lo, s38
	s_delay_alu instid0(SALU_CYCLE_1)
	s_and_b32 s36, s36, exec_lo
	s_or_saveexec_b32 s13, s13
	v_mov_b32_e32 v91, s37
	s_xor_b32 exec_lo, exec_lo, s13
	s_cbranch_execz .LBB6_1934
.LBB6_3099:                             ;   in Loop: Header=BB6_394 Depth=4
	v_cmp_ne_u16_e32 vcc_lo, 0, v90
	v_mov_b32_e32 v91, 0
	s_and_not1_b32 s36, s36, exec_lo
	s_and_b32 vcc_lo, vcc_lo, exec_lo
	s_delay_alu instid0(SALU_CYCLE_1)
	s_or_b32 s36, s36, vcc_lo
	s_or_b32 exec_lo, exec_lo, s13
	s_and_saveexec_b32 s13, s36
	s_cbranch_execnz .LBB6_1935
	s_branch .LBB6_1936
.LBB6_3100:                             ;   in Loop: Header=BB6_394 Depth=4
	s_mov_b32 s13, -1
	s_mov_b32 s38, exec_lo
                                        ; implicit-def: $sgpr36
	v_cmpx_eq_u16_e32 0x80, v89
; %bb.3101:                             ;   in Loop: Header=BB6_394 Depth=4
	s_mov_b32 s36, 0x7f800001
	s_xor_b32 s13, exec_lo, -1
; %bb.3102:                             ;   in Loop: Header=BB6_394 Depth=4
	s_or_b32 exec_lo, exec_lo, s38
	s_delay_alu instid0(SALU_CYCLE_1)
	s_and_b32 s13, s13, exec_lo
	s_or_saveexec_b32 s37, s37
	v_mov_b32_e32 v92, s36
	s_xor_b32 exec_lo, exec_lo, s37
	s_cbranch_execz .LBB6_1938
.LBB6_3103:                             ;   in Loop: Header=BB6_394 Depth=4
	v_cmp_ne_u16_e32 vcc_lo, 0, v89
	v_mov_b32_e32 v92, 0
	s_and_not1_b32 s13, s13, exec_lo
	s_and_b32 vcc_lo, vcc_lo, exec_lo
	s_delay_alu instid0(SALU_CYCLE_1)
	s_or_b32 s13, s13, vcc_lo
	s_or_b32 exec_lo, exec_lo, s37
	s_and_saveexec_b32 s36, s13
	s_cbranch_execnz .LBB6_1939
	s_branch .LBB6_1940
.LBB6_3104:                             ;   in Loop: Header=BB6_394 Depth=4
	s_mov_b32 s13, -1
	s_mov_b32 s38, exec_lo
                                        ; implicit-def: $sgpr36
	v_cmpx_eq_u16_e32 0x80, v90
; %bb.3105:                             ;   in Loop: Header=BB6_394 Depth=4
	s_mov_b32 s36, 0x7f800001
	s_xor_b32 s13, exec_lo, -1
; %bb.3106:                             ;   in Loop: Header=BB6_394 Depth=4
	s_or_b32 exec_lo, exec_lo, s38
	s_delay_alu instid0(SALU_CYCLE_1)
	s_and_b32 s13, s13, exec_lo
	s_or_saveexec_b32 s37, s37
	v_mov_b32_e32 v91, s36
	s_xor_b32 exec_lo, exec_lo, s37
	s_cbranch_execz .LBB6_1945
.LBB6_3107:                             ;   in Loop: Header=BB6_394 Depth=4
	v_cmp_ne_u16_e32 vcc_lo, 0, v90
	v_mov_b32_e32 v91, 0
	s_and_not1_b32 s13, s13, exec_lo
	s_and_b32 vcc_lo, vcc_lo, exec_lo
	s_delay_alu instid0(SALU_CYCLE_1)
	s_or_b32 s13, s13, vcc_lo
	s_or_b32 exec_lo, exec_lo, s37
	s_and_saveexec_b32 s36, s13
	s_cbranch_execnz .LBB6_1946
	s_branch .LBB6_1947
.LBB6_3108:                             ;   in Loop: Header=BB6_394 Depth=4
	s_mov_b32 s13, -1
	s_mov_b32 s38, exec_lo
                                        ; implicit-def: $sgpr36
	v_cmpx_eq_u16_e32 0x80, v89
; %bb.3109:                             ;   in Loop: Header=BB6_394 Depth=4
	s_mov_b32 s36, 0x7f800001
	s_xor_b32 s13, exec_lo, -1
; %bb.3110:                             ;   in Loop: Header=BB6_394 Depth=4
	s_or_b32 exec_lo, exec_lo, s38
	s_delay_alu instid0(SALU_CYCLE_1)
	s_and_b32 s13, s13, exec_lo
	s_or_saveexec_b32 s37, s37
	v_mov_b32_e32 v90, s36
	s_xor_b32 exec_lo, exec_lo, s37
	s_cbranch_execz .LBB6_1949
.LBB6_3111:                             ;   in Loop: Header=BB6_394 Depth=4
	v_cmp_ne_u16_e32 vcc_lo, 0, v89
	v_mov_b32_e32 v90, 0
	s_and_not1_b32 s13, s13, exec_lo
	s_and_b32 vcc_lo, vcc_lo, exec_lo
	s_delay_alu instid0(SALU_CYCLE_1)
	s_or_b32 s13, s13, vcc_lo
	s_or_b32 exec_lo, exec_lo, s37
	s_and_saveexec_b32 s36, s13
	s_cbranch_execnz .LBB6_1950
	s_branch .LBB6_1951
.LBB6_3112:                             ;   in Loop: Header=BB6_394 Depth=4
	s_mov_b32 s36, -1
	s_mov_b32 s38, exec_lo
                                        ; implicit-def: $sgpr37
	v_cmpx_eq_u16_e32 0x80, v92
; %bb.3113:                             ;   in Loop: Header=BB6_394 Depth=4
	s_mov_b32 s37, 0x7f800001
	s_xor_b32 s36, exec_lo, -1
; %bb.3114:                             ;   in Loop: Header=BB6_394 Depth=4
	s_or_b32 exec_lo, exec_lo, s38
	s_delay_alu instid0(SALU_CYCLE_1)
	s_and_b32 s36, s36, exec_lo
	s_or_saveexec_b32 s13, s13
	v_mov_b32_e32 v93, s37
	s_xor_b32 exec_lo, exec_lo, s13
	s_cbranch_execz .LBB6_1963
.LBB6_3115:                             ;   in Loop: Header=BB6_394 Depth=4
	v_cmp_ne_u16_e32 vcc_lo, 0, v92
	v_mov_b32_e32 v93, 0
	s_and_not1_b32 s36, s36, exec_lo
	s_and_b32 vcc_lo, vcc_lo, exec_lo
	s_delay_alu instid0(SALU_CYCLE_1)
	s_or_b32 s36, s36, vcc_lo
	s_or_b32 exec_lo, exec_lo, s13
	s_and_saveexec_b32 s13, s36
	s_cbranch_execnz .LBB6_1964
	s_branch .LBB6_1965
.LBB6_3116:                             ;   in Loop: Header=BB6_394 Depth=4
	s_mov_b32 s13, -1
	s_mov_b32 s38, exec_lo
                                        ; implicit-def: $sgpr36
	v_cmpx_eq_u16_e32 0x80, v95
; %bb.3117:                             ;   in Loop: Header=BB6_394 Depth=4
	s_mov_b32 s36, 0x7f800001
	s_xor_b32 s13, exec_lo, -1
; %bb.3118:                             ;   in Loop: Header=BB6_394 Depth=4
	s_or_b32 exec_lo, exec_lo, s38
	s_delay_alu instid0(SALU_CYCLE_1)
	s_and_b32 s13, s13, exec_lo
                                        ; implicit-def: $vgpr95
	s_or_saveexec_b32 s37, s37
	v_mov_b32_e32 v94, s36
	s_xor_b32 exec_lo, exec_lo, s37
	s_cbranch_execz .LBB6_1967
.LBB6_3119:                             ;   in Loop: Header=BB6_394 Depth=4
	v_cmp_ne_u16_e32 vcc_lo, 0, v95
	v_mov_b32_e32 v94, 0
	s_and_not1_b32 s13, s13, exec_lo
	s_and_b32 vcc_lo, vcc_lo, exec_lo
	s_delay_alu instid0(SALU_CYCLE_1)
	s_or_b32 s13, s13, vcc_lo
	s_or_b32 exec_lo, exec_lo, s37
	s_and_saveexec_b32 s36, s13
	s_cbranch_execnz .LBB6_1968
	s_branch .LBB6_1969
.LBB6_3120:                             ;   in Loop: Header=BB6_394 Depth=4
	s_mov_b32 s13, -1
	s_mov_b32 s38, exec_lo
                                        ; implicit-def: $sgpr36
	v_cmpx_eq_u16_e32 0x80, v92
; %bb.3121:                             ;   in Loop: Header=BB6_394 Depth=4
	s_mov_b32 s36, 0x7f800001
	s_xor_b32 s13, exec_lo, -1
; %bb.3122:                             ;   in Loop: Header=BB6_394 Depth=4
	s_or_b32 exec_lo, exec_lo, s38
	s_delay_alu instid0(SALU_CYCLE_1)
	s_and_b32 s13, s13, exec_lo
                                        ; implicit-def: $vgpr92
	s_or_saveexec_b32 s37, s37
	v_mov_b32_e32 v93, s36
	s_xor_b32 exec_lo, exec_lo, s37
	s_cbranch_execz .LBB6_1974
.LBB6_3123:                             ;   in Loop: Header=BB6_394 Depth=4
	v_cmp_ne_u16_e32 vcc_lo, 0, v92
	v_mov_b32_e32 v93, 0
	s_and_not1_b32 s13, s13, exec_lo
	s_and_b32 vcc_lo, vcc_lo, exec_lo
	s_delay_alu instid0(SALU_CYCLE_1)
	s_or_b32 s13, s13, vcc_lo
	s_or_b32 exec_lo, exec_lo, s37
	s_and_saveexec_b32 s36, s13
	s_cbranch_execnz .LBB6_1975
	s_branch .LBB6_1976
.LBB6_3124:                             ;   in Loop: Header=BB6_394 Depth=4
	s_mov_b32 s13, -1
	s_mov_b32 s38, exec_lo
                                        ; implicit-def: $sgpr36
	v_cmpx_eq_u16_e32 0x80, v92
; %bb.3125:                             ;   in Loop: Header=BB6_394 Depth=4
	s_mov_b32 s36, 0x7f800001
	s_xor_b32 s13, exec_lo, -1
; %bb.3126:                             ;   in Loop: Header=BB6_394 Depth=4
	s_or_b32 exec_lo, exec_lo, s38
	s_delay_alu instid0(SALU_CYCLE_1)
	s_and_b32 s13, s13, exec_lo
                                        ; implicit-def: $vgpr92
	s_or_saveexec_b32 s37, s37
	v_mov_b32_e32 v91, s36
	s_xor_b32 exec_lo, exec_lo, s37
	s_cbranch_execz .LBB6_1978
.LBB6_3127:                             ;   in Loop: Header=BB6_394 Depth=4
	v_cmp_ne_u16_e32 vcc_lo, 0, v92
	v_mov_b32_e32 v91, 0
	s_and_not1_b32 s13, s13, exec_lo
	s_and_b32 vcc_lo, vcc_lo, exec_lo
	s_delay_alu instid0(SALU_CYCLE_1)
	s_or_b32 s13, s13, vcc_lo
	s_or_b32 exec_lo, exec_lo, s37
	s_and_saveexec_b32 s36, s13
	s_cbranch_execnz .LBB6_1979
	s_branch .LBB6_1980
.LBB6_3128:                             ;   in Loop: Header=BB6_394 Depth=4
	s_mov_b32 s36, -1
	s_mov_b32 s38, exec_lo
                                        ; implicit-def: $sgpr37
	v_cmpx_eq_u16_e32 0x80, v92
; %bb.3129:                             ;   in Loop: Header=BB6_394 Depth=4
	s_mov_b32 s37, 0x7f800001
	s_xor_b32 s36, exec_lo, -1
; %bb.3130:                             ;   in Loop: Header=BB6_394 Depth=4
	s_or_b32 exec_lo, exec_lo, s38
	s_delay_alu instid0(SALU_CYCLE_1)
	s_and_b32 s36, s36, exec_lo
	s_or_saveexec_b32 s13, s13
	v_mov_b32_e32 v93, s37
	s_xor_b32 exec_lo, exec_lo, s13
	s_cbranch_execz .LBB6_1992
.LBB6_3131:                             ;   in Loop: Header=BB6_394 Depth=4
	v_cmp_ne_u16_e32 vcc_lo, 0, v92
	v_mov_b32_e32 v93, 0
	s_and_not1_b32 s36, s36, exec_lo
	s_and_b32 vcc_lo, vcc_lo, exec_lo
	s_delay_alu instid0(SALU_CYCLE_1)
	s_or_b32 s36, s36, vcc_lo
	s_or_b32 exec_lo, exec_lo, s13
	s_and_saveexec_b32 s13, s36
	s_cbranch_execnz .LBB6_1993
	s_branch .LBB6_1994
.LBB6_3132:                             ;   in Loop: Header=BB6_394 Depth=4
	s_mov_b32 s13, -1
	s_mov_b32 s38, exec_lo
                                        ; implicit-def: $sgpr36
	v_cmpx_eq_u16_e32 0x80, v91
; %bb.3133:                             ;   in Loop: Header=BB6_394 Depth=4
	s_mov_b32 s36, 0x7f800001
	s_xor_b32 s13, exec_lo, -1
; %bb.3134:                             ;   in Loop: Header=BB6_394 Depth=4
	s_or_b32 exec_lo, exec_lo, s38
	s_delay_alu instid0(SALU_CYCLE_1)
	s_and_b32 s13, s13, exec_lo
	s_or_saveexec_b32 s37, s37
	v_mov_b32_e32 v94, s36
	s_xor_b32 exec_lo, exec_lo, s37
	s_cbranch_execz .LBB6_1996
.LBB6_3135:                             ;   in Loop: Header=BB6_394 Depth=4
	v_cmp_ne_u16_e32 vcc_lo, 0, v91
	v_mov_b32_e32 v94, 0
	s_and_not1_b32 s13, s13, exec_lo
	s_and_b32 vcc_lo, vcc_lo, exec_lo
	s_delay_alu instid0(SALU_CYCLE_1)
	s_or_b32 s13, s13, vcc_lo
	s_or_b32 exec_lo, exec_lo, s37
	s_and_saveexec_b32 s36, s13
	s_cbranch_execnz .LBB6_1997
	s_branch .LBB6_1998
.LBB6_3136:                             ;   in Loop: Header=BB6_394 Depth=4
	s_mov_b32 s13, -1
	s_mov_b32 s38, exec_lo
                                        ; implicit-def: $sgpr36
	v_cmpx_eq_u16_e32 0x80, v92
; %bb.3137:                             ;   in Loop: Header=BB6_394 Depth=4
	s_mov_b32 s36, 0x7f800001
	s_xor_b32 s13, exec_lo, -1
; %bb.3138:                             ;   in Loop: Header=BB6_394 Depth=4
	s_or_b32 exec_lo, exec_lo, s38
	s_delay_alu instid0(SALU_CYCLE_1)
	s_and_b32 s13, s13, exec_lo
	s_or_saveexec_b32 s37, s37
	v_mov_b32_e32 v93, s36
	s_xor_b32 exec_lo, exec_lo, s37
	s_cbranch_execz .LBB6_2003
.LBB6_3139:                             ;   in Loop: Header=BB6_394 Depth=4
	v_cmp_ne_u16_e32 vcc_lo, 0, v92
	v_mov_b32_e32 v93, 0
	s_and_not1_b32 s13, s13, exec_lo
	s_and_b32 vcc_lo, vcc_lo, exec_lo
	s_delay_alu instid0(SALU_CYCLE_1)
	s_or_b32 s13, s13, vcc_lo
	s_or_b32 exec_lo, exec_lo, s37
	s_and_saveexec_b32 s36, s13
	s_cbranch_execnz .LBB6_2004
	s_branch .LBB6_2005
.LBB6_3140:                             ;   in Loop: Header=BB6_394 Depth=4
	s_mov_b32 s13, -1
	s_mov_b32 s38, exec_lo
                                        ; implicit-def: $sgpr36
	v_cmpx_eq_u16_e32 0x80, v91
; %bb.3141:                             ;   in Loop: Header=BB6_394 Depth=4
	s_mov_b32 s36, 0x7f800001
	s_xor_b32 s13, exec_lo, -1
; %bb.3142:                             ;   in Loop: Header=BB6_394 Depth=4
	s_or_b32 exec_lo, exec_lo, s38
	s_delay_alu instid0(SALU_CYCLE_1)
	s_and_b32 s13, s13, exec_lo
	s_or_saveexec_b32 s37, s37
	v_mov_b32_e32 v13, s36
	s_xor_b32 exec_lo, exec_lo, s37
	s_cbranch_execz .LBB6_2007
.LBB6_3143:                             ;   in Loop: Header=BB6_394 Depth=4
	v_cmp_ne_u16_e32 vcc_lo, 0, v91
	v_mov_b32_e32 v13, 0
	s_and_not1_b32 s13, s13, exec_lo
	s_and_b32 vcc_lo, vcc_lo, exec_lo
	s_delay_alu instid0(SALU_CYCLE_1)
	s_or_b32 s13, s13, vcc_lo
	s_or_b32 exec_lo, exec_lo, s37
	s_and_saveexec_b32 s36, s13
	s_cbranch_execnz .LBB6_2008
	s_branch .LBB6_2009
.LBB6_3144:                             ;   in Loop: Header=BB6_394 Depth=4
	s_mov_b32 s36, -1
	s_mov_b32 s38, exec_lo
                                        ; implicit-def: $sgpr37
	v_cmpx_eq_u16_e32 0x80, v13
; %bb.3145:                             ;   in Loop: Header=BB6_394 Depth=4
	s_mov_b32 s37, 0x7f800001
	s_xor_b32 s36, exec_lo, -1
; %bb.3146:                             ;   in Loop: Header=BB6_394 Depth=4
	s_or_b32 exec_lo, exec_lo, s38
	s_delay_alu instid0(SALU_CYCLE_1)
	s_and_b32 s36, s36, exec_lo
	s_or_saveexec_b32 s13, s13
	v_mov_b32_e32 v91, s37
	s_xor_b32 exec_lo, exec_lo, s13
	s_cbranch_execz .LBB6_2021
.LBB6_3147:                             ;   in Loop: Header=BB6_394 Depth=4
	v_cmp_ne_u16_e32 vcc_lo, 0, v13
	v_mov_b32_e32 v91, 0
	s_and_not1_b32 s36, s36, exec_lo
	s_and_b32 vcc_lo, vcc_lo, exec_lo
	s_delay_alu instid0(SALU_CYCLE_1)
	s_or_b32 s36, s36, vcc_lo
	s_or_b32 exec_lo, exec_lo, s13
	s_and_saveexec_b32 s13, s36
	s_cbranch_execnz .LBB6_2022
	s_branch .LBB6_2023
.LBB6_3148:                             ;   in Loop: Header=BB6_394 Depth=4
	s_mov_b32 s13, -1
	s_mov_b32 s38, exec_lo
                                        ; implicit-def: $sgpr36
	v_cmpx_eq_u16_e32 0x80, v93
; %bb.3149:                             ;   in Loop: Header=BB6_394 Depth=4
	s_mov_b32 s36, 0x7f800001
	s_xor_b32 s13, exec_lo, -1
; %bb.3150:                             ;   in Loop: Header=BB6_394 Depth=4
	s_or_b32 exec_lo, exec_lo, s38
	s_delay_alu instid0(SALU_CYCLE_1)
	s_and_b32 s13, s13, exec_lo
                                        ; implicit-def: $vgpr93
	s_or_saveexec_b32 s37, s37
	v_mov_b32_e32 v92, s36
	s_xor_b32 exec_lo, exec_lo, s37
	s_cbranch_execz .LBB6_2025
.LBB6_3151:                             ;   in Loop: Header=BB6_394 Depth=4
	v_cmp_ne_u16_e32 vcc_lo, 0, v93
	v_mov_b32_e32 v92, 0
	s_and_not1_b32 s13, s13, exec_lo
	s_and_b32 vcc_lo, vcc_lo, exec_lo
	s_delay_alu instid0(SALU_CYCLE_1)
	s_or_b32 s13, s13, vcc_lo
	s_or_b32 exec_lo, exec_lo, s37
	s_and_saveexec_b32 s36, s13
	s_cbranch_execnz .LBB6_2026
	s_branch .LBB6_2027
.LBB6_3152:                             ;   in Loop: Header=BB6_394 Depth=4
	s_mov_b32 s13, -1
	s_mov_b32 s38, exec_lo
                                        ; implicit-def: $sgpr36
	v_cmpx_eq_u16_e32 0x80, v13
; %bb.3153:                             ;   in Loop: Header=BB6_394 Depth=4
	s_mov_b32 s36, 0x7f800001
	s_xor_b32 s13, exec_lo, -1
; %bb.3154:                             ;   in Loop: Header=BB6_394 Depth=4
	s_or_b32 exec_lo, exec_lo, s38
	s_delay_alu instid0(SALU_CYCLE_1)
	s_and_b32 s13, s13, exec_lo
                                        ; implicit-def: $vgpr13
	s_or_saveexec_b32 s37, s37
	v_mov_b32_e32 v91, s36
	s_xor_b32 exec_lo, exec_lo, s37
	s_cbranch_execz .LBB6_2032
.LBB6_3155:                             ;   in Loop: Header=BB6_394 Depth=4
	v_cmp_ne_u16_e32 vcc_lo, 0, v13
	v_mov_b32_e32 v91, 0
	s_and_not1_b32 s13, s13, exec_lo
	s_and_b32 vcc_lo, vcc_lo, exec_lo
	s_delay_alu instid0(SALU_CYCLE_1)
	s_or_b32 s13, s13, vcc_lo
	s_or_b32 exec_lo, exec_lo, s37
	s_and_saveexec_b32 s36, s13
	s_cbranch_execnz .LBB6_2033
	s_branch .LBB6_2034
.LBB6_3156:                             ;   in Loop: Header=BB6_394 Depth=4
	s_mov_b32 s13, -1
	s_mov_b32 s38, exec_lo
                                        ; implicit-def: $sgpr36
	v_cmpx_eq_u16_e32 0x80, v92
; %bb.3157:                             ;   in Loop: Header=BB6_394 Depth=4
	s_mov_b32 s36, 0x7f800001
	s_xor_b32 s13, exec_lo, -1
; %bb.3158:                             ;   in Loop: Header=BB6_394 Depth=4
	s_or_b32 exec_lo, exec_lo, s38
	s_delay_alu instid0(SALU_CYCLE_1)
	s_and_b32 s13, s13, exec_lo
                                        ; implicit-def: $vgpr92
	s_or_saveexec_b32 s37, s37
	v_mov_b32_e32 v13, s36
	s_xor_b32 exec_lo, exec_lo, s37
	s_cbranch_execz .LBB6_2036
.LBB6_3159:                             ;   in Loop: Header=BB6_394 Depth=4
	v_cmp_ne_u16_e32 vcc_lo, 0, v92
	v_mov_b32_e32 v13, 0
	s_and_not1_b32 s13, s13, exec_lo
	s_and_b32 vcc_lo, vcc_lo, exec_lo
	s_delay_alu instid0(SALU_CYCLE_1)
	s_or_b32 s13, s13, vcc_lo
	s_or_b32 exec_lo, exec_lo, s37
	s_and_saveexec_b32 s36, s13
	s_cbranch_execnz .LBB6_2037
	s_branch .LBB6_2038
.LBB6_3160:                             ;   in Loop: Header=BB6_394 Depth=4
	s_mov_b32 s36, -1
	s_mov_b32 s38, exec_lo
                                        ; implicit-def: $sgpr37
	v_cmpx_eq_u16_e32 0x80, v92
; %bb.3161:                             ;   in Loop: Header=BB6_394 Depth=4
	s_mov_b32 s37, 0x7f800001
	s_xor_b32 s36, exec_lo, -1
; %bb.3162:                             ;   in Loop: Header=BB6_394 Depth=4
	s_or_b32 exec_lo, exec_lo, s38
	s_delay_alu instid0(SALU_CYCLE_1)
	s_and_b32 s36, s36, exec_lo
	s_or_saveexec_b32 s13, s13
	v_mov_b32_e32 v93, s37
	s_xor_b32 exec_lo, exec_lo, s13
	s_cbranch_execz .LBB6_2050
.LBB6_3163:                             ;   in Loop: Header=BB6_394 Depth=4
	v_cmp_ne_u16_e32 vcc_lo, 0, v92
	v_mov_b32_e32 v93, 0
	s_and_not1_b32 s36, s36, exec_lo
	s_and_b32 vcc_lo, vcc_lo, exec_lo
	s_delay_alu instid0(SALU_CYCLE_1)
	s_or_b32 s36, s36, vcc_lo
	s_or_b32 exec_lo, exec_lo, s13
	s_and_saveexec_b32 s13, s36
	s_cbranch_execnz .LBB6_2051
	s_branch .LBB6_2052
.LBB6_3164:                             ;   in Loop: Header=BB6_394 Depth=4
	s_mov_b32 s13, -1
	s_mov_b32 s38, exec_lo
                                        ; implicit-def: $sgpr36
	v_cmpx_eq_u16_e32 0x80, v91
; %bb.3165:                             ;   in Loop: Header=BB6_394 Depth=4
	s_mov_b32 s36, 0x7f800001
	s_xor_b32 s13, exec_lo, -1
; %bb.3166:                             ;   in Loop: Header=BB6_394 Depth=4
	s_or_b32 exec_lo, exec_lo, s38
	s_delay_alu instid0(SALU_CYCLE_1)
	s_and_b32 s13, s13, exec_lo
	s_or_saveexec_b32 s37, s37
	v_mov_b32_e32 v94, s36
	s_xor_b32 exec_lo, exec_lo, s37
	s_cbranch_execz .LBB6_2054
.LBB6_3167:                             ;   in Loop: Header=BB6_394 Depth=4
	v_cmp_ne_u16_e32 vcc_lo, 0, v91
	v_mov_b32_e32 v94, 0
	s_and_not1_b32 s13, s13, exec_lo
	s_and_b32 vcc_lo, vcc_lo, exec_lo
	s_delay_alu instid0(SALU_CYCLE_1)
	s_or_b32 s13, s13, vcc_lo
	s_or_b32 exec_lo, exec_lo, s37
	s_and_saveexec_b32 s36, s13
	s_cbranch_execnz .LBB6_2055
	s_branch .LBB6_2056
.LBB6_3168:                             ;   in Loop: Header=BB6_394 Depth=4
	s_mov_b32 s13, -1
	s_mov_b32 s38, exec_lo
                                        ; implicit-def: $sgpr36
	v_cmpx_eq_u16_e32 0x80, v92
; %bb.3169:                             ;   in Loop: Header=BB6_394 Depth=4
	s_mov_b32 s36, 0x7f800001
	s_xor_b32 s13, exec_lo, -1
; %bb.3170:                             ;   in Loop: Header=BB6_394 Depth=4
	s_or_b32 exec_lo, exec_lo, s38
	s_delay_alu instid0(SALU_CYCLE_1)
	s_and_b32 s13, s13, exec_lo
	s_or_saveexec_b32 s37, s37
	v_mov_b32_e32 v93, s36
	s_xor_b32 exec_lo, exec_lo, s37
	s_cbranch_execz .LBB6_2061
.LBB6_3171:                             ;   in Loop: Header=BB6_394 Depth=4
	v_cmp_ne_u16_e32 vcc_lo, 0, v92
	v_mov_b32_e32 v93, 0
	s_and_not1_b32 s13, s13, exec_lo
	s_and_b32 vcc_lo, vcc_lo, exec_lo
	s_delay_alu instid0(SALU_CYCLE_1)
	s_or_b32 s13, s13, vcc_lo
	s_or_b32 exec_lo, exec_lo, s37
	s_and_saveexec_b32 s36, s13
	s_cbranch_execnz .LBB6_2062
	s_branch .LBB6_2063
.LBB6_3172:                             ;   in Loop: Header=BB6_394 Depth=4
	s_mov_b32 s13, -1
	s_mov_b32 s38, exec_lo
                                        ; implicit-def: $sgpr36
	v_cmpx_eq_u16_e32 0x80, v91
; %bb.3173:                             ;   in Loop: Header=BB6_394 Depth=4
	s_mov_b32 s36, 0x7f800001
	s_xor_b32 s13, exec_lo, -1
; %bb.3174:                             ;   in Loop: Header=BB6_394 Depth=4
	s_or_b32 exec_lo, exec_lo, s38
	s_delay_alu instid0(SALU_CYCLE_1)
	s_and_b32 s13, s13, exec_lo
	s_or_saveexec_b32 s37, s37
	v_mov_b32_e32 v92, s36
	s_xor_b32 exec_lo, exec_lo, s37
	s_cbranch_execz .LBB6_2065
.LBB6_3175:                             ;   in Loop: Header=BB6_394 Depth=4
	v_cmp_ne_u16_e32 vcc_lo, 0, v91
	v_mov_b32_e32 v92, 0
	s_and_not1_b32 s13, s13, exec_lo
	s_and_b32 vcc_lo, vcc_lo, exec_lo
	s_delay_alu instid0(SALU_CYCLE_1)
	s_or_b32 s13, s13, vcc_lo
	s_or_b32 exec_lo, exec_lo, s37
	s_and_saveexec_b32 s36, s13
	s_cbranch_execnz .LBB6_2066
	s_branch .LBB6_2067
.LBB6_3176:                             ;   in Loop: Header=BB6_394 Depth=4
	s_mov_b32 s36, -1
	s_mov_b32 s38, exec_lo
                                        ; implicit-def: $sgpr37
	v_cmpx_eq_u16_e32 0x80, v94
; %bb.3177:                             ;   in Loop: Header=BB6_394 Depth=4
	s_mov_b32 s37, 0x7f800001
	s_xor_b32 s36, exec_lo, -1
; %bb.3178:                             ;   in Loop: Header=BB6_394 Depth=4
	s_or_b32 exec_lo, exec_lo, s38
	s_delay_alu instid0(SALU_CYCLE_1)
	s_and_b32 s36, s36, exec_lo
	s_or_saveexec_b32 s13, s13
	v_mov_b32_e32 v95, s37
	s_xor_b32 exec_lo, exec_lo, s13
	s_cbranch_execz .LBB6_2079
.LBB6_3179:                             ;   in Loop: Header=BB6_394 Depth=4
	v_cmp_ne_u16_e32 vcc_lo, 0, v94
	v_mov_b32_e32 v95, 0
	s_and_not1_b32 s36, s36, exec_lo
	s_and_b32 vcc_lo, vcc_lo, exec_lo
	s_delay_alu instid0(SALU_CYCLE_1)
	s_or_b32 s36, s36, vcc_lo
	s_or_b32 exec_lo, exec_lo, s13
	s_and_saveexec_b32 s13, s36
	s_cbranch_execnz .LBB6_2080
	s_branch .LBB6_2081
.LBB6_3180:                             ;   in Loop: Header=BB6_394 Depth=4
	s_mov_b32 s13, -1
	s_mov_b32 s38, exec_lo
                                        ; implicit-def: $sgpr36
	v_cmpx_eq_u16_e32 0x80, v105
; %bb.3181:                             ;   in Loop: Header=BB6_394 Depth=4
	s_mov_b32 s36, 0x7f800001
	s_xor_b32 s13, exec_lo, -1
; %bb.3182:                             ;   in Loop: Header=BB6_394 Depth=4
	s_or_b32 exec_lo, exec_lo, s38
	s_delay_alu instid0(SALU_CYCLE_1)
	s_and_b32 s13, s13, exec_lo
                                        ; implicit-def: $vgpr105
	s_or_saveexec_b32 s37, s37
	v_mov_b32_e32 v104, s36
	s_xor_b32 exec_lo, exec_lo, s37
	s_cbranch_execz .LBB6_2083
.LBB6_3183:                             ;   in Loop: Header=BB6_394 Depth=4
	v_cmp_ne_u16_e32 vcc_lo, 0, v105
	v_mov_b32_e32 v104, 0
	s_and_not1_b32 s13, s13, exec_lo
	s_and_b32 vcc_lo, vcc_lo, exec_lo
	s_delay_alu instid0(SALU_CYCLE_1)
	s_or_b32 s13, s13, vcc_lo
	s_or_b32 exec_lo, exec_lo, s37
	s_and_saveexec_b32 s36, s13
	s_cbranch_execnz .LBB6_2084
	s_branch .LBB6_2085
.LBB6_3184:                             ;   in Loop: Header=BB6_394 Depth=4
	s_mov_b32 s13, -1
	s_mov_b32 s38, exec_lo
                                        ; implicit-def: $sgpr36
	v_cmpx_eq_u16_e32 0x80, v94
; %bb.3185:                             ;   in Loop: Header=BB6_394 Depth=4
	s_mov_b32 s36, 0x7f800001
	s_xor_b32 s13, exec_lo, -1
; %bb.3186:                             ;   in Loop: Header=BB6_394 Depth=4
	s_or_b32 exec_lo, exec_lo, s38
	s_delay_alu instid0(SALU_CYCLE_1)
	s_and_b32 s13, s13, exec_lo
                                        ; implicit-def: $vgpr94
	s_or_saveexec_b32 s37, s37
	v_mov_b32_e32 v95, s36
	s_xor_b32 exec_lo, exec_lo, s37
	s_cbranch_execz .LBB6_2090
.LBB6_3187:                             ;   in Loop: Header=BB6_394 Depth=4
	v_cmp_ne_u16_e32 vcc_lo, 0, v94
	v_mov_b32_e32 v95, 0
	s_and_not1_b32 s13, s13, exec_lo
	s_and_b32 vcc_lo, vcc_lo, exec_lo
	s_delay_alu instid0(SALU_CYCLE_1)
	s_or_b32 s13, s13, vcc_lo
	s_or_b32 exec_lo, exec_lo, s37
	s_and_saveexec_b32 s36, s13
	s_cbranch_execnz .LBB6_2091
	s_branch .LBB6_2092
.LBB6_3188:                             ;   in Loop: Header=BB6_394 Depth=4
	s_mov_b32 s13, -1
	s_mov_b32 s38, exec_lo
                                        ; implicit-def: $sgpr36
	v_cmpx_eq_u16_e32 0x80, v94
; %bb.3189:                             ;   in Loop: Header=BB6_394 Depth=4
	s_mov_b32 s36, 0x7f800001
	s_xor_b32 s13, exec_lo, -1
; %bb.3190:                             ;   in Loop: Header=BB6_394 Depth=4
	s_or_b32 exec_lo, exec_lo, s38
	s_delay_alu instid0(SALU_CYCLE_1)
	s_and_b32 s13, s13, exec_lo
                                        ; implicit-def: $vgpr94
	s_or_saveexec_b32 s37, s37
	v_mov_b32_e32 v93, s36
	s_xor_b32 exec_lo, exec_lo, s37
	s_cbranch_execz .LBB6_2094
.LBB6_3191:                             ;   in Loop: Header=BB6_394 Depth=4
	v_cmp_ne_u16_e32 vcc_lo, 0, v94
	v_mov_b32_e32 v93, 0
	s_and_not1_b32 s13, s13, exec_lo
	s_and_b32 vcc_lo, vcc_lo, exec_lo
	s_delay_alu instid0(SALU_CYCLE_1)
	s_or_b32 s13, s13, vcc_lo
	s_or_b32 exec_lo, exec_lo, s37
	s_and_saveexec_b32 s36, s13
	s_cbranch_execnz .LBB6_2095
	s_branch .LBB6_2096
.LBB6_3192:                             ;   in Loop: Header=BB6_394 Depth=4
	s_mov_b32 s36, -1
	s_mov_b32 s38, exec_lo
                                        ; implicit-def: $sgpr37
	v_cmpx_eq_u16_e32 0x80, v94
; %bb.3193:                             ;   in Loop: Header=BB6_394 Depth=4
	s_mov_b32 s37, 0x7f800001
	s_xor_b32 s36, exec_lo, -1
; %bb.3194:                             ;   in Loop: Header=BB6_394 Depth=4
	s_or_b32 exec_lo, exec_lo, s38
	s_delay_alu instid0(SALU_CYCLE_1)
	s_and_b32 s36, s36, exec_lo
	s_or_saveexec_b32 s13, s13
	v_mov_b32_e32 v95, s37
	s_xor_b32 exec_lo, exec_lo, s13
	s_cbranch_execz .LBB6_2108
.LBB6_3195:                             ;   in Loop: Header=BB6_394 Depth=4
	v_cmp_ne_u16_e32 vcc_lo, 0, v94
	v_mov_b32_e32 v95, 0
	s_and_not1_b32 s36, s36, exec_lo
	s_and_b32 vcc_lo, vcc_lo, exec_lo
	s_delay_alu instid0(SALU_CYCLE_1)
	s_or_b32 s36, s36, vcc_lo
	s_or_b32 exec_lo, exec_lo, s13
	s_and_saveexec_b32 s13, s36
	s_cbranch_execnz .LBB6_2109
	s_branch .LBB6_2110
.LBB6_3196:                             ;   in Loop: Header=BB6_394 Depth=4
	s_mov_b32 s13, -1
	s_mov_b32 s38, exec_lo
                                        ; implicit-def: $sgpr36
	v_cmpx_eq_u16_e32 0x80, v93
; %bb.3197:                             ;   in Loop: Header=BB6_394 Depth=4
	s_mov_b32 s36, 0x7f800001
	s_xor_b32 s13, exec_lo, -1
; %bb.3198:                             ;   in Loop: Header=BB6_394 Depth=4
	s_or_b32 exec_lo, exec_lo, s38
	s_delay_alu instid0(SALU_CYCLE_1)
	s_and_b32 s13, s13, exec_lo
	s_or_saveexec_b32 s37, s37
	v_mov_b32_e32 v104, s36
	s_xor_b32 exec_lo, exec_lo, s37
	s_cbranch_execz .LBB6_2112
.LBB6_3199:                             ;   in Loop: Header=BB6_394 Depth=4
	v_cmp_ne_u16_e32 vcc_lo, 0, v93
	v_mov_b32_e32 v104, 0
	s_and_not1_b32 s13, s13, exec_lo
	s_and_b32 vcc_lo, vcc_lo, exec_lo
	s_delay_alu instid0(SALU_CYCLE_1)
	s_or_b32 s13, s13, vcc_lo
	s_or_b32 exec_lo, exec_lo, s37
	s_and_saveexec_b32 s36, s13
	s_cbranch_execnz .LBB6_2113
	s_branch .LBB6_2114
.LBB6_3200:                             ;   in Loop: Header=BB6_394 Depth=4
	s_mov_b32 s13, -1
	s_mov_b32 s38, exec_lo
                                        ; implicit-def: $sgpr36
	v_cmpx_eq_u16_e32 0x80, v94
; %bb.3201:                             ;   in Loop: Header=BB6_394 Depth=4
	s_mov_b32 s36, 0x7f800001
	s_xor_b32 s13, exec_lo, -1
; %bb.3202:                             ;   in Loop: Header=BB6_394 Depth=4
	s_or_b32 exec_lo, exec_lo, s38
	s_delay_alu instid0(SALU_CYCLE_1)
	s_and_b32 s13, s13, exec_lo
	s_or_saveexec_b32 s37, s37
	v_mov_b32_e32 v95, s36
	s_xor_b32 exec_lo, exec_lo, s37
	s_cbranch_execz .LBB6_2119
.LBB6_3203:                             ;   in Loop: Header=BB6_394 Depth=4
	v_cmp_ne_u16_e32 vcc_lo, 0, v94
	v_mov_b32_e32 v95, 0
	s_and_not1_b32 s13, s13, exec_lo
	s_and_b32 vcc_lo, vcc_lo, exec_lo
	s_delay_alu instid0(SALU_CYCLE_1)
	s_or_b32 s13, s13, vcc_lo
	s_or_b32 exec_lo, exec_lo, s37
	s_and_saveexec_b32 s36, s13
	s_cbranch_execnz .LBB6_2120
	s_branch .LBB6_2121
.LBB6_3204:                             ;   in Loop: Header=BB6_394 Depth=4
	s_mov_b32 s13, -1
	s_mov_b32 s38, exec_lo
                                        ; implicit-def: $sgpr36
	v_cmpx_eq_u16_e32 0x80, v93
; %bb.3205:                             ;   in Loop: Header=BB6_394 Depth=4
	s_mov_b32 s36, 0x7f800001
	s_xor_b32 s13, exec_lo, -1
; %bb.3206:                             ;   in Loop: Header=BB6_394 Depth=4
	s_or_b32 exec_lo, exec_lo, s38
	s_delay_alu instid0(SALU_CYCLE_1)
	s_and_b32 s13, s13, exec_lo
	s_or_saveexec_b32 s37, s37
	v_mov_b32_e32 v14, s36
	s_xor_b32 exec_lo, exec_lo, s37
	s_cbranch_execz .LBB6_2123
.LBB6_3207:                             ;   in Loop: Header=BB6_394 Depth=4
	v_cmp_ne_u16_e32 vcc_lo, 0, v93
	v_mov_b32_e32 v14, 0
	s_and_not1_b32 s13, s13, exec_lo
	s_and_b32 vcc_lo, vcc_lo, exec_lo
	s_delay_alu instid0(SALU_CYCLE_1)
	s_or_b32 s13, s13, vcc_lo
	s_or_b32 exec_lo, exec_lo, s37
	s_and_saveexec_b32 s36, s13
	s_cbranch_execnz .LBB6_2124
	s_branch .LBB6_2125
.LBB6_3208:                             ;   in Loop: Header=BB6_394 Depth=4
	s_mov_b32 s36, -1
	s_mov_b32 s38, exec_lo
                                        ; implicit-def: $sgpr37
	v_cmpx_eq_u16_e32 0x80, v14
; %bb.3209:                             ;   in Loop: Header=BB6_394 Depth=4
	s_mov_b32 s37, 0x7f800001
	s_xor_b32 s36, exec_lo, -1
; %bb.3210:                             ;   in Loop: Header=BB6_394 Depth=4
	s_or_b32 exec_lo, exec_lo, s38
	s_delay_alu instid0(SALU_CYCLE_1)
	s_and_b32 s36, s36, exec_lo
	s_or_saveexec_b32 s13, s13
	v_mov_b32_e32 v93, s37
	s_xor_b32 exec_lo, exec_lo, s13
	s_cbranch_execz .LBB6_2137
.LBB6_3211:                             ;   in Loop: Header=BB6_394 Depth=4
	v_cmp_ne_u16_e32 vcc_lo, 0, v14
	v_mov_b32_e32 v93, 0
	s_and_not1_b32 s36, s36, exec_lo
	s_and_b32 vcc_lo, vcc_lo, exec_lo
	s_delay_alu instid0(SALU_CYCLE_1)
	s_or_b32 s36, s36, vcc_lo
	s_or_b32 exec_lo, exec_lo, s13
	s_and_saveexec_b32 s13, s36
	s_cbranch_execnz .LBB6_2138
	s_branch .LBB6_2139
.LBB6_3212:                             ;   in Loop: Header=BB6_394 Depth=4
	s_mov_b32 s13, -1
	s_mov_b32 s38, exec_lo
                                        ; implicit-def: $sgpr36
	v_cmpx_eq_u16_e32 0x80, v95
; %bb.3213:                             ;   in Loop: Header=BB6_394 Depth=4
	s_mov_b32 s36, 0x7f800001
	s_xor_b32 s13, exec_lo, -1
; %bb.3214:                             ;   in Loop: Header=BB6_394 Depth=4
	s_or_b32 exec_lo, exec_lo, s38
	s_delay_alu instid0(SALU_CYCLE_1)
	s_and_b32 s13, s13, exec_lo
                                        ; implicit-def: $vgpr95
	s_or_saveexec_b32 s37, s37
	v_mov_b32_e32 v94, s36
	s_xor_b32 exec_lo, exec_lo, s37
	s_cbranch_execz .LBB6_2141
.LBB6_3215:                             ;   in Loop: Header=BB6_394 Depth=4
	v_cmp_ne_u16_e32 vcc_lo, 0, v95
	v_mov_b32_e32 v94, 0
	s_and_not1_b32 s13, s13, exec_lo
	s_and_b32 vcc_lo, vcc_lo, exec_lo
	s_delay_alu instid0(SALU_CYCLE_1)
	s_or_b32 s13, s13, vcc_lo
	s_or_b32 exec_lo, exec_lo, s37
	s_and_saveexec_b32 s36, s13
	s_cbranch_execnz .LBB6_2142
	s_branch .LBB6_2143
.LBB6_3216:                             ;   in Loop: Header=BB6_394 Depth=4
	s_mov_b32 s13, -1
	s_mov_b32 s38, exec_lo
                                        ; implicit-def: $sgpr36
	v_cmpx_eq_u16_e32 0x80, v14
; %bb.3217:                             ;   in Loop: Header=BB6_394 Depth=4
	s_mov_b32 s36, 0x7f800001
	s_xor_b32 s13, exec_lo, -1
; %bb.3218:                             ;   in Loop: Header=BB6_394 Depth=4
	s_or_b32 exec_lo, exec_lo, s38
	s_delay_alu instid0(SALU_CYCLE_1)
	s_and_b32 s13, s13, exec_lo
                                        ; implicit-def: $vgpr14
	s_or_saveexec_b32 s37, s37
	v_mov_b32_e32 v93, s36
	s_xor_b32 exec_lo, exec_lo, s37
	s_cbranch_execz .LBB6_2148
.LBB6_3219:                             ;   in Loop: Header=BB6_394 Depth=4
	v_cmp_ne_u16_e32 vcc_lo, 0, v14
	v_mov_b32_e32 v93, 0
	s_and_not1_b32 s13, s13, exec_lo
	s_and_b32 vcc_lo, vcc_lo, exec_lo
	s_delay_alu instid0(SALU_CYCLE_1)
	s_or_b32 s13, s13, vcc_lo
	s_or_b32 exec_lo, exec_lo, s37
	s_and_saveexec_b32 s36, s13
	s_cbranch_execnz .LBB6_2149
	s_branch .LBB6_2150
.LBB6_3220:                             ;   in Loop: Header=BB6_394 Depth=4
	s_mov_b32 s13, -1
	s_mov_b32 s38, exec_lo
                                        ; implicit-def: $sgpr36
	v_cmpx_eq_u16_e32 0x80, v94
; %bb.3221:                             ;   in Loop: Header=BB6_394 Depth=4
	s_mov_b32 s36, 0x7f800001
	s_xor_b32 s13, exec_lo, -1
; %bb.3222:                             ;   in Loop: Header=BB6_394 Depth=4
	s_or_b32 exec_lo, exec_lo, s38
	s_delay_alu instid0(SALU_CYCLE_1)
	s_and_b32 s13, s13, exec_lo
                                        ; implicit-def: $vgpr94
	s_or_saveexec_b32 s37, s37
	v_mov_b32_e32 v14, s36
	s_xor_b32 exec_lo, exec_lo, s37
	s_cbranch_execz .LBB6_2152
.LBB6_3223:                             ;   in Loop: Header=BB6_394 Depth=4
	v_cmp_ne_u16_e32 vcc_lo, 0, v94
	v_mov_b32_e32 v14, 0
	s_and_not1_b32 s13, s13, exec_lo
	s_and_b32 vcc_lo, vcc_lo, exec_lo
	s_delay_alu instid0(SALU_CYCLE_1)
	s_or_b32 s13, s13, vcc_lo
	s_or_b32 exec_lo, exec_lo, s37
	s_and_saveexec_b32 s36, s13
	s_cbranch_execnz .LBB6_2153
	s_branch .LBB6_2154
.LBB6_3224:                             ;   in Loop: Header=BB6_394 Depth=4
	s_mov_b32 s36, -1
	s_mov_b32 s38, exec_lo
                                        ; implicit-def: $sgpr37
	v_cmpx_eq_u16_e32 0x80, v94
; %bb.3225:                             ;   in Loop: Header=BB6_394 Depth=4
	s_mov_b32 s37, 0x7f800001
	s_xor_b32 s36, exec_lo, -1
; %bb.3226:                             ;   in Loop: Header=BB6_394 Depth=4
	s_or_b32 exec_lo, exec_lo, s38
	s_delay_alu instid0(SALU_CYCLE_1)
	s_and_b32 s36, s36, exec_lo
	s_or_saveexec_b32 s13, s13
	v_mov_b32_e32 v95, s37
	s_xor_b32 exec_lo, exec_lo, s13
	s_cbranch_execz .LBB6_2166
.LBB6_3227:                             ;   in Loop: Header=BB6_394 Depth=4
	v_cmp_ne_u16_e32 vcc_lo, 0, v94
	v_mov_b32_e32 v95, 0
	s_and_not1_b32 s36, s36, exec_lo
	s_and_b32 vcc_lo, vcc_lo, exec_lo
	s_delay_alu instid0(SALU_CYCLE_1)
	s_or_b32 s36, s36, vcc_lo
	s_or_b32 exec_lo, exec_lo, s13
	s_and_saveexec_b32 s13, s36
	s_cbranch_execnz .LBB6_2167
	s_branch .LBB6_2168
.LBB6_3228:                             ;   in Loop: Header=BB6_394 Depth=4
	s_mov_b32 s13, -1
	s_mov_b32 s38, exec_lo
                                        ; implicit-def: $sgpr36
	v_cmpx_eq_u16_e32 0x80, v93
; %bb.3229:                             ;   in Loop: Header=BB6_394 Depth=4
	s_mov_b32 s36, 0x7f800001
	s_xor_b32 s13, exec_lo, -1
; %bb.3230:                             ;   in Loop: Header=BB6_394 Depth=4
	s_or_b32 exec_lo, exec_lo, s38
	s_delay_alu instid0(SALU_CYCLE_1)
	s_and_b32 s13, s13, exec_lo
	s_or_saveexec_b32 s37, s37
	v_mov_b32_e32 v104, s36
	s_xor_b32 exec_lo, exec_lo, s37
	s_cbranch_execz .LBB6_2170
.LBB6_3231:                             ;   in Loop: Header=BB6_394 Depth=4
	v_cmp_ne_u16_e32 vcc_lo, 0, v93
	v_mov_b32_e32 v104, 0
	s_and_not1_b32 s13, s13, exec_lo
	s_and_b32 vcc_lo, vcc_lo, exec_lo
	s_delay_alu instid0(SALU_CYCLE_1)
	s_or_b32 s13, s13, vcc_lo
	s_or_b32 exec_lo, exec_lo, s37
	s_and_saveexec_b32 s36, s13
	s_cbranch_execnz .LBB6_2171
	s_branch .LBB6_2172
.LBB6_3232:                             ;   in Loop: Header=BB6_394 Depth=4
	s_mov_b32 s13, -1
	s_mov_b32 s38, exec_lo
                                        ; implicit-def: $sgpr36
	v_cmpx_eq_u16_e32 0x80, v94
; %bb.3233:                             ;   in Loop: Header=BB6_394 Depth=4
	s_mov_b32 s36, 0x7f800001
	s_xor_b32 s13, exec_lo, -1
; %bb.3234:                             ;   in Loop: Header=BB6_394 Depth=4
	s_or_b32 exec_lo, exec_lo, s38
	s_delay_alu instid0(SALU_CYCLE_1)
	s_and_b32 s13, s13, exec_lo
	s_or_saveexec_b32 s37, s37
	v_mov_b32_e32 v95, s36
	s_xor_b32 exec_lo, exec_lo, s37
	s_cbranch_execz .LBB6_2177
.LBB6_3235:                             ;   in Loop: Header=BB6_394 Depth=4
	v_cmp_ne_u16_e32 vcc_lo, 0, v94
	v_mov_b32_e32 v95, 0
	s_and_not1_b32 s13, s13, exec_lo
	s_and_b32 vcc_lo, vcc_lo, exec_lo
	s_delay_alu instid0(SALU_CYCLE_1)
	s_or_b32 s13, s13, vcc_lo
	s_or_b32 exec_lo, exec_lo, s37
	s_and_saveexec_b32 s36, s13
	s_cbranch_execnz .LBB6_2178
	s_branch .LBB6_2179
.LBB6_3236:                             ;   in Loop: Header=BB6_394 Depth=4
	s_mov_b32 s13, -1
	s_mov_b32 s38, exec_lo
                                        ; implicit-def: $sgpr36
	v_cmpx_eq_u16_e32 0x80, v93
; %bb.3237:                             ;   in Loop: Header=BB6_394 Depth=4
	s_mov_b32 s36, 0x7f800001
	s_xor_b32 s13, exec_lo, -1
; %bb.3238:                             ;   in Loop: Header=BB6_394 Depth=4
	s_or_b32 exec_lo, exec_lo, s38
	s_delay_alu instid0(SALU_CYCLE_1)
	s_and_b32 s13, s13, exec_lo
	s_or_saveexec_b32 s37, s37
	v_mov_b32_e32 v94, s36
	s_xor_b32 exec_lo, exec_lo, s37
	s_cbranch_execz .LBB6_2181
.LBB6_3239:                             ;   in Loop: Header=BB6_394 Depth=4
	v_cmp_ne_u16_e32 vcc_lo, 0, v93
	v_mov_b32_e32 v94, 0
	s_and_not1_b32 s13, s13, exec_lo
	s_and_b32 vcc_lo, vcc_lo, exec_lo
	s_delay_alu instid0(SALU_CYCLE_1)
	s_or_b32 s13, s13, vcc_lo
	s_or_b32 exec_lo, exec_lo, s37
	s_and_saveexec_b32 s36, s13
	s_cbranch_execnz .LBB6_2182
	s_branch .LBB6_2183
.LBB6_3240:                             ;   in Loop: Header=BB6_394 Depth=4
	s_mov_b32 s36, -1
	s_mov_b32 s38, exec_lo
                                        ; implicit-def: $sgpr37
	v_cmpx_eq_u16_e32 0x80, v104
; %bb.3241:                             ;   in Loop: Header=BB6_394 Depth=4
	s_mov_b32 s37, 0x7f800001
	s_xor_b32 s36, exec_lo, -1
; %bb.3242:                             ;   in Loop: Header=BB6_394 Depth=4
	s_or_b32 exec_lo, exec_lo, s38
	s_delay_alu instid0(SALU_CYCLE_1)
	s_and_b32 s36, s36, exec_lo
	s_or_saveexec_b32 s13, s13
	v_mov_b32_e32 v105, s37
	s_xor_b32 exec_lo, exec_lo, s13
	s_cbranch_execz .LBB6_2195
.LBB6_3243:                             ;   in Loop: Header=BB6_394 Depth=4
	v_cmp_ne_u16_e32 vcc_lo, 0, v104
	v_mov_b32_e32 v105, 0
	s_and_not1_b32 s36, s36, exec_lo
	s_and_b32 vcc_lo, vcc_lo, exec_lo
	s_delay_alu instid0(SALU_CYCLE_1)
	s_or_b32 s36, s36, vcc_lo
	s_or_b32 exec_lo, exec_lo, s13
	s_and_saveexec_b32 s13, s36
	s_cbranch_execnz .LBB6_2196
	s_branch .LBB6_2197
.LBB6_3244:                             ;   in Loop: Header=BB6_394 Depth=4
	s_mov_b32 s13, -1
	s_mov_b32 s38, exec_lo
                                        ; implicit-def: $sgpr36
	v_cmpx_eq_u16_e32 0x80, v107
; %bb.3245:                             ;   in Loop: Header=BB6_394 Depth=4
	s_mov_b32 s36, 0x7f800001
	s_xor_b32 s13, exec_lo, -1
; %bb.3246:                             ;   in Loop: Header=BB6_394 Depth=4
	s_or_b32 exec_lo, exec_lo, s38
	s_delay_alu instid0(SALU_CYCLE_1)
	s_and_b32 s13, s13, exec_lo
                                        ; implicit-def: $vgpr107
	s_or_saveexec_b32 s37, s37
	v_mov_b32_e32 v106, s36
	s_xor_b32 exec_lo, exec_lo, s37
	s_cbranch_execz .LBB6_2199
.LBB6_3247:                             ;   in Loop: Header=BB6_394 Depth=4
	v_cmp_ne_u16_e32 vcc_lo, 0, v107
	v_mov_b32_e32 v106, 0
	s_and_not1_b32 s13, s13, exec_lo
	s_and_b32 vcc_lo, vcc_lo, exec_lo
	s_delay_alu instid0(SALU_CYCLE_1)
	s_or_b32 s13, s13, vcc_lo
	s_or_b32 exec_lo, exec_lo, s37
	s_and_saveexec_b32 s36, s13
	s_cbranch_execnz .LBB6_2200
	s_branch .LBB6_2201
.LBB6_3248:                             ;   in Loop: Header=BB6_394 Depth=4
	s_mov_b32 s13, -1
	s_mov_b32 s38, exec_lo
                                        ; implicit-def: $sgpr36
	v_cmpx_eq_u16_e32 0x80, v104
; %bb.3249:                             ;   in Loop: Header=BB6_394 Depth=4
	s_mov_b32 s36, 0x7f800001
	s_xor_b32 s13, exec_lo, -1
; %bb.3250:                             ;   in Loop: Header=BB6_394 Depth=4
	s_or_b32 exec_lo, exec_lo, s38
	s_delay_alu instid0(SALU_CYCLE_1)
	s_and_b32 s13, s13, exec_lo
                                        ; implicit-def: $vgpr104
	s_or_saveexec_b32 s37, s37
	v_mov_b32_e32 v105, s36
	s_xor_b32 exec_lo, exec_lo, s37
	s_cbranch_execz .LBB6_2206
.LBB6_3251:                             ;   in Loop: Header=BB6_394 Depth=4
	v_cmp_ne_u16_e32 vcc_lo, 0, v104
	v_mov_b32_e32 v105, 0
	s_and_not1_b32 s13, s13, exec_lo
	s_and_b32 vcc_lo, vcc_lo, exec_lo
	s_delay_alu instid0(SALU_CYCLE_1)
	s_or_b32 s13, s13, vcc_lo
	s_or_b32 exec_lo, exec_lo, s37
	s_and_saveexec_b32 s36, s13
	s_cbranch_execnz .LBB6_2207
	s_branch .LBB6_2208
.LBB6_3252:                             ;   in Loop: Header=BB6_394 Depth=4
	s_mov_b32 s13, -1
	s_mov_b32 s38, exec_lo
                                        ; implicit-def: $sgpr36
	v_cmpx_eq_u16_e32 0x80, v104
; %bb.3253:                             ;   in Loop: Header=BB6_394 Depth=4
	s_mov_b32 s36, 0x7f800001
	s_xor_b32 s13, exec_lo, -1
; %bb.3254:                             ;   in Loop: Header=BB6_394 Depth=4
	s_or_b32 exec_lo, exec_lo, s38
	s_delay_alu instid0(SALU_CYCLE_1)
	s_and_b32 s13, s13, exec_lo
                                        ; implicit-def: $vgpr104
	s_or_saveexec_b32 s37, s37
	v_mov_b32_e32 v95, s36
	s_xor_b32 exec_lo, exec_lo, s37
	s_cbranch_execz .LBB6_2210
.LBB6_3255:                             ;   in Loop: Header=BB6_394 Depth=4
	v_cmp_ne_u16_e32 vcc_lo, 0, v104
	v_mov_b32_e32 v95, 0
	s_and_not1_b32 s13, s13, exec_lo
	s_and_b32 vcc_lo, vcc_lo, exec_lo
	s_delay_alu instid0(SALU_CYCLE_1)
	s_or_b32 s13, s13, vcc_lo
	s_or_b32 exec_lo, exec_lo, s37
	s_and_saveexec_b32 s36, s13
	s_cbranch_execnz .LBB6_2211
	s_branch .LBB6_2212
.LBB6_3256:                             ;   in Loop: Header=BB6_394 Depth=4
	s_mov_b32 s36, -1
	s_mov_b32 s38, exec_lo
                                        ; implicit-def: $sgpr37
	v_cmpx_eq_u16_e32 0x80, v104
; %bb.3257:                             ;   in Loop: Header=BB6_394 Depth=4
	s_mov_b32 s37, 0x7f800001
	s_xor_b32 s36, exec_lo, -1
; %bb.3258:                             ;   in Loop: Header=BB6_394 Depth=4
	s_or_b32 exec_lo, exec_lo, s38
	s_delay_alu instid0(SALU_CYCLE_1)
	s_and_b32 s36, s36, exec_lo
	s_or_saveexec_b32 s13, s13
	v_mov_b32_e32 v105, s37
	s_xor_b32 exec_lo, exec_lo, s13
	s_cbranch_execz .LBB6_2224
.LBB6_3259:                             ;   in Loop: Header=BB6_394 Depth=4
	v_cmp_ne_u16_e32 vcc_lo, 0, v104
	v_mov_b32_e32 v105, 0
	s_and_not1_b32 s36, s36, exec_lo
	s_and_b32 vcc_lo, vcc_lo, exec_lo
	s_delay_alu instid0(SALU_CYCLE_1)
	s_or_b32 s36, s36, vcc_lo
	s_or_b32 exec_lo, exec_lo, s13
	s_and_saveexec_b32 s13, s36
	s_cbranch_execnz .LBB6_2225
	s_branch .LBB6_2226
.LBB6_3260:                             ;   in Loop: Header=BB6_394 Depth=4
	s_mov_b32 s13, -1
	s_mov_b32 s38, exec_lo
                                        ; implicit-def: $sgpr36
	v_cmpx_eq_u16_e32 0x80, v95
; %bb.3261:                             ;   in Loop: Header=BB6_394 Depth=4
	s_mov_b32 s36, 0x7f800001
	s_xor_b32 s13, exec_lo, -1
; %bb.3262:                             ;   in Loop: Header=BB6_394 Depth=4
	s_or_b32 exec_lo, exec_lo, s38
	s_delay_alu instid0(SALU_CYCLE_1)
	s_and_b32 s13, s13, exec_lo
	s_or_saveexec_b32 s37, s37
	v_mov_b32_e32 v106, s36
	s_xor_b32 exec_lo, exec_lo, s37
	s_cbranch_execz .LBB6_2228
.LBB6_3263:                             ;   in Loop: Header=BB6_394 Depth=4
	v_cmp_ne_u16_e32 vcc_lo, 0, v95
	v_mov_b32_e32 v106, 0
	s_and_not1_b32 s13, s13, exec_lo
	s_and_b32 vcc_lo, vcc_lo, exec_lo
	s_delay_alu instid0(SALU_CYCLE_1)
	s_or_b32 s13, s13, vcc_lo
	s_or_b32 exec_lo, exec_lo, s37
	s_and_saveexec_b32 s36, s13
	s_cbranch_execnz .LBB6_2229
	s_branch .LBB6_2230
.LBB6_3264:                             ;   in Loop: Header=BB6_394 Depth=4
	s_mov_b32 s13, -1
	s_mov_b32 s38, exec_lo
                                        ; implicit-def: $sgpr36
	v_cmpx_eq_u16_e32 0x80, v104
; %bb.3265:                             ;   in Loop: Header=BB6_394 Depth=4
	s_mov_b32 s36, 0x7f800001
	s_xor_b32 s13, exec_lo, -1
; %bb.3266:                             ;   in Loop: Header=BB6_394 Depth=4
	s_or_b32 exec_lo, exec_lo, s38
	s_delay_alu instid0(SALU_CYCLE_1)
	s_and_b32 s13, s13, exec_lo
	s_or_saveexec_b32 s37, s37
	v_mov_b32_e32 v105, s36
	s_xor_b32 exec_lo, exec_lo, s37
	s_cbranch_execz .LBB6_2235
.LBB6_3267:                             ;   in Loop: Header=BB6_394 Depth=4
	v_cmp_ne_u16_e32 vcc_lo, 0, v104
	v_mov_b32_e32 v105, 0
	s_and_not1_b32 s13, s13, exec_lo
	s_and_b32 vcc_lo, vcc_lo, exec_lo
	s_delay_alu instid0(SALU_CYCLE_1)
	s_or_b32 s13, s13, vcc_lo
	s_or_b32 exec_lo, exec_lo, s37
	s_and_saveexec_b32 s36, s13
	s_cbranch_execnz .LBB6_2236
	s_branch .LBB6_2237
.LBB6_3268:                             ;   in Loop: Header=BB6_394 Depth=4
	s_mov_b32 s13, -1
	s_mov_b32 s38, exec_lo
                                        ; implicit-def: $sgpr36
	v_cmpx_eq_u16_e32 0x80, v95
; %bb.3269:                             ;   in Loop: Header=BB6_394 Depth=4
	s_mov_b32 s36, 0x7f800001
	s_xor_b32 s13, exec_lo, -1
; %bb.3270:                             ;   in Loop: Header=BB6_394 Depth=4
	s_or_b32 exec_lo, exec_lo, s38
	s_delay_alu instid0(SALU_CYCLE_1)
	s_and_b32 s13, s13, exec_lo
	s_or_saveexec_b32 s37, s37
	v_mov_b32_e32 v15, s36
	s_xor_b32 exec_lo, exec_lo, s37
	s_cbranch_execz .LBB6_2239
.LBB6_3271:                             ;   in Loop: Header=BB6_394 Depth=4
	v_cmp_ne_u16_e32 vcc_lo, 0, v95
	v_mov_b32_e32 v15, 0
	s_and_not1_b32 s13, s13, exec_lo
	s_and_b32 vcc_lo, vcc_lo, exec_lo
	s_delay_alu instid0(SALU_CYCLE_1)
	s_or_b32 s13, s13, vcc_lo
	s_or_b32 exec_lo, exec_lo, s37
	s_and_saveexec_b32 s36, s13
	s_cbranch_execnz .LBB6_2240
	s_branch .LBB6_2241
.LBB6_3272:                             ;   in Loop: Header=BB6_305 Depth=3
	s_or_b32 exec_lo, exec_lo, s34
.LBB6_3273:                             ;   in Loop: Header=BB6_305 Depth=3
	s_delay_alu instid0(SALU_CYCLE_1) | instskip(SKIP_4) | instid1(VALU_DEP_2)
	s_or_b32 exec_lo, exec_lo, s14
	v_lshlrev_b32_e32 v22, 11, v181
	v_mov_b32_e32 v14, 0
	s_mov_b32 s13, 0
	s_mov_b32 s34, exec_lo
                                        ; implicit-def: $vgpr15
                                        ; implicit-def: $vgpr16
                                        ; implicit-def: $vgpr8
	v_cmpx_ne_u32_e64 v101, v22
	s_cbranch_execz .LBB6_4002
; %bb.3274:                             ;   in Loop: Header=BB6_305 Depth=3
	v_lshlrev_b32_e32 v2, 5, v2
	v_sub_nc_u32_e32 v9, v101, v22
	s_mov_b32 s35, exec_lo
	s_delay_alu instid0(VALU_DEP_2) | instskip(NEXT) | instid1(VALU_DEP_2)
	v_sub_nc_u32_e32 v2, v131, v2
	v_ashrrev_i32_e32 v10, 31, v9
	s_delay_alu instid0(VALU_DEP_2) | instskip(NEXT) | instid1(VALU_DEP_2)
	v_ashrrev_i32_e32 v8, 31, v2
	v_lshrrev_b32_e32 v10, 23, v10
	s_delay_alu instid0(VALU_DEP_2) | instskip(NEXT) | instid1(VALU_DEP_2)
	v_lshrrev_b32_e32 v8, 27, v8
	v_add_nc_u32_e32 v10, v9, v10
	s_delay_alu instid0(VALU_DEP_2) | instskip(NEXT) | instid1(VALU_DEP_1)
	v_add_nc_u32_e32 v8, v2, v8
	v_and_b32_e32 v11, 0xffffffe0, v8
	s_delay_alu instid0(VALU_DEP_1) | instskip(NEXT) | instid1(VALU_DEP_4)
	v_sub_nc_u32_e32 v23, v2, v11
	v_and_b32_e32 v2, 0xfffffe00, v10
	v_ashrrev_i32_e32 v11, 5, v8
	v_ashrrev_i32_e32 v10, 9, v10
	s_delay_alu instid0(VALU_DEP_4) | instskip(NEXT) | instid1(VALU_DEP_4)
	v_lshlrev_b32_e32 v8, 4, v23
	v_sub_nc_u32_e32 v24, v9, v2
	s_delay_alu instid0(VALU_DEP_2) | instskip(NEXT) | instid1(VALU_DEP_2)
	v_lshl_add_u32 v8, v11, 9, v8
	v_cmp_lt_i32_e64 s13, 15, v24
	s_delay_alu instid0(VALU_DEP_2) | instskip(NEXT) | instid1(VALU_DEP_2)
	v_sub_nc_u32_e32 v26, v9, v8
	v_add_co_ci_u32_e64 v10, vcc_lo, 0, v10, s13
	s_delay_alu instid0(VALU_DEP_1) | instskip(NEXT) | instid1(VALU_DEP_3)
	v_sub_nc_u32_e32 v25, v10, v11
	v_cmpx_lt_i32_e32 15, v26
	s_cbranch_execz .LBB6_3999
; %bb.3275:                             ;   in Loop: Header=BB6_305 Depth=3
	s_cbranch_execz .LBB6_3276
; %bb.17348:
	s_getpc_b64 s[48:49]
.Lpost_getpc345:
	s_add_u32 s48, s48, (.LBB6_17018-.Lpost_getpc345)&4294967295
	s_addc_u32 s49, s49, (.LBB6_17018-.Lpost_getpc345)>>32
	s_setpc_b64 s[48:49]
.LBB6_3276:                             ;   in Loop: Header=BB6_305 Depth=3
	ds_load_b128 v[9:12], v0
	ds_load_b64 v[13:14], v0
	v_add_nc_u32_e32 v8, v8, v22
	s_bitcmp1_b32 s31, 0
	s_mov_b32 s36, 0
	s_cselect_b32 s37, -1, 0
	s_delay_alu instid0(VALU_DEP_1) | instskip(SKIP_2) | instid1(VALU_DEP_2)
	v_ashrrev_i32_e32 v15, 31, v8
	s_waitcnt lgkmcnt(1)
	v_add_co_u32 v16, vcc_lo, v9, v8
	v_add_co_ci_u32_e32 v17, vcc_lo, v10, v15, vcc_lo
	v_add_co_u32 v18, vcc_lo, v11, v8
	v_add_co_ci_u32_e32 v19, vcc_lo, v12, v15, vcc_lo
	s_waitcnt lgkmcnt(0)
	v_add_co_u32 v20, vcc_lo, v13, v8
	v_add_co_ci_u32_e32 v21, vcc_lo, v14, v15, vcc_lo
	s_branch .LBB6_3280
.LBB6_3277:                             ;   in Loop: Header=BB6_3280 Depth=4
	s_or_b32 exec_lo, exec_lo, s14
	s_delay_alu instid0(VALU_DEP_1) | instskip(NEXT) | instid1(VALU_DEP_2)
	v_lshrrev_b32_e32 v15, 20, v15
	v_cmp_gt_i32_e32 vcc_lo, 16, v11
	v_min_i32_e32 v48, 15, v11
	v_lshrrev_b32_e32 v49, 24, v50
	s_delay_alu instid0(VALU_DEP_2) | instskip(NEXT) | instid1(VALU_DEP_2)
	v_dual_cndmask_b32 v15, 7, v15 :: v_dual_lshlrev_b32 v48, 3, v48
	v_and_b32_e32 v49, 0x80, v49
	s_delay_alu instid0(VALU_DEP_2) | instskip(SKIP_1) | instid1(VALU_DEP_2)
	v_or_b32_e32 v11, v11, v15
	v_and_b32_e32 v50, 7, v15
	v_cmp_ne_u32_e32 vcc_lo, 0, v11
	v_and_b32_e32 v48, 0xf8, v48
	s_delay_alu instid0(VALU_DEP_1) | instskip(NEXT) | instid1(VALU_DEP_1)
	v_or3_b32 v48, v49, v48, v50
	v_lshlrev_b32_e32 v15, 8, v48
	s_delay_alu instid0(VALU_DEP_1)
	v_cndmask_b32_e32 v11, 0, v15, vcc_lo
.LBB6_3278:                             ;   in Loop: Header=BB6_3280 Depth=4
	s_or_b32 exec_lo, exec_lo, s39
.LBB6_3279:                             ;   in Loop: Header=BB6_3280 Depth=4
	s_delay_alu instid0(SALU_CYCLE_1)
	s_or_b32 exec_lo, exec_lo, s38
	v_lshlrev_b32_e32 v15, 8, v34
	v_and_b32_e32 v33, 0xff, v33
	v_or_b32_e32 v9, v9, v35
	v_lshlrev_b32_e32 v32, 8, v32
	v_lshlrev_b32_e32 v34, 8, v36
	v_perm_b32 v12, v15, v12, 0xc0c0500
	v_lshlrev_b32_e32 v15, 16, v33
	v_and_b32_e32 v33, 0xff, v37
	v_lshlrev_b32_e32 v35, 8, v38
	v_lshlrev_b32_e32 v8, 24, v8
	v_perm_b32 v27, v32, v27, 0xc0c0500
	v_lshlrev_b32_e32 v10, 24, v10
	v_lshlrev_b32_e32 v32, 16, v33
	v_perm_b32 v13, v34, v13, 0xc0c0500
	v_perm_b32 v14, v35, v14, 0xc0c0500
	v_or_b32_e32 v11, v11, v39
	v_add_co_u32 v16, vcc_lo, v16, v148
	v_lshl_or_b32 v9, v9, 16, v12
	v_or3_b32 v8, v8, v15, v27
	v_or3_b32 v10, v10, v32, v13
	v_lshl_or_b32 v11, v11, 16, v14
	v_sub_nc_u32_e32 v26, v26, v132
	v_add_co_ci_u32_e32 v17, vcc_lo, v17, v149, vcc_lo
	v_add_co_u32 v18, vcc_lo, v18, v148
	v_add_co_ci_u32_e32 v19, vcc_lo, v19, v149, vcc_lo
	global_store_b128 v[20:21], v[8:11], off glc slc dlc
	v_cmp_gt_i32_e32 vcc_lo, 16, v26
	v_add_co_u32 v20, s14, v20, v148
	s_delay_alu instid0(VALU_DEP_1) | instskip(SKIP_2) | instid1(SALU_CYCLE_1)
	v_add_co_ci_u32_e64 v21, s14, v21, v149, s14
	v_sub_nc_u32_e32 v25, v25, v129
	s_or_b32 s36, vcc_lo, s36
	s_and_not1_b32 exec_lo, exec_lo, s36
	s_cbranch_execz .LBB6_3998
.LBB6_3280:                             ;   Parent Loop BB6_51 Depth=1
                                        ;     Parent Loop BB6_303 Depth=2
                                        ;       Parent Loop BB6_305 Depth=3
                                        ; =>      This Inner Loop Header: Depth=4
	global_load_b128 v[12:15], v[16:17], off slc dlc
	global_load_b128 v[8:11], v[18:19], off slc dlc
	s_and_b32 vcc_lo, exec_lo, s37
	s_cbranch_vccz .LBB6_3290
; %bb.3281:                             ;   in Loop: Header=BB6_3280 Depth=4
	s_waitcnt vmcnt(1)
	v_and_b32_e32 v32, 0xff, v12
	s_mov_b32 s14, 0
	s_mov_b32 s39, exec_lo
                                        ; implicit-def: $sgpr38
	s_delay_alu instid0(VALU_DEP_1)
	v_cmpx_lt_i16_e32 0x7f, v32
	s_xor_b32 s39, exec_lo, s39
	s_cbranch_execnz .LBB6_3742
; %bb.3282:                             ;   in Loop: Header=BB6_3280 Depth=4
	s_or_saveexec_b32 s39, s39
	v_mov_b32_e32 v27, s38
	s_xor_b32 exec_lo, exec_lo, s39
	s_cbranch_execnz .LBB6_3745
.LBB6_3283:                             ;   in Loop: Header=BB6_3280 Depth=4
	s_or_b32 exec_lo, exec_lo, s39
	s_and_saveexec_b32 s38, s14
	s_cbranch_execz .LBB6_3285
.LBB6_3284:                             ;   in Loop: Header=BB6_3280 Depth=4
	v_and_b32_e32 v27, 7, v12
	v_bfe_u32 v34, v12, 3, 4
	v_lshlrev_b32_e32 v35, 24, v12
	s_delay_alu instid0(VALU_DEP_3) | instskip(NEXT) | instid1(VALU_DEP_3)
	v_clz_i32_u32_e32 v32, v27
	v_cmp_eq_u32_e32 vcc_lo, 0, v34
	s_delay_alu instid0(VALU_DEP_2) | instskip(NEXT) | instid1(VALU_DEP_1)
	v_min_u32_e32 v32, 32, v32
	v_subrev_nc_u32_e32 v33, 28, v32
	v_sub_nc_u32_e32 v32, 29, v32
	s_delay_alu instid0(VALU_DEP_2) | instskip(NEXT) | instid1(VALU_DEP_1)
	v_lshlrev_b32_e32 v33, v33, v12
	v_dual_cndmask_b32 v32, v34, v32 :: v_dual_and_b32 v33, 7, v33
	s_delay_alu instid0(VALU_DEP_1) | instskip(NEXT) | instid1(VALU_DEP_2)
	v_lshl_add_u32 v32, v32, 23, 0x3b800000
	v_cndmask_b32_e32 v27, v27, v33, vcc_lo
	v_and_b32_e32 v33, 0x80000000, v35
	s_delay_alu instid0(VALU_DEP_2) | instskip(NEXT) | instid1(VALU_DEP_1)
	v_lshlrev_b32_e32 v27, 20, v27
	v_or3_b32 v27, v33, v32, v27
.LBB6_3285:                             ;   in Loop: Header=BB6_3280 Depth=4
	s_or_b32 exec_lo, exec_lo, s38
	s_waitcnt vmcnt(0)
	v_and_b32_e32 v33, 0xff, v8
	s_mov_b32 s14, 0
	s_mov_b32 s39, exec_lo
                                        ; implicit-def: $sgpr38
	s_delay_alu instid0(VALU_DEP_1)
	v_cmpx_lt_i16_e32 0x7f, v33
	s_xor_b32 s39, exec_lo, s39
	s_cbranch_execnz .LBB6_3746
; %bb.3286:                             ;   in Loop: Header=BB6_3280 Depth=4
	s_or_saveexec_b32 s39, s39
	v_mov_b32_e32 v32, s38
	s_xor_b32 exec_lo, exec_lo, s39
	s_cbranch_execnz .LBB6_3749
.LBB6_3287:                             ;   in Loop: Header=BB6_3280 Depth=4
	s_or_b32 exec_lo, exec_lo, s39
	s_and_saveexec_b32 s38, s14
	s_cbranch_execz .LBB6_3289
.LBB6_3288:                             ;   in Loop: Header=BB6_3280 Depth=4
	v_bfe_u32 v35, v8, 3, 4
	v_lshlrev_b32_e32 v36, 24, v8
	s_delay_alu instid0(VALU_DEP_2) | instskip(SKIP_1) | instid1(VALU_DEP_1)
	v_cmp_eq_u32_e32 vcc_lo, 0, v35
	v_and_b32_e32 v32, 7, v8
	v_clz_i32_u32_e32 v33, v32
	s_delay_alu instid0(VALU_DEP_1) | instskip(NEXT) | instid1(VALU_DEP_1)
	v_min_u32_e32 v33, 32, v33
	v_subrev_nc_u32_e32 v34, 28, v33
	v_sub_nc_u32_e32 v33, 29, v33
	s_delay_alu instid0(VALU_DEP_1) | instskip(NEXT) | instid1(VALU_DEP_1)
	v_dual_cndmask_b32 v33, v35, v33 :: v_dual_lshlrev_b32 v34, v34, v8
	v_and_b32_e32 v34, 7, v34
	s_delay_alu instid0(VALU_DEP_2) | instskip(NEXT) | instid1(VALU_DEP_2)
	v_lshl_add_u32 v33, v33, 23, 0x3b800000
	v_cndmask_b32_e32 v32, v32, v34, vcc_lo
	v_and_b32_e32 v34, 0x80000000, v36
	s_delay_alu instid0(VALU_DEP_2) | instskip(NEXT) | instid1(VALU_DEP_1)
	v_lshlrev_b32_e32 v32, 20, v32
	v_or3_b32 v32, v34, v33, v32
.LBB6_3289:                             ;   in Loop: Header=BB6_3280 Depth=4
	s_or_b32 exec_lo, exec_lo, s38
	s_delay_alu instid0(VALU_DEP_1) | instskip(SKIP_1) | instid1(VALU_DEP_1)
	v_dual_max_f32 v32, v32, v32 :: v_dual_max_f32 v27, v27, v27
	s_mov_b32 s14, 0
	v_max_f32_e32 v32, v27, v32
	s_branch .LBB6_3291
.LBB6_3290:                             ;   in Loop: Header=BB6_3280 Depth=4
	s_mov_b32 s14, -1
                                        ; implicit-def: $vgpr32
.LBB6_3291:                             ;   in Loop: Header=BB6_3280 Depth=4
	s_delay_alu instid0(SALU_CYCLE_1)
	s_and_b32 vcc_lo, exec_lo, s14
	s_cbranch_vccz .LBB6_3301
; %bb.3292:                             ;   in Loop: Header=BB6_3280 Depth=4
	s_waitcnt vmcnt(1)
	v_and_b32_e32 v32, 0xff, v12
	s_mov_b32 s14, 0
	s_mov_b32 s39, exec_lo
                                        ; implicit-def: $sgpr38
	s_delay_alu instid0(VALU_DEP_1)
	v_cmpx_lt_i16_e32 0x7f, v32
	s_xor_b32 s39, exec_lo, s39
	s_cbranch_execnz .LBB6_3750
; %bb.3293:                             ;   in Loop: Header=BB6_3280 Depth=4
	s_or_saveexec_b32 s39, s39
	v_mov_b32_e32 v27, s38
	s_xor_b32 exec_lo, exec_lo, s39
	s_cbranch_execnz .LBB6_3753
.LBB6_3294:                             ;   in Loop: Header=BB6_3280 Depth=4
	s_or_b32 exec_lo, exec_lo, s39
	s_and_saveexec_b32 s38, s14
	s_cbranch_execz .LBB6_3296
.LBB6_3295:                             ;   in Loop: Header=BB6_3280 Depth=4
	v_and_b32_e32 v27, 7, v12
	v_bfe_u32 v34, v12, 3, 4
	v_lshlrev_b32_e32 v35, 24, v12
	s_delay_alu instid0(VALU_DEP_3) | instskip(NEXT) | instid1(VALU_DEP_3)
	v_clz_i32_u32_e32 v32, v27
	v_cmp_eq_u32_e32 vcc_lo, 0, v34
	s_delay_alu instid0(VALU_DEP_2) | instskip(NEXT) | instid1(VALU_DEP_1)
	v_min_u32_e32 v32, 32, v32
	v_subrev_nc_u32_e32 v33, 28, v32
	v_sub_nc_u32_e32 v32, 29, v32
	s_delay_alu instid0(VALU_DEP_2) | instskip(NEXT) | instid1(VALU_DEP_1)
	v_lshlrev_b32_e32 v33, v33, v12
	v_dual_cndmask_b32 v32, v34, v32 :: v_dual_and_b32 v33, 7, v33
	s_delay_alu instid0(VALU_DEP_1) | instskip(NEXT) | instid1(VALU_DEP_2)
	v_lshl_add_u32 v32, v32, 23, 0x3b800000
	v_cndmask_b32_e32 v27, v27, v33, vcc_lo
	v_and_b32_e32 v33, 0x80000000, v35
	s_delay_alu instid0(VALU_DEP_2) | instskip(NEXT) | instid1(VALU_DEP_1)
	v_lshlrev_b32_e32 v27, 20, v27
	v_or3_b32 v27, v33, v32, v27
.LBB6_3296:                             ;   in Loop: Header=BB6_3280 Depth=4
	s_or_b32 exec_lo, exec_lo, s38
	s_waitcnt vmcnt(0)
	v_and_b32_e32 v33, 0xff, v8
	s_mov_b32 s14, 0
	s_mov_b32 s39, exec_lo
                                        ; implicit-def: $sgpr38
	s_delay_alu instid0(VALU_DEP_1)
	v_cmpx_lt_i16_e32 0x7f, v33
	s_xor_b32 s39, exec_lo, s39
	s_cbranch_execnz .LBB6_3754
; %bb.3297:                             ;   in Loop: Header=BB6_3280 Depth=4
	s_or_saveexec_b32 s39, s39
	v_mov_b32_e32 v32, s38
	s_xor_b32 exec_lo, exec_lo, s39
	s_cbranch_execnz .LBB6_3757
.LBB6_3298:                             ;   in Loop: Header=BB6_3280 Depth=4
	s_or_b32 exec_lo, exec_lo, s39
	s_and_saveexec_b32 s38, s14
	s_cbranch_execz .LBB6_3300
.LBB6_3299:                             ;   in Loop: Header=BB6_3280 Depth=4
	v_bfe_u32 v35, v8, 3, 4
	v_lshlrev_b32_e32 v36, 24, v8
	s_delay_alu instid0(VALU_DEP_2) | instskip(SKIP_1) | instid1(VALU_DEP_1)
	v_cmp_eq_u32_e32 vcc_lo, 0, v35
	v_and_b32_e32 v32, 7, v8
	v_clz_i32_u32_e32 v33, v32
	s_delay_alu instid0(VALU_DEP_1) | instskip(NEXT) | instid1(VALU_DEP_1)
	v_min_u32_e32 v33, 32, v33
	v_subrev_nc_u32_e32 v34, 28, v33
	v_sub_nc_u32_e32 v33, 29, v33
	s_delay_alu instid0(VALU_DEP_1) | instskip(NEXT) | instid1(VALU_DEP_1)
	v_dual_cndmask_b32 v33, v35, v33 :: v_dual_lshlrev_b32 v34, v34, v8
	v_and_b32_e32 v34, 7, v34
	s_delay_alu instid0(VALU_DEP_2) | instskip(NEXT) | instid1(VALU_DEP_2)
	v_lshl_add_u32 v33, v33, 23, 0x3b800000
	v_cndmask_b32_e32 v32, v32, v34, vcc_lo
	v_and_b32_e32 v34, 0x80000000, v36
	s_delay_alu instid0(VALU_DEP_2) | instskip(NEXT) | instid1(VALU_DEP_1)
	v_lshlrev_b32_e32 v32, 20, v32
	v_or3_b32 v32, v34, v33, v32
.LBB6_3300:                             ;   in Loop: Header=BB6_3280 Depth=4
	s_or_b32 exec_lo, exec_lo, s38
	s_delay_alu instid0(VALU_DEP_1) | instskip(NEXT) | instid1(VALU_DEP_1)
	v_dual_max_f32 v32, v32, v32 :: v_dual_max_f32 v27, v27, v27
	v_min_f32_e32 v32, v27, v32
.LBB6_3301:                             ;   in Loop: Header=BB6_3280 Depth=4
	s_delay_alu instid0(VALU_DEP_1) | instskip(NEXT) | instid1(VALU_DEP_1)
	v_and_b32_e32 v27, 0x7f800000, v32
	v_cmp_ne_u32_e32 vcc_lo, 0x7f800000, v27
	v_mov_b32_e32 v27, 0x80
	s_and_saveexec_b32 s38, vcc_lo
	s_cbranch_execz .LBB6_3309
; %bb.3302:                             ;   in Loop: Header=BB6_3280 Depth=4
	v_mov_b32_e32 v27, 0
	s_mov_b32 s39, exec_lo
	v_cmpx_ne_u32_e32 0, v32
	s_cbranch_execz .LBB6_3308
; %bb.3303:                             ;   in Loop: Header=BB6_3280 Depth=4
	v_bfe_u32 v27, v32, 23, 8
	s_delay_alu instid0(VALU_DEP_1) | instskip(SKIP_1) | instid1(VALU_DEP_2)
	v_sub_nc_u32_e32 v34, 0x78, v27
	v_cmp_gt_u32_e32 vcc_lo, 0x79, v27
	v_dual_cndmask_b32 v34, 0, v34 :: v_dual_and_b32 v33, 0x7fffff, v32
	s_delay_alu instid0(VALU_DEP_1) | instskip(SKIP_2) | instid1(VALU_DEP_4)
	v_or_b32_e32 v35, 0x800000, v33
	v_cmp_eq_u32_e32 vcc_lo, 0, v27
	v_add_nc_u32_e32 v27, 0xffffff89, v27
	v_cndmask_b32_e64 v34, v34, 0x77, vcc_lo
	s_delay_alu instid0(VALU_DEP_2) | instskip(SKIP_1) | instid1(VALU_DEP_3)
	v_cndmask_b32_e64 v27, v27, 0xffffff8a, vcc_lo
	v_cndmask_b32_e32 v33, v35, v33, vcc_lo
	v_lshl_add_u32 v35, 0x100000, v34, -1
	v_lshlrev_b32_e64 v38, v34, 0x80000
	s_delay_alu instid0(VALU_DEP_3) | instskip(SKIP_1) | instid1(VALU_DEP_4)
	v_lshrrev_b32_e32 v36, v34, v33
	v_add_nc_u32_e32 v34, v34, v27
	v_and_b32_e32 v33, v35, v33
	s_delay_alu instid0(VALU_DEP_3) | instskip(NEXT) | instid1(VALU_DEP_2)
	v_bfe_u32 v37, v36, 20, 1
	v_cmp_eq_u32_e64 s14, v33, v38
	s_delay_alu instid0(VALU_DEP_2) | instskip(NEXT) | instid1(VALU_DEP_1)
	v_add_nc_u32_e32 v35, -1, v37
	v_cndmask_b32_e64 v33, 0, v35, s14
	v_lshrrev_b32_e32 v35, 23, v36
	s_mov_b32 s14, exec_lo
	s_delay_alu instid0(VALU_DEP_2) | instskip(NEXT) | instid1(VALU_DEP_2)
	v_add_nc_u32_e32 v33, v33, v36
	v_xor_b32_e32 v35, 1, v35
	s_delay_alu instid0(VALU_DEP_2) | instskip(NEXT) | instid1(VALU_DEP_1)
	v_and_b32_e32 v27, 0xfffff, v33
	v_add_nc_u32_e32 v33, v27, v36
                                        ; implicit-def: $vgpr27
	s_delay_alu instid0(VALU_DEP_3)
	v_cmpx_ne_u32_e64 v34, v35
	s_xor_b32 s14, exec_lo, s14
; %bb.3304:                             ;   in Loop: Header=BB6_3280 Depth=4
	s_delay_alu instid0(VALU_DEP_2) | instskip(SKIP_2) | instid1(VALU_DEP_2)
	v_cmp_lt_u32_e32 vcc_lo, 0xffffff, v33
	v_sub_nc_u32_e32 v27, v34, v35
	v_cndmask_b32_e64 v34, 0, 1, vcc_lo
	v_add_co_ci_u32_e32 v27, vcc_lo, 0, v27, vcc_lo
	s_delay_alu instid0(VALU_DEP_2)
	v_lshrrev_b32_e32 v33, v34, v33
; %bb.3305:                             ;   in Loop: Header=BB6_3280 Depth=4
	s_and_not1_saveexec_b32 s14, s14
; %bb.3306:                             ;   in Loop: Header=BB6_3280 Depth=4
	s_delay_alu instid0(VALU_DEP_1)
	v_bfe_u32 v27, v33, 23, 1
; %bb.3307:                             ;   in Loop: Header=BB6_3280 Depth=4
	s_or_b32 exec_lo, exec_lo, s14
	v_lshrrev_b32_e32 v33, 20, v33
	s_delay_alu instid0(VALU_DEP_2) | instskip(SKIP_2) | instid1(VALU_DEP_2)
	v_cmp_gt_i32_e32 vcc_lo, 16, v27
	v_lshrrev_b32_e32 v32, 24, v32
	v_min_i32_e32 v34, 15, v27
	v_dual_cndmask_b32 v33, 7, v33 :: v_dual_and_b32 v32, 0x80, v32
	s_delay_alu instid0(VALU_DEP_1) | instskip(SKIP_1) | instid1(VALU_DEP_2)
	v_or_b32_e32 v27, v27, v33
	v_and_b32_e32 v35, 7, v33
	v_cmp_ne_u32_e32 vcc_lo, 0, v27
	v_lshlrev_b32_e32 v34, 3, v34
	s_delay_alu instid0(VALU_DEP_1) | instskip(NEXT) | instid1(VALU_DEP_1)
	v_or3_b32 v32, v34, v32, v35
	v_cndmask_b32_e32 v27, 0, v32, vcc_lo
.LBB6_3308:                             ;   in Loop: Header=BB6_3280 Depth=4
	s_or_b32 exec_lo, exec_lo, s39
.LBB6_3309:                             ;   in Loop: Header=BB6_3280 Depth=4
	s_delay_alu instid0(SALU_CYCLE_1)
	s_or_b32 exec_lo, exec_lo, s38
	s_waitcnt vmcnt(1)
	v_lshrrev_b16 v33, 8, v12
	s_waitcnt vmcnt(0)
	v_lshrrev_b16 v32, 8, v8
	s_and_b32 vcc_lo, exec_lo, s37
	s_cbranch_vccz .LBB6_3319
; %bb.3310:                             ;   in Loop: Header=BB6_3280 Depth=4
	s_mov_b32 s14, 0
	s_mov_b32 s39, exec_lo
                                        ; implicit-def: $sgpr38
	v_cmpx_lt_i16_e32 0x7f, v33
	s_xor_b32 s39, exec_lo, s39
	s_cbranch_execnz .LBB6_3758
; %bb.3311:                             ;   in Loop: Header=BB6_3280 Depth=4
	s_or_saveexec_b32 s39, s39
	v_mov_b32_e32 v34, s38
	s_xor_b32 exec_lo, exec_lo, s39
	s_cbranch_execnz .LBB6_3761
.LBB6_3312:                             ;   in Loop: Header=BB6_3280 Depth=4
	s_or_b32 exec_lo, exec_lo, s39
	s_and_saveexec_b32 s38, s14
	s_cbranch_execz .LBB6_3314
.LBB6_3313:                             ;   in Loop: Header=BB6_3280 Depth=4
	v_and_b32_e32 v34, 0xffff, v33
	s_delay_alu instid0(VALU_DEP_1) | instskip(NEXT) | instid1(VALU_DEP_1)
	v_and_b32_e32 v35, 7, v34
	v_clz_i32_u32_e32 v36, v35
	s_delay_alu instid0(VALU_DEP_1) | instskip(NEXT) | instid1(VALU_DEP_1)
	v_min_u32_e32 v36, 32, v36
	v_subrev_nc_u32_e32 v37, 28, v36
	v_sub_nc_u32_e32 v36, 29, v36
	s_delay_alu instid0(VALU_DEP_2) | instskip(SKIP_1) | instid1(VALU_DEP_2)
	v_lshlrev_b32_e32 v37, v37, v34
	v_bfe_u32 v34, v34, 3, 4
	v_and_b32_e32 v37, 7, v37
	s_delay_alu instid0(VALU_DEP_2) | instskip(SKIP_1) | instid1(VALU_DEP_3)
	v_cmp_eq_u32_e32 vcc_lo, 0, v34
	v_cndmask_b32_e32 v34, v34, v36, vcc_lo
	v_dual_cndmask_b32 v35, v35, v37 :: v_dual_lshlrev_b32 v38, 16, v12
	s_delay_alu instid0(VALU_DEP_2) | instskip(NEXT) | instid1(VALU_DEP_2)
	v_lshl_add_u32 v34, v34, 23, 0x3b800000
	v_and_b32_e32 v36, 0x80000000, v38
	s_delay_alu instid0(VALU_DEP_3) | instskip(NEXT) | instid1(VALU_DEP_1)
	v_lshlrev_b32_e32 v35, 20, v35
	v_or3_b32 v34, v36, v34, v35
.LBB6_3314:                             ;   in Loop: Header=BB6_3280 Depth=4
	s_or_b32 exec_lo, exec_lo, s38
	s_mov_b32 s14, 0
	s_mov_b32 s39, exec_lo
                                        ; implicit-def: $sgpr38
	v_cmpx_lt_i16_e32 0x7f, v32
	s_xor_b32 s39, exec_lo, s39
	s_cbranch_execnz .LBB6_3762
; %bb.3315:                             ;   in Loop: Header=BB6_3280 Depth=4
	s_or_saveexec_b32 s39, s39
	v_mov_b32_e32 v35, s38
	s_xor_b32 exec_lo, exec_lo, s39
	s_cbranch_execnz .LBB6_3765
.LBB6_3316:                             ;   in Loop: Header=BB6_3280 Depth=4
	s_or_b32 exec_lo, exec_lo, s39
	s_and_saveexec_b32 s38, s14
	s_cbranch_execz .LBB6_3318
.LBB6_3317:                             ;   in Loop: Header=BB6_3280 Depth=4
	v_and_b32_e32 v35, 0xffff, v32
	v_lshlrev_b32_e32 v39, 16, v8
	s_delay_alu instid0(VALU_DEP_2) | instskip(NEXT) | instid1(VALU_DEP_1)
	v_and_b32_e32 v36, 7, v35
	v_clz_i32_u32_e32 v37, v36
	s_delay_alu instid0(VALU_DEP_1) | instskip(NEXT) | instid1(VALU_DEP_1)
	v_min_u32_e32 v37, 32, v37
	v_subrev_nc_u32_e32 v38, 28, v37
	v_sub_nc_u32_e32 v37, 29, v37
	s_delay_alu instid0(VALU_DEP_2) | instskip(SKIP_1) | instid1(VALU_DEP_2)
	v_lshlrev_b32_e32 v38, v38, v35
	v_bfe_u32 v35, v35, 3, 4
	v_and_b32_e32 v38, 7, v38
	s_delay_alu instid0(VALU_DEP_2) | instskip(NEXT) | instid1(VALU_DEP_2)
	v_cmp_eq_u32_e32 vcc_lo, 0, v35
	v_dual_cndmask_b32 v35, v35, v37 :: v_dual_cndmask_b32 v36, v36, v38
	v_and_b32_e32 v37, 0x80000000, v39
	s_delay_alu instid0(VALU_DEP_2) | instskip(NEXT) | instid1(VALU_DEP_3)
	v_lshl_add_u32 v35, v35, 23, 0x3b800000
	v_lshlrev_b32_e32 v36, 20, v36
	s_delay_alu instid0(VALU_DEP_1)
	v_or3_b32 v35, v37, v35, v36
.LBB6_3318:                             ;   in Loop: Header=BB6_3280 Depth=4
	s_or_b32 exec_lo, exec_lo, s38
	s_delay_alu instid0(VALU_DEP_1) | instskip(SKIP_1) | instid1(VALU_DEP_1)
	v_dual_max_f32 v35, v35, v35 :: v_dual_max_f32 v34, v34, v34
	s_mov_b32 s14, 0
	v_max_f32_e32 v34, v34, v35
	s_branch .LBB6_3320
.LBB6_3319:                             ;   in Loop: Header=BB6_3280 Depth=4
	s_mov_b32 s14, -1
                                        ; implicit-def: $vgpr34
.LBB6_3320:                             ;   in Loop: Header=BB6_3280 Depth=4
	s_delay_alu instid0(SALU_CYCLE_1)
	s_and_b32 vcc_lo, exec_lo, s14
	s_cbranch_vccz .LBB6_3330
; %bb.3321:                             ;   in Loop: Header=BB6_3280 Depth=4
	s_mov_b32 s14, 0
	s_mov_b32 s39, exec_lo
                                        ; implicit-def: $sgpr38
	v_cmpx_lt_i16_e32 0x7f, v33
	s_xor_b32 s39, exec_lo, s39
	s_cbranch_execnz .LBB6_3766
; %bb.3322:                             ;   in Loop: Header=BB6_3280 Depth=4
	s_or_saveexec_b32 s39, s39
	v_mov_b32_e32 v34, s38
	s_xor_b32 exec_lo, exec_lo, s39
	s_cbranch_execnz .LBB6_3769
.LBB6_3323:                             ;   in Loop: Header=BB6_3280 Depth=4
	s_or_b32 exec_lo, exec_lo, s39
	s_and_saveexec_b32 s38, s14
	s_cbranch_execz .LBB6_3325
.LBB6_3324:                             ;   in Loop: Header=BB6_3280 Depth=4
	v_and_b32_e32 v33, 0xffff, v33
	v_lshlrev_b32_e32 v37, 16, v12
	s_delay_alu instid0(VALU_DEP_2) | instskip(NEXT) | instid1(VALU_DEP_1)
	v_and_b32_e32 v34, 7, v33
	v_clz_i32_u32_e32 v35, v34
	s_delay_alu instid0(VALU_DEP_1) | instskip(NEXT) | instid1(VALU_DEP_1)
	v_min_u32_e32 v35, 32, v35
	v_subrev_nc_u32_e32 v36, 28, v35
	v_sub_nc_u32_e32 v35, 29, v35
	s_delay_alu instid0(VALU_DEP_2) | instskip(SKIP_1) | instid1(VALU_DEP_2)
	v_lshlrev_b32_e32 v36, v36, v33
	v_bfe_u32 v33, v33, 3, 4
	v_and_b32_e32 v36, 7, v36
	s_delay_alu instid0(VALU_DEP_2) | instskip(NEXT) | instid1(VALU_DEP_2)
	v_cmp_eq_u32_e32 vcc_lo, 0, v33
	v_dual_cndmask_b32 v33, v33, v35 :: v_dual_cndmask_b32 v34, v34, v36
	v_and_b32_e32 v35, 0x80000000, v37
	s_delay_alu instid0(VALU_DEP_2) | instskip(NEXT) | instid1(VALU_DEP_3)
	v_lshl_add_u32 v33, v33, 23, 0x3b800000
	v_lshlrev_b32_e32 v34, 20, v34
	s_delay_alu instid0(VALU_DEP_1)
	v_or3_b32 v34, v35, v33, v34
.LBB6_3325:                             ;   in Loop: Header=BB6_3280 Depth=4
	s_or_b32 exec_lo, exec_lo, s38
	s_mov_b32 s14, 0
	s_mov_b32 s39, exec_lo
                                        ; implicit-def: $sgpr38
	v_cmpx_lt_i16_e32 0x7f, v32
	s_xor_b32 s39, exec_lo, s39
	s_cbranch_execnz .LBB6_3770
; %bb.3326:                             ;   in Loop: Header=BB6_3280 Depth=4
	s_or_saveexec_b32 s39, s39
	v_mov_b32_e32 v33, s38
	s_xor_b32 exec_lo, exec_lo, s39
	s_cbranch_execnz .LBB6_3773
.LBB6_3327:                             ;   in Loop: Header=BB6_3280 Depth=4
	s_or_b32 exec_lo, exec_lo, s39
	s_and_saveexec_b32 s38, s14
	s_cbranch_execz .LBB6_3329
.LBB6_3328:                             ;   in Loop: Header=BB6_3280 Depth=4
	v_and_b32_e32 v32, 0xffff, v32
	v_lshlrev_b32_e32 v37, 16, v8
	s_delay_alu instid0(VALU_DEP_2) | instskip(NEXT) | instid1(VALU_DEP_1)
	v_and_b32_e32 v33, 7, v32
	v_clz_i32_u32_e32 v35, v33
	s_delay_alu instid0(VALU_DEP_1) | instskip(NEXT) | instid1(VALU_DEP_1)
	v_min_u32_e32 v35, 32, v35
	v_subrev_nc_u32_e32 v36, 28, v35
	v_sub_nc_u32_e32 v35, 29, v35
	s_delay_alu instid0(VALU_DEP_2) | instskip(SKIP_1) | instid1(VALU_DEP_2)
	v_lshlrev_b32_e32 v36, v36, v32
	v_bfe_u32 v32, v32, 3, 4
	v_and_b32_e32 v36, 7, v36
	s_delay_alu instid0(VALU_DEP_2) | instskip(NEXT) | instid1(VALU_DEP_2)
	v_cmp_eq_u32_e32 vcc_lo, 0, v32
	v_dual_cndmask_b32 v32, v32, v35 :: v_dual_cndmask_b32 v33, v33, v36
	v_and_b32_e32 v35, 0x80000000, v37
	s_delay_alu instid0(VALU_DEP_2) | instskip(NEXT) | instid1(VALU_DEP_3)
	v_lshl_add_u32 v32, v32, 23, 0x3b800000
	v_lshlrev_b32_e32 v33, 20, v33
	s_delay_alu instid0(VALU_DEP_1)
	v_or3_b32 v33, v35, v32, v33
.LBB6_3329:                             ;   in Loop: Header=BB6_3280 Depth=4
	s_or_b32 exec_lo, exec_lo, s38
	s_delay_alu instid0(VALU_DEP_1) | instskip(NEXT) | instid1(VALU_DEP_1)
	v_dual_max_f32 v32, v33, v33 :: v_dual_max_f32 v33, v34, v34
	v_min_f32_e32 v34, v33, v32
.LBB6_3330:                             ;   in Loop: Header=BB6_3280 Depth=4
	s_delay_alu instid0(VALU_DEP_1) | instskip(NEXT) | instid1(VALU_DEP_1)
	v_and_b32_e32 v32, 0x7f800000, v34
	v_cmp_ne_u32_e32 vcc_lo, 0x7f800000, v32
	v_mov_b32_e32 v32, 0x80
	s_and_saveexec_b32 s38, vcc_lo
	s_cbranch_execz .LBB6_3338
; %bb.3331:                             ;   in Loop: Header=BB6_3280 Depth=4
	v_mov_b32_e32 v32, 0
	s_mov_b32 s39, exec_lo
	v_cmpx_ne_u32_e32 0, v34
	s_cbranch_execz .LBB6_3337
; %bb.3332:                             ;   in Loop: Header=BB6_3280 Depth=4
	v_bfe_u32 v32, v34, 23, 8
	v_and_b32_e32 v33, 0x7fffff, v34
	s_delay_alu instid0(VALU_DEP_2) | instskip(SKIP_1) | instid1(VALU_DEP_3)
	v_sub_nc_u32_e32 v35, 0x78, v32
	v_cmp_gt_u32_e32 vcc_lo, 0x79, v32
	v_or_b32_e32 v36, 0x800000, v33
	s_delay_alu instid0(VALU_DEP_3) | instskip(SKIP_2) | instid1(VALU_DEP_3)
	v_cndmask_b32_e32 v35, 0, v35, vcc_lo
	v_cmp_eq_u32_e32 vcc_lo, 0, v32
	v_add_nc_u32_e32 v32, 0xffffff89, v32
	v_cndmask_b32_e64 v35, v35, 0x77, vcc_lo
	v_cndmask_b32_e32 v33, v36, v33, vcc_lo
	s_delay_alu instid0(VALU_DEP_3) | instskip(NEXT) | instid1(VALU_DEP_3)
	v_cndmask_b32_e64 v32, v32, 0xffffff8a, vcc_lo
	v_lshl_add_u32 v36, 0x100000, v35, -1
	s_delay_alu instid0(VALU_DEP_3) | instskip(SKIP_1) | instid1(VALU_DEP_4)
	v_lshrrev_b32_e32 v37, v35, v33
	v_lshlrev_b32_e64 v39, v35, 0x80000
	v_add_nc_u32_e32 v35, v35, v32
	s_delay_alu instid0(VALU_DEP_4) | instskip(NEXT) | instid1(VALU_DEP_4)
	v_and_b32_e32 v33, v36, v33
	v_bfe_u32 v38, v37, 20, 1
	s_delay_alu instid0(VALU_DEP_2) | instskip(NEXT) | instid1(VALU_DEP_2)
	v_cmp_eq_u32_e64 s14, v33, v39
	v_add_nc_u32_e32 v36, -1, v38
	s_delay_alu instid0(VALU_DEP_1) | instskip(SKIP_2) | instid1(VALU_DEP_2)
	v_cndmask_b32_e64 v33, 0, v36, s14
	v_lshrrev_b32_e32 v36, 23, v37
	s_mov_b32 s14, exec_lo
	v_add_nc_u32_e32 v33, v33, v37
	s_delay_alu instid0(VALU_DEP_2) | instskip(NEXT) | instid1(VALU_DEP_2)
	v_xor_b32_e32 v36, 1, v36
	v_and_b32_e32 v32, 0xfffff, v33
	s_delay_alu instid0(VALU_DEP_1) | instskip(NEXT) | instid1(VALU_DEP_3)
	v_add_nc_u32_e32 v33, v32, v37
                                        ; implicit-def: $vgpr32
	v_cmpx_ne_u32_e64 v35, v36
	s_xor_b32 s14, exec_lo, s14
; %bb.3333:                             ;   in Loop: Header=BB6_3280 Depth=4
	s_delay_alu instid0(VALU_DEP_2) | instskip(SKIP_2) | instid1(VALU_DEP_2)
	v_cmp_lt_u32_e32 vcc_lo, 0xffffff, v33
	v_sub_nc_u32_e32 v32, v35, v36
	v_cndmask_b32_e64 v35, 0, 1, vcc_lo
	v_add_co_ci_u32_e32 v32, vcc_lo, 0, v32, vcc_lo
	s_delay_alu instid0(VALU_DEP_2)
	v_lshrrev_b32_e32 v33, v35, v33
; %bb.3334:                             ;   in Loop: Header=BB6_3280 Depth=4
	s_and_not1_saveexec_b32 s14, s14
; %bb.3335:                             ;   in Loop: Header=BB6_3280 Depth=4
	s_delay_alu instid0(VALU_DEP_1)
	v_bfe_u32 v32, v33, 23, 1
; %bb.3336:                             ;   in Loop: Header=BB6_3280 Depth=4
	s_or_b32 exec_lo, exec_lo, s14
	v_lshrrev_b32_e32 v33, 20, v33
	s_delay_alu instid0(VALU_DEP_2) | instskip(SKIP_2) | instid1(VALU_DEP_2)
	v_cmp_gt_i32_e32 vcc_lo, 16, v32
	v_lshrrev_b32_e32 v34, 24, v34
	v_min_i32_e32 v35, 15, v32
	v_dual_cndmask_b32 v33, 7, v33 :: v_dual_and_b32 v34, 0x80, v34
	s_delay_alu instid0(VALU_DEP_1) | instskip(SKIP_1) | instid1(VALU_DEP_2)
	v_or_b32_e32 v32, v32, v33
	v_and_b32_e32 v36, 7, v33
	v_cmp_ne_u32_e32 vcc_lo, 0, v32
	v_lshlrev_b32_e32 v35, 3, v35
	s_delay_alu instid0(VALU_DEP_1) | instskip(NEXT) | instid1(VALU_DEP_1)
	v_or3_b32 v33, v35, v34, v36
	v_cndmask_b32_e32 v32, 0, v33, vcc_lo
.LBB6_3337:                             ;   in Loop: Header=BB6_3280 Depth=4
	s_or_b32 exec_lo, exec_lo, s39
.LBB6_3338:                             ;   in Loop: Header=BB6_3280 Depth=4
	s_delay_alu instid0(SALU_CYCLE_1)
	s_or_b32 exec_lo, exec_lo, s38
	v_lshrrev_b32_e32 v34, 16, v12
	v_lshrrev_b32_e32 v33, 16, v8
	s_and_b32 vcc_lo, exec_lo, s37
	s_cbranch_vccz .LBB6_3348
; %bb.3339:                             ;   in Loop: Header=BB6_3280 Depth=4
	s_delay_alu instid0(VALU_DEP_2) | instskip(SKIP_2) | instid1(VALU_DEP_1)
	v_and_b32_e32 v36, 0xff, v34
	s_mov_b32 s14, 0
	s_mov_b32 s39, exec_lo
                                        ; implicit-def: $sgpr38
	v_cmpx_lt_i16_e32 0x7f, v36
	s_xor_b32 s39, exec_lo, s39
	s_cbranch_execnz .LBB6_3774
; %bb.3340:                             ;   in Loop: Header=BB6_3280 Depth=4
	s_or_saveexec_b32 s39, s39
	v_mov_b32_e32 v35, s38
	s_xor_b32 exec_lo, exec_lo, s39
	s_cbranch_execnz .LBB6_3777
.LBB6_3341:                             ;   in Loop: Header=BB6_3280 Depth=4
	s_or_b32 exec_lo, exec_lo, s39
	s_and_saveexec_b32 s38, s14
	s_cbranch_execz .LBB6_3343
.LBB6_3342:                             ;   in Loop: Header=BB6_3280 Depth=4
	v_bfe_u32 v35, v12, 16, 3
	v_bfe_u32 v38, v12, 19, 4
	v_lshlrev_b32_e32 v39, 24, v34
	s_delay_alu instid0(VALU_DEP_3) | instskip(NEXT) | instid1(VALU_DEP_3)
	v_clz_i32_u32_e32 v36, v35
	v_cmp_eq_u32_e32 vcc_lo, 0, v38
	s_delay_alu instid0(VALU_DEP_2) | instskip(NEXT) | instid1(VALU_DEP_1)
	v_min_u32_e32 v36, 32, v36
	v_subrev_nc_u32_e32 v37, 28, v36
	v_sub_nc_u32_e32 v36, 29, v36
	s_delay_alu instid0(VALU_DEP_1) | instskip(NEXT) | instid1(VALU_DEP_1)
	v_dual_cndmask_b32 v36, v38, v36 :: v_dual_lshlrev_b32 v37, v37, v34
	v_and_b32_e32 v37, 7, v37
	s_delay_alu instid0(VALU_DEP_2) | instskip(NEXT) | instid1(VALU_DEP_2)
	v_lshl_add_u32 v36, v36, 23, 0x3b800000
	v_cndmask_b32_e32 v35, v35, v37, vcc_lo
	v_and_b32_e32 v37, 0x80000000, v39
	s_delay_alu instid0(VALU_DEP_2) | instskip(NEXT) | instid1(VALU_DEP_1)
	v_lshlrev_b32_e32 v35, 20, v35
	v_or3_b32 v35, v37, v36, v35
.LBB6_3343:                             ;   in Loop: Header=BB6_3280 Depth=4
	s_or_b32 exec_lo, exec_lo, s38
	v_and_b32_e32 v37, 0xff, v33
	s_mov_b32 s14, 0
	s_mov_b32 s39, exec_lo
                                        ; implicit-def: $sgpr38
	s_delay_alu instid0(VALU_DEP_1)
	v_cmpx_lt_i16_e32 0x7f, v37
	s_xor_b32 s39, exec_lo, s39
	s_cbranch_execnz .LBB6_3778
; %bb.3344:                             ;   in Loop: Header=BB6_3280 Depth=4
	s_or_saveexec_b32 s39, s39
	v_mov_b32_e32 v36, s38
	s_xor_b32 exec_lo, exec_lo, s39
	s_cbranch_execnz .LBB6_3781
.LBB6_3345:                             ;   in Loop: Header=BB6_3280 Depth=4
	s_or_b32 exec_lo, exec_lo, s39
	s_and_saveexec_b32 s38, s14
	s_cbranch_execz .LBB6_3347
.LBB6_3346:                             ;   in Loop: Header=BB6_3280 Depth=4
	v_bfe_u32 v36, v8, 16, 3
	v_bfe_u32 v39, v8, 19, 4
	v_lshlrev_b32_e32 v48, 24, v33
	s_delay_alu instid0(VALU_DEP_3) | instskip(NEXT) | instid1(VALU_DEP_3)
	v_clz_i32_u32_e32 v37, v36
	v_cmp_eq_u32_e32 vcc_lo, 0, v39
	s_delay_alu instid0(VALU_DEP_2) | instskip(NEXT) | instid1(VALU_DEP_1)
	v_min_u32_e32 v37, 32, v37
	v_subrev_nc_u32_e32 v38, 28, v37
	v_sub_nc_u32_e32 v37, 29, v37
	s_delay_alu instid0(VALU_DEP_2) | instskip(NEXT) | instid1(VALU_DEP_1)
	v_lshlrev_b32_e32 v38, v38, v33
	v_dual_cndmask_b32 v37, v39, v37 :: v_dual_and_b32 v38, 7, v38
	s_delay_alu instid0(VALU_DEP_1) | instskip(NEXT) | instid1(VALU_DEP_2)
	v_lshl_add_u32 v37, v37, 23, 0x3b800000
	v_cndmask_b32_e32 v36, v36, v38, vcc_lo
	v_and_b32_e32 v38, 0x80000000, v48
	s_delay_alu instid0(VALU_DEP_2) | instskip(NEXT) | instid1(VALU_DEP_1)
	v_lshlrev_b32_e32 v36, 20, v36
	v_or3_b32 v36, v38, v37, v36
.LBB6_3347:                             ;   in Loop: Header=BB6_3280 Depth=4
	s_or_b32 exec_lo, exec_lo, s38
	s_delay_alu instid0(VALU_DEP_1) | instskip(SKIP_1) | instid1(VALU_DEP_1)
	v_dual_max_f32 v36, v36, v36 :: v_dual_max_f32 v35, v35, v35
	s_mov_b32 s14, 0
	v_max_f32_e32 v35, v35, v36
	s_branch .LBB6_3349
.LBB6_3348:                             ;   in Loop: Header=BB6_3280 Depth=4
	s_mov_b32 s14, -1
                                        ; implicit-def: $vgpr35
.LBB6_3349:                             ;   in Loop: Header=BB6_3280 Depth=4
	s_delay_alu instid0(SALU_CYCLE_1)
	s_and_b32 vcc_lo, exec_lo, s14
	s_cbranch_vccz .LBB6_3359
; %bb.3350:                             ;   in Loop: Header=BB6_3280 Depth=4
	v_and_b32_e32 v36, 0xff, v34
	s_mov_b32 s14, 0
	s_mov_b32 s39, exec_lo
                                        ; implicit-def: $sgpr38
	s_delay_alu instid0(VALU_DEP_1)
	v_cmpx_lt_i16_e32 0x7f, v36
	s_xor_b32 s39, exec_lo, s39
	s_cbranch_execnz .LBB6_3782
; %bb.3351:                             ;   in Loop: Header=BB6_3280 Depth=4
	s_or_saveexec_b32 s39, s39
	v_mov_b32_e32 v35, s38
	s_xor_b32 exec_lo, exec_lo, s39
	s_cbranch_execnz .LBB6_3785
.LBB6_3352:                             ;   in Loop: Header=BB6_3280 Depth=4
	s_or_b32 exec_lo, exec_lo, s39
	s_and_saveexec_b32 s38, s14
	s_cbranch_execz .LBB6_3354
.LBB6_3353:                             ;   in Loop: Header=BB6_3280 Depth=4
	v_bfe_u32 v35, v12, 16, 3
	v_bfe_u32 v38, v12, 19, 4
	s_delay_alu instid0(VALU_DEP_2) | instskip(NEXT) | instid1(VALU_DEP_2)
	v_clz_i32_u32_e32 v36, v35
	v_cmp_eq_u32_e32 vcc_lo, 0, v38
	s_delay_alu instid0(VALU_DEP_2) | instskip(NEXT) | instid1(VALU_DEP_1)
	v_min_u32_e32 v36, 32, v36
	v_subrev_nc_u32_e32 v37, 28, v36
	v_sub_nc_u32_e32 v36, 29, v36
	s_delay_alu instid0(VALU_DEP_1) | instskip(NEXT) | instid1(VALU_DEP_1)
	v_dual_cndmask_b32 v36, v38, v36 :: v_dual_lshlrev_b32 v37, v37, v34
	v_and_b32_e32 v37, 7, v37
	v_lshlrev_b32_e32 v34, 24, v34
	s_delay_alu instid0(VALU_DEP_3) | instskip(NEXT) | instid1(VALU_DEP_2)
	v_lshl_add_u32 v36, v36, 23, 0x3b800000
	v_dual_cndmask_b32 v35, v35, v37 :: v_dual_and_b32 v34, 0x80000000, v34
	s_delay_alu instid0(VALU_DEP_1) | instskip(NEXT) | instid1(VALU_DEP_1)
	v_lshlrev_b32_e32 v35, 20, v35
	v_or3_b32 v35, v34, v36, v35
.LBB6_3354:                             ;   in Loop: Header=BB6_3280 Depth=4
	s_or_b32 exec_lo, exec_lo, s38
	v_and_b32_e32 v36, 0xff, v33
	s_mov_b32 s14, 0
	s_mov_b32 s39, exec_lo
                                        ; implicit-def: $sgpr38
	s_delay_alu instid0(VALU_DEP_1)
	v_cmpx_lt_i16_e32 0x7f, v36
	s_xor_b32 s39, exec_lo, s39
	s_cbranch_execnz .LBB6_3786
; %bb.3355:                             ;   in Loop: Header=BB6_3280 Depth=4
	s_or_saveexec_b32 s39, s39
	v_mov_b32_e32 v34, s38
	s_xor_b32 exec_lo, exec_lo, s39
	s_cbranch_execnz .LBB6_3789
.LBB6_3356:                             ;   in Loop: Header=BB6_3280 Depth=4
	s_or_b32 exec_lo, exec_lo, s39
	s_and_saveexec_b32 s38, s14
	s_cbranch_execz .LBB6_3358
.LBB6_3357:                             ;   in Loop: Header=BB6_3280 Depth=4
	v_bfe_u32 v34, v8, 16, 3
	v_bfe_u32 v38, v8, 19, 4
	s_delay_alu instid0(VALU_DEP_2) | instskip(NEXT) | instid1(VALU_DEP_2)
	v_clz_i32_u32_e32 v36, v34
	v_cmp_eq_u32_e32 vcc_lo, 0, v38
	s_delay_alu instid0(VALU_DEP_2) | instskip(NEXT) | instid1(VALU_DEP_1)
	v_min_u32_e32 v36, 32, v36
	v_subrev_nc_u32_e32 v37, 28, v36
	v_sub_nc_u32_e32 v36, 29, v36
	s_delay_alu instid0(VALU_DEP_1) | instskip(SKIP_1) | instid1(VALU_DEP_2)
	v_dual_cndmask_b32 v36, v38, v36 :: v_dual_lshlrev_b32 v37, v37, v33
	v_lshlrev_b32_e32 v33, 24, v33
	v_and_b32_e32 v37, 7, v37
	s_delay_alu instid0(VALU_DEP_3) | instskip(NEXT) | instid1(VALU_DEP_3)
	v_lshl_add_u32 v36, v36, 23, 0x3b800000
	v_and_b32_e32 v33, 0x80000000, v33
	s_delay_alu instid0(VALU_DEP_3) | instskip(NEXT) | instid1(VALU_DEP_1)
	v_cndmask_b32_e32 v34, v34, v37, vcc_lo
	v_lshlrev_b32_e32 v34, 20, v34
	s_delay_alu instid0(VALU_DEP_1)
	v_or3_b32 v34, v33, v36, v34
.LBB6_3358:                             ;   in Loop: Header=BB6_3280 Depth=4
	s_or_b32 exec_lo, exec_lo, s38
	s_delay_alu instid0(VALU_DEP_1) | instskip(NEXT) | instid1(VALU_DEP_1)
	v_dual_max_f32 v33, v34, v34 :: v_dual_max_f32 v34, v35, v35
	v_min_f32_e32 v35, v34, v33
.LBB6_3359:                             ;   in Loop: Header=BB6_3280 Depth=4
	s_delay_alu instid0(VALU_DEP_1) | instskip(NEXT) | instid1(VALU_DEP_1)
	v_and_b32_e32 v33, 0x7f800000, v35
	v_cmp_ne_u32_e32 vcc_lo, 0x7f800000, v33
	v_mov_b32_e32 v33, 0x80
	s_and_saveexec_b32 s38, vcc_lo
	s_cbranch_execz .LBB6_3367
; %bb.3360:                             ;   in Loop: Header=BB6_3280 Depth=4
	v_mov_b32_e32 v33, 0
	s_mov_b32 s39, exec_lo
	v_cmpx_ne_u32_e32 0, v35
	s_cbranch_execz .LBB6_3366
; %bb.3361:                             ;   in Loop: Header=BB6_3280 Depth=4
	v_bfe_u32 v33, v35, 23, 8
	v_and_b32_e32 v34, 0x7fffff, v35
	s_delay_alu instid0(VALU_DEP_2) | instskip(SKIP_1) | instid1(VALU_DEP_3)
	v_sub_nc_u32_e32 v36, 0x78, v33
	v_cmp_gt_u32_e32 vcc_lo, 0x79, v33
	v_or_b32_e32 v37, 0x800000, v34
	s_delay_alu instid0(VALU_DEP_3) | instskip(SKIP_2) | instid1(VALU_DEP_3)
	v_cndmask_b32_e32 v36, 0, v36, vcc_lo
	v_cmp_eq_u32_e32 vcc_lo, 0, v33
	v_add_nc_u32_e32 v33, 0xffffff89, v33
	v_cndmask_b32_e64 v36, v36, 0x77, vcc_lo
	v_cndmask_b32_e32 v34, v37, v34, vcc_lo
	s_delay_alu instid0(VALU_DEP_3) | instskip(NEXT) | instid1(VALU_DEP_3)
	v_cndmask_b32_e64 v33, v33, 0xffffff8a, vcc_lo
	v_lshl_add_u32 v37, 0x100000, v36, -1
	s_delay_alu instid0(VALU_DEP_3) | instskip(SKIP_1) | instid1(VALU_DEP_4)
	v_lshrrev_b32_e32 v38, v36, v34
	v_lshlrev_b32_e64 v48, v36, 0x80000
	v_add_nc_u32_e32 v36, v36, v33
	s_delay_alu instid0(VALU_DEP_4) | instskip(NEXT) | instid1(VALU_DEP_4)
	v_and_b32_e32 v34, v37, v34
	v_bfe_u32 v39, v38, 20, 1
	s_delay_alu instid0(VALU_DEP_2) | instskip(NEXT) | instid1(VALU_DEP_2)
	v_cmp_eq_u32_e64 s14, v34, v48
	v_add_nc_u32_e32 v37, -1, v39
	s_delay_alu instid0(VALU_DEP_1) | instskip(SKIP_2) | instid1(VALU_DEP_2)
	v_cndmask_b32_e64 v34, 0, v37, s14
	v_lshrrev_b32_e32 v37, 23, v38
	s_mov_b32 s14, exec_lo
	v_add_nc_u32_e32 v34, v34, v38
	s_delay_alu instid0(VALU_DEP_2) | instskip(NEXT) | instid1(VALU_DEP_2)
	v_xor_b32_e32 v37, 1, v37
	v_and_b32_e32 v33, 0xfffff, v34
	s_delay_alu instid0(VALU_DEP_1) | instskip(NEXT) | instid1(VALU_DEP_3)
	v_add_nc_u32_e32 v34, v33, v38
                                        ; implicit-def: $vgpr33
	v_cmpx_ne_u32_e64 v36, v37
	s_xor_b32 s14, exec_lo, s14
; %bb.3362:                             ;   in Loop: Header=BB6_3280 Depth=4
	s_delay_alu instid0(VALU_DEP_2) | instskip(SKIP_2) | instid1(VALU_DEP_2)
	v_cmp_lt_u32_e32 vcc_lo, 0xffffff, v34
	v_sub_nc_u32_e32 v33, v36, v37
	v_cndmask_b32_e64 v36, 0, 1, vcc_lo
	v_add_co_ci_u32_e32 v33, vcc_lo, 0, v33, vcc_lo
	s_delay_alu instid0(VALU_DEP_2)
	v_lshrrev_b32_e32 v34, v36, v34
; %bb.3363:                             ;   in Loop: Header=BB6_3280 Depth=4
	s_and_not1_saveexec_b32 s14, s14
; %bb.3364:                             ;   in Loop: Header=BB6_3280 Depth=4
	s_delay_alu instid0(VALU_DEP_1)
	v_bfe_u32 v33, v34, 23, 1
; %bb.3365:                             ;   in Loop: Header=BB6_3280 Depth=4
	s_or_b32 exec_lo, exec_lo, s14
	v_lshrrev_b32_e32 v34, 20, v34
	s_delay_alu instid0(VALU_DEP_2) | instskip(SKIP_2) | instid1(VALU_DEP_2)
	v_cmp_gt_i32_e32 vcc_lo, 16, v33
	v_lshrrev_b32_e32 v35, 24, v35
	v_min_i32_e32 v36, 15, v33
	v_dual_cndmask_b32 v34, 7, v34 :: v_dual_and_b32 v35, 0x80, v35
	s_delay_alu instid0(VALU_DEP_1) | instskip(SKIP_1) | instid1(VALU_DEP_2)
	v_or_b32_e32 v33, v33, v34
	v_and_b32_e32 v37, 7, v34
	v_cmp_ne_u32_e32 vcc_lo, 0, v33
	v_lshlrev_b32_e32 v36, 3, v36
	s_delay_alu instid0(VALU_DEP_1) | instskip(NEXT) | instid1(VALU_DEP_1)
	v_or3_b32 v34, v36, v35, v37
	v_cndmask_b32_e32 v33, 0, v34, vcc_lo
.LBB6_3366:                             ;   in Loop: Header=BB6_3280 Depth=4
	s_or_b32 exec_lo, exec_lo, s39
.LBB6_3367:                             ;   in Loop: Header=BB6_3280 Depth=4
	s_delay_alu instid0(SALU_CYCLE_1)
	s_or_b32 exec_lo, exec_lo, s38
	v_lshrrev_b32_e32 v35, 24, v12
	v_lshrrev_b32_e32 v34, 24, v8
	s_and_b32 vcc_lo, exec_lo, s37
	s_cbranch_vccz .LBB6_3377
; %bb.3368:                             ;   in Loop: Header=BB6_3280 Depth=4
	s_mov_b32 s14, 0
	s_mov_b32 s39, exec_lo
                                        ; implicit-def: $sgpr38
	v_cmpx_lt_i16_e32 0x7f, v35
	s_xor_b32 s39, exec_lo, s39
	s_cbranch_execnz .LBB6_3790
; %bb.3369:                             ;   in Loop: Header=BB6_3280 Depth=4
	s_or_saveexec_b32 s39, s39
	v_mov_b32_e32 v36, s38
	s_xor_b32 exec_lo, exec_lo, s39
	s_cbranch_execnz .LBB6_3793
.LBB6_3370:                             ;   in Loop: Header=BB6_3280 Depth=4
	s_or_b32 exec_lo, exec_lo, s39
	s_and_saveexec_b32 s38, s14
	s_cbranch_execz .LBB6_3372
.LBB6_3371:                             ;   in Loop: Header=BB6_3280 Depth=4
	v_bfe_u32 v36, v12, 24, 3
	v_bfe_u32 v39, v12, 27, 4
	s_delay_alu instid0(VALU_DEP_2) | instskip(NEXT) | instid1(VALU_DEP_2)
	v_clz_i32_u32_e32 v37, v36
	v_cmp_eq_u32_e32 vcc_lo, 0, v39
	s_delay_alu instid0(VALU_DEP_2) | instskip(NEXT) | instid1(VALU_DEP_1)
	v_min_u32_e32 v37, 32, v37
	v_subrev_nc_u32_e32 v38, 28, v37
	v_sub_nc_u32_e32 v37, 29, v37
	s_delay_alu instid0(VALU_DEP_1) | instskip(NEXT) | instid1(VALU_DEP_1)
	v_dual_cndmask_b32 v37, v39, v37 :: v_dual_lshlrev_b32 v38, v38, v35
	v_and_b32_e32 v38, 7, v38
	s_delay_alu instid0(VALU_DEP_2) | instskip(NEXT) | instid1(VALU_DEP_2)
	v_lshl_add_u32 v37, v37, 23, 0x3b800000
	v_cndmask_b32_e32 v36, v36, v38, vcc_lo
	v_and_b32_e32 v38, 0x80000000, v12
	s_delay_alu instid0(VALU_DEP_2) | instskip(NEXT) | instid1(VALU_DEP_1)
	v_lshlrev_b32_e32 v36, 20, v36
	v_or3_b32 v36, v38, v37, v36
.LBB6_3372:                             ;   in Loop: Header=BB6_3280 Depth=4
	s_or_b32 exec_lo, exec_lo, s38
	s_mov_b32 s14, 0
	s_mov_b32 s39, exec_lo
                                        ; implicit-def: $sgpr38
	v_cmpx_lt_i16_e32 0x7f, v34
	s_xor_b32 s39, exec_lo, s39
	s_cbranch_execnz .LBB6_3794
; %bb.3373:                             ;   in Loop: Header=BB6_3280 Depth=4
	s_or_saveexec_b32 s39, s39
	v_mov_b32_e32 v37, s38
	s_xor_b32 exec_lo, exec_lo, s39
	s_cbranch_execnz .LBB6_3797
.LBB6_3374:                             ;   in Loop: Header=BB6_3280 Depth=4
	s_or_b32 exec_lo, exec_lo, s39
	s_and_saveexec_b32 s38, s14
	s_cbranch_execz .LBB6_3376
.LBB6_3375:                             ;   in Loop: Header=BB6_3280 Depth=4
	v_bfe_u32 v37, v8, 24, 3
	v_bfe_u32 v48, v8, 27, 4
	s_delay_alu instid0(VALU_DEP_2) | instskip(NEXT) | instid1(VALU_DEP_2)
	v_clz_i32_u32_e32 v38, v37
	v_cmp_eq_u32_e32 vcc_lo, 0, v48
	s_delay_alu instid0(VALU_DEP_2) | instskip(NEXT) | instid1(VALU_DEP_1)
	v_min_u32_e32 v38, 32, v38
	v_subrev_nc_u32_e32 v39, 28, v38
	v_sub_nc_u32_e32 v38, 29, v38
	s_delay_alu instid0(VALU_DEP_2) | instskip(NEXT) | instid1(VALU_DEP_1)
	v_lshlrev_b32_e32 v39, v39, v34
	v_dual_cndmask_b32 v38, v48, v38 :: v_dual_and_b32 v39, 7, v39
	s_delay_alu instid0(VALU_DEP_1) | instskip(NEXT) | instid1(VALU_DEP_2)
	v_lshl_add_u32 v38, v38, 23, 0x3b800000
	v_cndmask_b32_e32 v37, v37, v39, vcc_lo
	v_and_b32_e32 v39, 0x80000000, v8
	s_delay_alu instid0(VALU_DEP_2) | instskip(NEXT) | instid1(VALU_DEP_1)
	v_lshlrev_b32_e32 v37, 20, v37
	v_or3_b32 v37, v39, v38, v37
.LBB6_3376:                             ;   in Loop: Header=BB6_3280 Depth=4
	s_or_b32 exec_lo, exec_lo, s38
	s_delay_alu instid0(VALU_DEP_1) | instskip(SKIP_1) | instid1(VALU_DEP_1)
	v_dual_max_f32 v37, v37, v37 :: v_dual_max_f32 v36, v36, v36
	s_mov_b32 s14, 0
	v_max_f32_e32 v36, v36, v37
	s_branch .LBB6_3378
.LBB6_3377:                             ;   in Loop: Header=BB6_3280 Depth=4
	s_mov_b32 s14, -1
                                        ; implicit-def: $vgpr36
.LBB6_3378:                             ;   in Loop: Header=BB6_3280 Depth=4
	s_delay_alu instid0(SALU_CYCLE_1)
	s_and_b32 vcc_lo, exec_lo, s14
	s_cbranch_vccz .LBB6_3388
; %bb.3379:                             ;   in Loop: Header=BB6_3280 Depth=4
	s_mov_b32 s14, 0
	s_mov_b32 s39, exec_lo
                                        ; implicit-def: $sgpr38
	v_cmpx_lt_i16_e32 0x7f, v35
	s_xor_b32 s39, exec_lo, s39
	s_cbranch_execnz .LBB6_3798
; %bb.3380:                             ;   in Loop: Header=BB6_3280 Depth=4
	s_or_saveexec_b32 s39, s39
	v_mov_b32_e32 v36, s38
	s_xor_b32 exec_lo, exec_lo, s39
	s_cbranch_execnz .LBB6_3801
.LBB6_3381:                             ;   in Loop: Header=BB6_3280 Depth=4
	s_or_b32 exec_lo, exec_lo, s39
	s_and_saveexec_b32 s38, s14
	s_cbranch_execz .LBB6_3383
.LBB6_3382:                             ;   in Loop: Header=BB6_3280 Depth=4
	v_bfe_u32 v36, v12, 24, 3
	s_delay_alu instid0(VALU_DEP_1) | instskip(NEXT) | instid1(VALU_DEP_1)
	v_clz_i32_u32_e32 v37, v36
	v_min_u32_e32 v37, 32, v37
	s_delay_alu instid0(VALU_DEP_1) | instskip(SKIP_1) | instid1(VALU_DEP_2)
	v_subrev_nc_u32_e32 v38, 28, v37
	v_sub_nc_u32_e32 v37, 29, v37
	v_lshlrev_b32_e32 v35, v38, v35
	v_bfe_u32 v38, v12, 27, 4
	v_and_b32_e32 v12, 0x80000000, v12
	s_delay_alu instid0(VALU_DEP_3) | instskip(NEXT) | instid1(VALU_DEP_3)
	v_and_b32_e32 v35, 7, v35
	v_cmp_eq_u32_e32 vcc_lo, 0, v38
	v_cndmask_b32_e32 v37, v38, v37, vcc_lo
	s_delay_alu instid0(VALU_DEP_3) | instskip(NEXT) | instid1(VALU_DEP_2)
	v_cndmask_b32_e32 v35, v36, v35, vcc_lo
	v_lshl_add_u32 v36, v37, 23, 0x3b800000
	s_delay_alu instid0(VALU_DEP_2) | instskip(NEXT) | instid1(VALU_DEP_1)
	v_lshlrev_b32_e32 v35, 20, v35
	v_or3_b32 v36, v12, v36, v35
.LBB6_3383:                             ;   in Loop: Header=BB6_3280 Depth=4
	s_or_b32 exec_lo, exec_lo, s38
	s_mov_b32 s14, 0
	s_mov_b32 s39, exec_lo
                                        ; implicit-def: $sgpr38
	v_cmpx_lt_i16_e32 0x7f, v34
	s_xor_b32 s39, exec_lo, s39
	s_cbranch_execnz .LBB6_3802
; %bb.3384:                             ;   in Loop: Header=BB6_3280 Depth=4
	s_or_saveexec_b32 s39, s39
	v_mov_b32_e32 v12, s38
	s_xor_b32 exec_lo, exec_lo, s39
	s_cbranch_execnz .LBB6_3805
.LBB6_3385:                             ;   in Loop: Header=BB6_3280 Depth=4
	s_or_b32 exec_lo, exec_lo, s39
	s_and_saveexec_b32 s38, s14
	s_cbranch_execz .LBB6_3387
.LBB6_3386:                             ;   in Loop: Header=BB6_3280 Depth=4
	v_bfe_u32 v12, v8, 24, 3
	s_delay_alu instid0(VALU_DEP_1) | instskip(NEXT) | instid1(VALU_DEP_1)
	v_clz_i32_u32_e32 v35, v12
	v_min_u32_e32 v35, 32, v35
	s_delay_alu instid0(VALU_DEP_1) | instskip(SKIP_1) | instid1(VALU_DEP_2)
	v_subrev_nc_u32_e32 v37, 28, v35
	v_sub_nc_u32_e32 v35, 29, v35
	v_lshlrev_b32_e32 v34, v37, v34
	v_bfe_u32 v37, v8, 27, 4
	v_and_b32_e32 v8, 0x80000000, v8
	s_delay_alu instid0(VALU_DEP_2) | instskip(NEXT) | instid1(VALU_DEP_4)
	v_cmp_eq_u32_e32 vcc_lo, 0, v37
	v_dual_cndmask_b32 v35, v37, v35 :: v_dual_and_b32 v34, 7, v34
	s_delay_alu instid0(VALU_DEP_1) | instskip(NEXT) | instid1(VALU_DEP_2)
	v_cndmask_b32_e32 v12, v12, v34, vcc_lo
	v_lshl_add_u32 v34, v35, 23, 0x3b800000
	s_delay_alu instid0(VALU_DEP_2) | instskip(NEXT) | instid1(VALU_DEP_1)
	v_lshlrev_b32_e32 v12, 20, v12
	v_or3_b32 v12, v8, v34, v12
.LBB6_3387:                             ;   in Loop: Header=BB6_3280 Depth=4
	s_or_b32 exec_lo, exec_lo, s38
	s_delay_alu instid0(VALU_DEP_1) | instskip(SKIP_1) | instid1(VALU_DEP_1)
	v_max_f32_e32 v8, v12, v12
	v_max_f32_e32 v12, v36, v36
	v_min_f32_e32 v36, v12, v8
.LBB6_3388:                             ;   in Loop: Header=BB6_3280 Depth=4
	s_delay_alu instid0(VALU_DEP_1) | instskip(NEXT) | instid1(VALU_DEP_1)
	v_and_b32_e32 v8, 0x7f800000, v36
	v_cmp_ne_u32_e32 vcc_lo, 0x7f800000, v8
	v_mov_b32_e32 v8, 0x80
	s_and_saveexec_b32 s38, vcc_lo
	s_cbranch_execz .LBB6_3396
; %bb.3389:                             ;   in Loop: Header=BB6_3280 Depth=4
	v_mov_b32_e32 v8, 0
	s_mov_b32 s39, exec_lo
	v_cmpx_ne_u32_e32 0, v36
	s_cbranch_execz .LBB6_3395
; %bb.3390:                             ;   in Loop: Header=BB6_3280 Depth=4
	v_bfe_u32 v8, v36, 23, 8
	v_and_b32_e32 v12, 0x7fffff, v36
	s_delay_alu instid0(VALU_DEP_2) | instskip(SKIP_1) | instid1(VALU_DEP_3)
	v_sub_nc_u32_e32 v34, 0x78, v8
	v_cmp_gt_u32_e32 vcc_lo, 0x79, v8
	v_or_b32_e32 v35, 0x800000, v12
	s_delay_alu instid0(VALU_DEP_3) | instskip(SKIP_2) | instid1(VALU_DEP_3)
	v_cndmask_b32_e32 v34, 0, v34, vcc_lo
	v_cmp_eq_u32_e32 vcc_lo, 0, v8
	v_add_nc_u32_e32 v8, 0xffffff89, v8
	v_cndmask_b32_e64 v34, v34, 0x77, vcc_lo
	v_cndmask_b32_e32 v12, v35, v12, vcc_lo
	s_delay_alu instid0(VALU_DEP_3) | instskip(NEXT) | instid1(VALU_DEP_3)
	v_cndmask_b32_e64 v8, v8, 0xffffff8a, vcc_lo
	v_lshl_add_u32 v35, 0x100000, v34, -1
	s_delay_alu instid0(VALU_DEP_3) | instskip(SKIP_1) | instid1(VALU_DEP_4)
	v_lshrrev_b32_e32 v37, v34, v12
	v_lshlrev_b32_e64 v39, v34, 0x80000
	v_add_nc_u32_e32 v34, v34, v8
	s_delay_alu instid0(VALU_DEP_4) | instskip(NEXT) | instid1(VALU_DEP_4)
	v_and_b32_e32 v12, v35, v12
	v_bfe_u32 v38, v37, 20, 1
	s_delay_alu instid0(VALU_DEP_2) | instskip(NEXT) | instid1(VALU_DEP_2)
	v_cmp_eq_u32_e64 s14, v12, v39
	v_add_nc_u32_e32 v35, -1, v38
	s_delay_alu instid0(VALU_DEP_1) | instskip(SKIP_2) | instid1(VALU_DEP_2)
	v_cndmask_b32_e64 v12, 0, v35, s14
	v_lshrrev_b32_e32 v35, 23, v37
	s_mov_b32 s14, exec_lo
	v_add_nc_u32_e32 v12, v12, v37
	s_delay_alu instid0(VALU_DEP_2) | instskip(NEXT) | instid1(VALU_DEP_2)
	v_xor_b32_e32 v35, 1, v35
	v_and_b32_e32 v8, 0xfffff, v12
	s_delay_alu instid0(VALU_DEP_1) | instskip(NEXT) | instid1(VALU_DEP_3)
	v_add_nc_u32_e32 v12, v8, v37
                                        ; implicit-def: $vgpr8
	v_cmpx_ne_u32_e64 v34, v35
	s_xor_b32 s14, exec_lo, s14
; %bb.3391:                             ;   in Loop: Header=BB6_3280 Depth=4
	s_delay_alu instid0(VALU_DEP_2) | instskip(SKIP_2) | instid1(VALU_DEP_2)
	v_cmp_lt_u32_e32 vcc_lo, 0xffffff, v12
	v_sub_nc_u32_e32 v8, v34, v35
	v_cndmask_b32_e64 v34, 0, 1, vcc_lo
	v_add_co_ci_u32_e32 v8, vcc_lo, 0, v8, vcc_lo
	s_delay_alu instid0(VALU_DEP_2)
	v_lshrrev_b32_e32 v12, v34, v12
; %bb.3392:                             ;   in Loop: Header=BB6_3280 Depth=4
	s_and_not1_saveexec_b32 s14, s14
; %bb.3393:                             ;   in Loop: Header=BB6_3280 Depth=4
	s_delay_alu instid0(VALU_DEP_1)
	v_bfe_u32 v8, v12, 23, 1
; %bb.3394:                             ;   in Loop: Header=BB6_3280 Depth=4
	s_or_b32 exec_lo, exec_lo, s14
	v_lshrrev_b32_e32 v12, 20, v12
	s_delay_alu instid0(VALU_DEP_2) | instskip(SKIP_2) | instid1(VALU_DEP_4)
	v_cmp_gt_i32_e32 vcc_lo, 16, v8
	v_lshrrev_b32_e32 v34, 24, v36
	v_min_i32_e32 v35, 15, v8
	v_cndmask_b32_e32 v12, 7, v12, vcc_lo
	s_delay_alu instid0(VALU_DEP_3) | instskip(NEXT) | instid1(VALU_DEP_3)
	v_and_b32_e32 v34, 0x80, v34
	v_lshlrev_b32_e32 v35, 3, v35
	s_delay_alu instid0(VALU_DEP_3) | instskip(SKIP_1) | instid1(VALU_DEP_2)
	v_and_b32_e32 v36, 7, v12
	v_or_b32_e32 v8, v8, v12
	v_or3_b32 v12, v35, v34, v36
	s_delay_alu instid0(VALU_DEP_2) | instskip(NEXT) | instid1(VALU_DEP_2)
	v_cmp_ne_u32_e32 vcc_lo, 0, v8
	v_cndmask_b32_e32 v8, 0, v12, vcc_lo
.LBB6_3395:                             ;   in Loop: Header=BB6_3280 Depth=4
	s_or_b32 exec_lo, exec_lo, s39
.LBB6_3396:                             ;   in Loop: Header=BB6_3280 Depth=4
	s_delay_alu instid0(SALU_CYCLE_1) | instskip(NEXT) | instid1(SALU_CYCLE_1)
	s_or_b32 exec_lo, exec_lo, s38
	s_and_b32 vcc_lo, exec_lo, s37
	s_cbranch_vccz .LBB6_3406
; %bb.3397:                             ;   in Loop: Header=BB6_3280 Depth=4
	v_and_b32_e32 v34, 0xff, v13
	s_mov_b32 s14, 0
	s_mov_b32 s39, exec_lo
                                        ; implicit-def: $sgpr38
	s_delay_alu instid0(VALU_DEP_1)
	v_cmpx_lt_i16_e32 0x7f, v34
	s_xor_b32 s39, exec_lo, s39
	s_cbranch_execnz .LBB6_3806
; %bb.3398:                             ;   in Loop: Header=BB6_3280 Depth=4
	s_or_saveexec_b32 s39, s39
	v_mov_b32_e32 v12, s38
	s_xor_b32 exec_lo, exec_lo, s39
	s_cbranch_execnz .LBB6_3809
.LBB6_3399:                             ;   in Loop: Header=BB6_3280 Depth=4
	s_or_b32 exec_lo, exec_lo, s39
	s_and_saveexec_b32 s38, s14
	s_cbranch_execz .LBB6_3401
.LBB6_3400:                             ;   in Loop: Header=BB6_3280 Depth=4
	v_and_b32_e32 v12, 7, v13
	v_bfe_u32 v36, v13, 3, 4
	s_delay_alu instid0(VALU_DEP_2) | instskip(NEXT) | instid1(VALU_DEP_2)
	v_clz_i32_u32_e32 v34, v12
	v_cmp_eq_u32_e32 vcc_lo, 0, v36
	s_delay_alu instid0(VALU_DEP_2) | instskip(NEXT) | instid1(VALU_DEP_1)
	v_min_u32_e32 v34, 32, v34
	v_subrev_nc_u32_e32 v35, 28, v34
	v_sub_nc_u32_e32 v34, 29, v34
	s_delay_alu instid0(VALU_DEP_1) | instskip(NEXT) | instid1(VALU_DEP_1)
	v_dual_cndmask_b32 v34, v36, v34 :: v_dual_lshlrev_b32 v35, v35, v13
	v_and_b32_e32 v35, 7, v35
	v_lshlrev_b32_e32 v37, 24, v13
	s_delay_alu instid0(VALU_DEP_3) | instskip(NEXT) | instid1(VALU_DEP_2)
	v_lshl_add_u32 v34, v34, 23, 0x3b800000
	v_dual_cndmask_b32 v12, v12, v35 :: v_dual_and_b32 v35, 0x80000000, v37
	s_delay_alu instid0(VALU_DEP_1) | instskip(NEXT) | instid1(VALU_DEP_1)
	v_lshlrev_b32_e32 v12, 20, v12
	v_or3_b32 v12, v35, v34, v12
.LBB6_3401:                             ;   in Loop: Header=BB6_3280 Depth=4
	s_or_b32 exec_lo, exec_lo, s38
	v_and_b32_e32 v35, 0xff, v9
	s_mov_b32 s14, 0
	s_mov_b32 s39, exec_lo
                                        ; implicit-def: $sgpr38
	s_delay_alu instid0(VALU_DEP_1)
	v_cmpx_lt_i16_e32 0x7f, v35
	s_xor_b32 s39, exec_lo, s39
	s_cbranch_execnz .LBB6_3810
; %bb.3402:                             ;   in Loop: Header=BB6_3280 Depth=4
	s_or_saveexec_b32 s39, s39
	v_mov_b32_e32 v34, s38
	s_xor_b32 exec_lo, exec_lo, s39
	s_cbranch_execnz .LBB6_3813
.LBB6_3403:                             ;   in Loop: Header=BB6_3280 Depth=4
	s_or_b32 exec_lo, exec_lo, s39
	s_and_saveexec_b32 s38, s14
	s_cbranch_execz .LBB6_3405
.LBB6_3404:                             ;   in Loop: Header=BB6_3280 Depth=4
	v_bfe_u32 v37, v9, 3, 4
	v_lshlrev_b32_e32 v38, 24, v9
	s_delay_alu instid0(VALU_DEP_2) | instskip(SKIP_1) | instid1(VALU_DEP_1)
	v_cmp_eq_u32_e32 vcc_lo, 0, v37
	v_and_b32_e32 v34, 7, v9
	v_clz_i32_u32_e32 v35, v34
	s_delay_alu instid0(VALU_DEP_1) | instskip(NEXT) | instid1(VALU_DEP_1)
	v_min_u32_e32 v35, 32, v35
	v_subrev_nc_u32_e32 v36, 28, v35
	v_sub_nc_u32_e32 v35, 29, v35
	s_delay_alu instid0(VALU_DEP_1) | instskip(NEXT) | instid1(VALU_DEP_1)
	v_dual_cndmask_b32 v35, v37, v35 :: v_dual_lshlrev_b32 v36, v36, v9
	v_and_b32_e32 v36, 7, v36
	s_delay_alu instid0(VALU_DEP_2) | instskip(NEXT) | instid1(VALU_DEP_2)
	v_lshl_add_u32 v35, v35, 23, 0x3b800000
	v_cndmask_b32_e32 v34, v34, v36, vcc_lo
	v_and_b32_e32 v36, 0x80000000, v38
	s_delay_alu instid0(VALU_DEP_2) | instskip(NEXT) | instid1(VALU_DEP_1)
	v_lshlrev_b32_e32 v34, 20, v34
	v_or3_b32 v34, v36, v35, v34
.LBB6_3405:                             ;   in Loop: Header=BB6_3280 Depth=4
	s_or_b32 exec_lo, exec_lo, s38
	s_delay_alu instid0(VALU_DEP_1) | instskip(SKIP_2) | instid1(VALU_DEP_1)
	v_max_f32_e32 v34, v34, v34
	v_max_f32_e32 v12, v12, v12
	s_mov_b32 s14, 0
	v_max_f32_e32 v34, v12, v34
	s_branch .LBB6_3407
.LBB6_3406:                             ;   in Loop: Header=BB6_3280 Depth=4
	s_mov_b32 s14, -1
                                        ; implicit-def: $vgpr34
.LBB6_3407:                             ;   in Loop: Header=BB6_3280 Depth=4
	s_delay_alu instid0(SALU_CYCLE_1)
	s_and_b32 vcc_lo, exec_lo, s14
	s_cbranch_vccz .LBB6_3417
; %bb.3408:                             ;   in Loop: Header=BB6_3280 Depth=4
	v_and_b32_e32 v34, 0xff, v13
	s_mov_b32 s14, 0
	s_mov_b32 s39, exec_lo
                                        ; implicit-def: $sgpr38
	s_delay_alu instid0(VALU_DEP_1)
	v_cmpx_lt_i16_e32 0x7f, v34
	s_xor_b32 s39, exec_lo, s39
	s_cbranch_execnz .LBB6_3814
; %bb.3409:                             ;   in Loop: Header=BB6_3280 Depth=4
	s_or_saveexec_b32 s39, s39
	v_mov_b32_e32 v12, s38
	s_xor_b32 exec_lo, exec_lo, s39
	s_cbranch_execnz .LBB6_3817
.LBB6_3410:                             ;   in Loop: Header=BB6_3280 Depth=4
	s_or_b32 exec_lo, exec_lo, s39
	s_and_saveexec_b32 s38, s14
	s_cbranch_execz .LBB6_3412
.LBB6_3411:                             ;   in Loop: Header=BB6_3280 Depth=4
	v_and_b32_e32 v12, 7, v13
	v_bfe_u32 v36, v13, 3, 4
	s_delay_alu instid0(VALU_DEP_2) | instskip(NEXT) | instid1(VALU_DEP_2)
	v_clz_i32_u32_e32 v34, v12
	v_cmp_eq_u32_e32 vcc_lo, 0, v36
	s_delay_alu instid0(VALU_DEP_2) | instskip(NEXT) | instid1(VALU_DEP_1)
	v_min_u32_e32 v34, 32, v34
	v_subrev_nc_u32_e32 v35, 28, v34
	v_sub_nc_u32_e32 v34, 29, v34
	s_delay_alu instid0(VALU_DEP_1) | instskip(NEXT) | instid1(VALU_DEP_1)
	v_dual_cndmask_b32 v34, v36, v34 :: v_dual_lshlrev_b32 v35, v35, v13
	v_and_b32_e32 v35, 7, v35
	v_lshlrev_b32_e32 v37, 24, v13
	s_delay_alu instid0(VALU_DEP_3) | instskip(NEXT) | instid1(VALU_DEP_2)
	v_lshl_add_u32 v34, v34, 23, 0x3b800000
	v_dual_cndmask_b32 v12, v12, v35 :: v_dual_and_b32 v35, 0x80000000, v37
	s_delay_alu instid0(VALU_DEP_1) | instskip(NEXT) | instid1(VALU_DEP_1)
	v_lshlrev_b32_e32 v12, 20, v12
	v_or3_b32 v12, v35, v34, v12
.LBB6_3412:                             ;   in Loop: Header=BB6_3280 Depth=4
	s_or_b32 exec_lo, exec_lo, s38
	v_and_b32_e32 v35, 0xff, v9
	s_mov_b32 s14, 0
	s_mov_b32 s39, exec_lo
                                        ; implicit-def: $sgpr38
	s_delay_alu instid0(VALU_DEP_1)
	v_cmpx_lt_i16_e32 0x7f, v35
	s_xor_b32 s39, exec_lo, s39
	s_cbranch_execnz .LBB6_3818
; %bb.3413:                             ;   in Loop: Header=BB6_3280 Depth=4
	s_or_saveexec_b32 s39, s39
	v_mov_b32_e32 v34, s38
	s_xor_b32 exec_lo, exec_lo, s39
	s_cbranch_execnz .LBB6_3821
.LBB6_3414:                             ;   in Loop: Header=BB6_3280 Depth=4
	s_or_b32 exec_lo, exec_lo, s39
	s_and_saveexec_b32 s38, s14
	s_cbranch_execz .LBB6_3416
.LBB6_3415:                             ;   in Loop: Header=BB6_3280 Depth=4
	v_bfe_u32 v37, v9, 3, 4
	v_lshlrev_b32_e32 v38, 24, v9
	s_delay_alu instid0(VALU_DEP_2) | instskip(SKIP_1) | instid1(VALU_DEP_1)
	v_cmp_eq_u32_e32 vcc_lo, 0, v37
	v_and_b32_e32 v34, 7, v9
	v_clz_i32_u32_e32 v35, v34
	s_delay_alu instid0(VALU_DEP_1) | instskip(NEXT) | instid1(VALU_DEP_1)
	v_min_u32_e32 v35, 32, v35
	v_subrev_nc_u32_e32 v36, 28, v35
	v_sub_nc_u32_e32 v35, 29, v35
	s_delay_alu instid0(VALU_DEP_1) | instskip(NEXT) | instid1(VALU_DEP_1)
	v_dual_cndmask_b32 v35, v37, v35 :: v_dual_lshlrev_b32 v36, v36, v9
	v_and_b32_e32 v36, 7, v36
	s_delay_alu instid0(VALU_DEP_2) | instskip(NEXT) | instid1(VALU_DEP_2)
	v_lshl_add_u32 v35, v35, 23, 0x3b800000
	v_cndmask_b32_e32 v34, v34, v36, vcc_lo
	v_and_b32_e32 v36, 0x80000000, v38
	s_delay_alu instid0(VALU_DEP_2) | instskip(NEXT) | instid1(VALU_DEP_1)
	v_lshlrev_b32_e32 v34, 20, v34
	v_or3_b32 v34, v36, v35, v34
.LBB6_3416:                             ;   in Loop: Header=BB6_3280 Depth=4
	s_or_b32 exec_lo, exec_lo, s38
	s_delay_alu instid0(VALU_DEP_1) | instskip(SKIP_1) | instid1(VALU_DEP_1)
	v_max_f32_e32 v34, v34, v34
	v_max_f32_e32 v12, v12, v12
	v_min_f32_e32 v34, v12, v34
.LBB6_3417:                             ;   in Loop: Header=BB6_3280 Depth=4
	s_delay_alu instid0(VALU_DEP_1) | instskip(NEXT) | instid1(VALU_DEP_1)
	v_and_b32_e32 v12, 0x7f800000, v34
	v_cmp_ne_u32_e32 vcc_lo, 0x7f800000, v12
	v_mov_b32_e32 v12, 0x80
	s_and_saveexec_b32 s38, vcc_lo
	s_cbranch_execz .LBB6_3425
; %bb.3418:                             ;   in Loop: Header=BB6_3280 Depth=4
	v_mov_b32_e32 v12, 0
	s_mov_b32 s39, exec_lo
	v_cmpx_ne_u32_e32 0, v34
	s_cbranch_execz .LBB6_3424
; %bb.3419:                             ;   in Loop: Header=BB6_3280 Depth=4
	v_bfe_u32 v12, v34, 23, 8
	s_delay_alu instid0(VALU_DEP_1) | instskip(SKIP_1) | instid1(VALU_DEP_2)
	v_sub_nc_u32_e32 v36, 0x78, v12
	v_cmp_gt_u32_e32 vcc_lo, 0x79, v12
	v_dual_cndmask_b32 v36, 0, v36 :: v_dual_and_b32 v35, 0x7fffff, v34
	s_delay_alu instid0(VALU_DEP_1) | instskip(SKIP_2) | instid1(VALU_DEP_4)
	v_or_b32_e32 v37, 0x800000, v35
	v_cmp_eq_u32_e32 vcc_lo, 0, v12
	v_add_nc_u32_e32 v12, 0xffffff89, v12
	v_cndmask_b32_e64 v36, v36, 0x77, vcc_lo
	s_delay_alu instid0(VALU_DEP_4) | instskip(NEXT) | instid1(VALU_DEP_3)
	v_cndmask_b32_e32 v35, v37, v35, vcc_lo
	v_cndmask_b32_e64 v12, v12, 0xffffff8a, vcc_lo
	s_delay_alu instid0(VALU_DEP_3) | instskip(NEXT) | instid1(VALU_DEP_3)
	v_lshl_add_u32 v37, 0x100000, v36, -1
	v_lshrrev_b32_e32 v38, v36, v35
	v_lshlrev_b32_e64 v48, v36, 0x80000
	s_delay_alu instid0(VALU_DEP_4) | instskip(NEXT) | instid1(VALU_DEP_4)
	v_add_nc_u32_e32 v36, v36, v12
	v_and_b32_e32 v35, v37, v35
	s_delay_alu instid0(VALU_DEP_4) | instskip(NEXT) | instid1(VALU_DEP_2)
	v_bfe_u32 v39, v38, 20, 1
	v_cmp_eq_u32_e64 s14, v35, v48
	s_delay_alu instid0(VALU_DEP_2) | instskip(NEXT) | instid1(VALU_DEP_1)
	v_add_nc_u32_e32 v37, -1, v39
	v_cndmask_b32_e64 v35, 0, v37, s14
	v_lshrrev_b32_e32 v37, 23, v38
	s_mov_b32 s14, exec_lo
	s_delay_alu instid0(VALU_DEP_2) | instskip(NEXT) | instid1(VALU_DEP_2)
	v_add_nc_u32_e32 v35, v35, v38
	v_xor_b32_e32 v37, 1, v37
	s_delay_alu instid0(VALU_DEP_2) | instskip(NEXT) | instid1(VALU_DEP_1)
	v_and_b32_e32 v12, 0xfffff, v35
	v_add_nc_u32_e32 v35, v12, v38
                                        ; implicit-def: $vgpr12
	s_delay_alu instid0(VALU_DEP_3)
	v_cmpx_ne_u32_e64 v36, v37
	s_xor_b32 s14, exec_lo, s14
; %bb.3420:                             ;   in Loop: Header=BB6_3280 Depth=4
	s_delay_alu instid0(VALU_DEP_2) | instskip(SKIP_2) | instid1(VALU_DEP_2)
	v_cmp_lt_u32_e32 vcc_lo, 0xffffff, v35
	v_sub_nc_u32_e32 v12, v36, v37
	v_cndmask_b32_e64 v36, 0, 1, vcc_lo
	v_add_co_ci_u32_e32 v12, vcc_lo, 0, v12, vcc_lo
	s_delay_alu instid0(VALU_DEP_2)
	v_lshrrev_b32_e32 v35, v36, v35
; %bb.3421:                             ;   in Loop: Header=BB6_3280 Depth=4
	s_and_not1_saveexec_b32 s14, s14
; %bb.3422:                             ;   in Loop: Header=BB6_3280 Depth=4
	s_delay_alu instid0(VALU_DEP_1)
	v_bfe_u32 v12, v35, 23, 1
; %bb.3423:                             ;   in Loop: Header=BB6_3280 Depth=4
	s_or_b32 exec_lo, exec_lo, s14
	v_lshrrev_b32_e32 v35, 20, v35
	s_delay_alu instid0(VALU_DEP_2) | instskip(SKIP_2) | instid1(VALU_DEP_2)
	v_cmp_gt_i32_e32 vcc_lo, 16, v12
	v_lshrrev_b32_e32 v34, 24, v34
	v_min_i32_e32 v36, 15, v12
	v_dual_cndmask_b32 v35, 7, v35 :: v_dual_and_b32 v34, 0x80, v34
	s_delay_alu instid0(VALU_DEP_2) | instskip(NEXT) | instid1(VALU_DEP_2)
	v_lshlrev_b32_e32 v36, 3, v36
	v_or_b32_e32 v12, v12, v35
	s_delay_alu instid0(VALU_DEP_1) | instskip(SKIP_1) | instid1(VALU_DEP_1)
	v_cmp_ne_u32_e32 vcc_lo, 0, v12
	v_and_b32_e32 v37, 7, v35
	v_or3_b32 v34, v36, v34, v37
	s_delay_alu instid0(VALU_DEP_1)
	v_cndmask_b32_e32 v12, 0, v34, vcc_lo
.LBB6_3424:                             ;   in Loop: Header=BB6_3280 Depth=4
	s_or_b32 exec_lo, exec_lo, s39
.LBB6_3425:                             ;   in Loop: Header=BB6_3280 Depth=4
	s_delay_alu instid0(SALU_CYCLE_1)
	s_or_b32 exec_lo, exec_lo, s38
	v_lshrrev_b16 v35, 8, v13
	v_lshrrev_b16 v34, 8, v9
	s_and_b32 vcc_lo, exec_lo, s37
	s_cbranch_vccz .LBB6_3435
; %bb.3426:                             ;   in Loop: Header=BB6_3280 Depth=4
	s_mov_b32 s14, 0
	s_mov_b32 s39, exec_lo
                                        ; implicit-def: $sgpr38
	v_cmpx_lt_i16_e32 0x7f, v35
	s_xor_b32 s39, exec_lo, s39
	s_cbranch_execnz .LBB6_3822
; %bb.3427:                             ;   in Loop: Header=BB6_3280 Depth=4
	s_or_saveexec_b32 s39, s39
	v_mov_b32_e32 v36, s38
	s_xor_b32 exec_lo, exec_lo, s39
	s_cbranch_execnz .LBB6_3825
.LBB6_3428:                             ;   in Loop: Header=BB6_3280 Depth=4
	s_or_b32 exec_lo, exec_lo, s39
	s_and_saveexec_b32 s38, s14
	s_cbranch_execz .LBB6_3430
.LBB6_3429:                             ;   in Loop: Header=BB6_3280 Depth=4
	v_and_b32_e32 v36, 0xffff, v35
	s_delay_alu instid0(VALU_DEP_1) | instskip(NEXT) | instid1(VALU_DEP_1)
	v_and_b32_e32 v37, 7, v36
	v_clz_i32_u32_e32 v38, v37
	s_delay_alu instid0(VALU_DEP_1) | instskip(NEXT) | instid1(VALU_DEP_1)
	v_min_u32_e32 v38, 32, v38
	v_subrev_nc_u32_e32 v39, 28, v38
	v_sub_nc_u32_e32 v38, 29, v38
	s_delay_alu instid0(VALU_DEP_2) | instskip(SKIP_1) | instid1(VALU_DEP_2)
	v_lshlrev_b32_e32 v39, v39, v36
	v_bfe_u32 v36, v36, 3, 4
	v_and_b32_e32 v39, 7, v39
	s_delay_alu instid0(VALU_DEP_2) | instskip(SKIP_1) | instid1(VALU_DEP_3)
	v_cmp_eq_u32_e32 vcc_lo, 0, v36
	v_cndmask_b32_e32 v36, v36, v38, vcc_lo
	v_dual_cndmask_b32 v37, v37, v39 :: v_dual_lshlrev_b32 v48, 16, v13
	s_delay_alu instid0(VALU_DEP_2) | instskip(NEXT) | instid1(VALU_DEP_2)
	v_lshl_add_u32 v36, v36, 23, 0x3b800000
	v_and_b32_e32 v38, 0x80000000, v48
	s_delay_alu instid0(VALU_DEP_3) | instskip(NEXT) | instid1(VALU_DEP_1)
	v_lshlrev_b32_e32 v37, 20, v37
	v_or3_b32 v36, v38, v36, v37
.LBB6_3430:                             ;   in Loop: Header=BB6_3280 Depth=4
	s_or_b32 exec_lo, exec_lo, s38
	s_mov_b32 s14, 0
	s_mov_b32 s39, exec_lo
                                        ; implicit-def: $sgpr38
	v_cmpx_lt_i16_e32 0x7f, v34
	s_xor_b32 s39, exec_lo, s39
	s_cbranch_execnz .LBB6_3826
; %bb.3431:                             ;   in Loop: Header=BB6_3280 Depth=4
	s_or_saveexec_b32 s39, s39
	v_mov_b32_e32 v37, s38
	s_xor_b32 exec_lo, exec_lo, s39
	s_cbranch_execnz .LBB6_3829
.LBB6_3432:                             ;   in Loop: Header=BB6_3280 Depth=4
	s_or_b32 exec_lo, exec_lo, s39
	s_and_saveexec_b32 s38, s14
	s_cbranch_execz .LBB6_3434
.LBB6_3433:                             ;   in Loop: Header=BB6_3280 Depth=4
	v_and_b32_e32 v37, 0xffff, v34
	v_lshlrev_b32_e32 v49, 16, v9
	s_delay_alu instid0(VALU_DEP_2) | instskip(NEXT) | instid1(VALU_DEP_1)
	v_and_b32_e32 v38, 7, v37
	v_clz_i32_u32_e32 v39, v38
	s_delay_alu instid0(VALU_DEP_1) | instskip(NEXT) | instid1(VALU_DEP_1)
	v_min_u32_e32 v39, 32, v39
	v_subrev_nc_u32_e32 v48, 28, v39
	v_sub_nc_u32_e32 v39, 29, v39
	s_delay_alu instid0(VALU_DEP_2) | instskip(SKIP_1) | instid1(VALU_DEP_2)
	v_lshlrev_b32_e32 v48, v48, v37
	v_bfe_u32 v37, v37, 3, 4
	v_and_b32_e32 v48, 7, v48
	s_delay_alu instid0(VALU_DEP_2) | instskip(NEXT) | instid1(VALU_DEP_2)
	v_cmp_eq_u32_e32 vcc_lo, 0, v37
	v_dual_cndmask_b32 v37, v37, v39 :: v_dual_cndmask_b32 v38, v38, v48
	v_and_b32_e32 v39, 0x80000000, v49
	s_delay_alu instid0(VALU_DEP_2) | instskip(NEXT) | instid1(VALU_DEP_3)
	v_lshl_add_u32 v37, v37, 23, 0x3b800000
	v_lshlrev_b32_e32 v38, 20, v38
	s_delay_alu instid0(VALU_DEP_1)
	v_or3_b32 v37, v39, v37, v38
.LBB6_3434:                             ;   in Loop: Header=BB6_3280 Depth=4
	s_or_b32 exec_lo, exec_lo, s38
	s_delay_alu instid0(VALU_DEP_1) | instskip(SKIP_1) | instid1(VALU_DEP_1)
	v_dual_max_f32 v37, v37, v37 :: v_dual_max_f32 v36, v36, v36
	s_mov_b32 s14, 0
	v_max_f32_e32 v36, v36, v37
	s_branch .LBB6_3436
.LBB6_3435:                             ;   in Loop: Header=BB6_3280 Depth=4
	s_mov_b32 s14, -1
                                        ; implicit-def: $vgpr36
.LBB6_3436:                             ;   in Loop: Header=BB6_3280 Depth=4
	s_delay_alu instid0(SALU_CYCLE_1)
	s_and_b32 vcc_lo, exec_lo, s14
	s_cbranch_vccz .LBB6_3446
; %bb.3437:                             ;   in Loop: Header=BB6_3280 Depth=4
	s_mov_b32 s14, 0
	s_mov_b32 s39, exec_lo
                                        ; implicit-def: $sgpr38
	v_cmpx_lt_i16_e32 0x7f, v35
	s_xor_b32 s39, exec_lo, s39
	s_cbranch_execnz .LBB6_3830
; %bb.3438:                             ;   in Loop: Header=BB6_3280 Depth=4
	s_or_saveexec_b32 s39, s39
	v_mov_b32_e32 v36, s38
	s_xor_b32 exec_lo, exec_lo, s39
	s_cbranch_execnz .LBB6_3833
.LBB6_3439:                             ;   in Loop: Header=BB6_3280 Depth=4
	s_or_b32 exec_lo, exec_lo, s39
	s_and_saveexec_b32 s38, s14
	s_cbranch_execz .LBB6_3441
.LBB6_3440:                             ;   in Loop: Header=BB6_3280 Depth=4
	v_and_b32_e32 v35, 0xffff, v35
	v_lshlrev_b32_e32 v39, 16, v13
	s_delay_alu instid0(VALU_DEP_2) | instskip(NEXT) | instid1(VALU_DEP_1)
	v_and_b32_e32 v36, 7, v35
	v_clz_i32_u32_e32 v37, v36
	s_delay_alu instid0(VALU_DEP_1) | instskip(NEXT) | instid1(VALU_DEP_1)
	v_min_u32_e32 v37, 32, v37
	v_subrev_nc_u32_e32 v38, 28, v37
	v_sub_nc_u32_e32 v37, 29, v37
	s_delay_alu instid0(VALU_DEP_2) | instskip(SKIP_1) | instid1(VALU_DEP_2)
	v_lshlrev_b32_e32 v38, v38, v35
	v_bfe_u32 v35, v35, 3, 4
	v_and_b32_e32 v38, 7, v38
	s_delay_alu instid0(VALU_DEP_2) | instskip(NEXT) | instid1(VALU_DEP_2)
	v_cmp_eq_u32_e32 vcc_lo, 0, v35
	v_dual_cndmask_b32 v35, v35, v37 :: v_dual_cndmask_b32 v36, v36, v38
	v_and_b32_e32 v37, 0x80000000, v39
	s_delay_alu instid0(VALU_DEP_2) | instskip(NEXT) | instid1(VALU_DEP_3)
	v_lshl_add_u32 v35, v35, 23, 0x3b800000
	v_lshlrev_b32_e32 v36, 20, v36
	s_delay_alu instid0(VALU_DEP_1)
	v_or3_b32 v36, v37, v35, v36
.LBB6_3441:                             ;   in Loop: Header=BB6_3280 Depth=4
	s_or_b32 exec_lo, exec_lo, s38
	s_mov_b32 s14, 0
	s_mov_b32 s39, exec_lo
                                        ; implicit-def: $sgpr38
	v_cmpx_lt_i16_e32 0x7f, v34
	s_xor_b32 s39, exec_lo, s39
	s_cbranch_execnz .LBB6_3834
; %bb.3442:                             ;   in Loop: Header=BB6_3280 Depth=4
	s_or_saveexec_b32 s39, s39
	v_mov_b32_e32 v35, s38
	s_xor_b32 exec_lo, exec_lo, s39
	s_cbranch_execnz .LBB6_3837
.LBB6_3443:                             ;   in Loop: Header=BB6_3280 Depth=4
	s_or_b32 exec_lo, exec_lo, s39
	s_and_saveexec_b32 s38, s14
	s_cbranch_execz .LBB6_3445
.LBB6_3444:                             ;   in Loop: Header=BB6_3280 Depth=4
	v_and_b32_e32 v34, 0xffff, v34
	v_lshlrev_b32_e32 v39, 16, v9
	s_delay_alu instid0(VALU_DEP_2) | instskip(NEXT) | instid1(VALU_DEP_1)
	v_and_b32_e32 v35, 7, v34
	v_clz_i32_u32_e32 v37, v35
	s_delay_alu instid0(VALU_DEP_1) | instskip(NEXT) | instid1(VALU_DEP_1)
	v_min_u32_e32 v37, 32, v37
	v_subrev_nc_u32_e32 v38, 28, v37
	v_sub_nc_u32_e32 v37, 29, v37
	s_delay_alu instid0(VALU_DEP_2) | instskip(SKIP_1) | instid1(VALU_DEP_2)
	v_lshlrev_b32_e32 v38, v38, v34
	v_bfe_u32 v34, v34, 3, 4
	v_and_b32_e32 v38, 7, v38
	s_delay_alu instid0(VALU_DEP_2) | instskip(NEXT) | instid1(VALU_DEP_2)
	v_cmp_eq_u32_e32 vcc_lo, 0, v34
	v_dual_cndmask_b32 v34, v34, v37 :: v_dual_cndmask_b32 v35, v35, v38
	v_and_b32_e32 v37, 0x80000000, v39
	s_delay_alu instid0(VALU_DEP_2) | instskip(NEXT) | instid1(VALU_DEP_3)
	v_lshl_add_u32 v34, v34, 23, 0x3b800000
	v_lshlrev_b32_e32 v35, 20, v35
	s_delay_alu instid0(VALU_DEP_1)
	v_or3_b32 v35, v37, v34, v35
.LBB6_3445:                             ;   in Loop: Header=BB6_3280 Depth=4
	s_or_b32 exec_lo, exec_lo, s38
	s_delay_alu instid0(VALU_DEP_1) | instskip(NEXT) | instid1(VALU_DEP_1)
	v_dual_max_f32 v34, v35, v35 :: v_dual_max_f32 v35, v36, v36
	v_min_f32_e32 v36, v35, v34
.LBB6_3446:                             ;   in Loop: Header=BB6_3280 Depth=4
	s_delay_alu instid0(VALU_DEP_1) | instskip(NEXT) | instid1(VALU_DEP_1)
	v_and_b32_e32 v34, 0x7f800000, v36
	v_cmp_ne_u32_e32 vcc_lo, 0x7f800000, v34
	v_mov_b32_e32 v34, 0x80
	s_and_saveexec_b32 s38, vcc_lo
	s_cbranch_execz .LBB6_3454
; %bb.3447:                             ;   in Loop: Header=BB6_3280 Depth=4
	v_mov_b32_e32 v34, 0
	s_mov_b32 s39, exec_lo
	v_cmpx_ne_u32_e32 0, v36
	s_cbranch_execz .LBB6_3453
; %bb.3448:                             ;   in Loop: Header=BB6_3280 Depth=4
	v_bfe_u32 v34, v36, 23, 8
	v_and_b32_e32 v35, 0x7fffff, v36
	s_delay_alu instid0(VALU_DEP_2) | instskip(SKIP_1) | instid1(VALU_DEP_3)
	v_sub_nc_u32_e32 v37, 0x78, v34
	v_cmp_gt_u32_e32 vcc_lo, 0x79, v34
	v_or_b32_e32 v38, 0x800000, v35
	s_delay_alu instid0(VALU_DEP_3) | instskip(SKIP_2) | instid1(VALU_DEP_3)
	v_cndmask_b32_e32 v37, 0, v37, vcc_lo
	v_cmp_eq_u32_e32 vcc_lo, 0, v34
	v_add_nc_u32_e32 v34, 0xffffff89, v34
	v_cndmask_b32_e64 v37, v37, 0x77, vcc_lo
	v_cndmask_b32_e32 v35, v38, v35, vcc_lo
	s_delay_alu instid0(VALU_DEP_3) | instskip(NEXT) | instid1(VALU_DEP_3)
	v_cndmask_b32_e64 v34, v34, 0xffffff8a, vcc_lo
	v_lshl_add_u32 v38, 0x100000, v37, -1
	s_delay_alu instid0(VALU_DEP_3) | instskip(SKIP_1) | instid1(VALU_DEP_4)
	v_lshrrev_b32_e32 v39, v37, v35
	v_lshlrev_b32_e64 v49, v37, 0x80000
	v_add_nc_u32_e32 v37, v37, v34
	s_delay_alu instid0(VALU_DEP_4) | instskip(NEXT) | instid1(VALU_DEP_4)
	v_and_b32_e32 v35, v38, v35
	v_bfe_u32 v48, v39, 20, 1
	s_delay_alu instid0(VALU_DEP_2) | instskip(NEXT) | instid1(VALU_DEP_2)
	v_cmp_eq_u32_e64 s14, v35, v49
	v_add_nc_u32_e32 v38, -1, v48
	s_delay_alu instid0(VALU_DEP_1) | instskip(SKIP_2) | instid1(VALU_DEP_2)
	v_cndmask_b32_e64 v35, 0, v38, s14
	v_lshrrev_b32_e32 v38, 23, v39
	s_mov_b32 s14, exec_lo
	v_add_nc_u32_e32 v35, v35, v39
	s_delay_alu instid0(VALU_DEP_2) | instskip(NEXT) | instid1(VALU_DEP_2)
	v_xor_b32_e32 v38, 1, v38
	v_and_b32_e32 v34, 0xfffff, v35
	s_delay_alu instid0(VALU_DEP_1) | instskip(NEXT) | instid1(VALU_DEP_3)
	v_add_nc_u32_e32 v35, v34, v39
                                        ; implicit-def: $vgpr34
	v_cmpx_ne_u32_e64 v37, v38
	s_xor_b32 s14, exec_lo, s14
; %bb.3449:                             ;   in Loop: Header=BB6_3280 Depth=4
	s_delay_alu instid0(VALU_DEP_2) | instskip(SKIP_2) | instid1(VALU_DEP_2)
	v_cmp_lt_u32_e32 vcc_lo, 0xffffff, v35
	v_sub_nc_u32_e32 v34, v37, v38
	v_cndmask_b32_e64 v37, 0, 1, vcc_lo
	v_add_co_ci_u32_e32 v34, vcc_lo, 0, v34, vcc_lo
	s_delay_alu instid0(VALU_DEP_2)
	v_lshrrev_b32_e32 v35, v37, v35
; %bb.3450:                             ;   in Loop: Header=BB6_3280 Depth=4
	s_and_not1_saveexec_b32 s14, s14
; %bb.3451:                             ;   in Loop: Header=BB6_3280 Depth=4
	s_delay_alu instid0(VALU_DEP_1)
	v_bfe_u32 v34, v35, 23, 1
; %bb.3452:                             ;   in Loop: Header=BB6_3280 Depth=4
	s_or_b32 exec_lo, exec_lo, s14
	v_lshrrev_b32_e32 v35, 20, v35
	s_delay_alu instid0(VALU_DEP_2) | instskip(SKIP_2) | instid1(VALU_DEP_2)
	v_cmp_gt_i32_e32 vcc_lo, 16, v34
	v_lshrrev_b32_e32 v36, 24, v36
	v_min_i32_e32 v37, 15, v34
	v_dual_cndmask_b32 v35, 7, v35 :: v_dual_and_b32 v36, 0x80, v36
	s_delay_alu instid0(VALU_DEP_1) | instskip(SKIP_1) | instid1(VALU_DEP_2)
	v_or_b32_e32 v34, v34, v35
	v_and_b32_e32 v38, 7, v35
	v_cmp_ne_u32_e32 vcc_lo, 0, v34
	v_lshlrev_b32_e32 v37, 3, v37
	s_delay_alu instid0(VALU_DEP_1) | instskip(NEXT) | instid1(VALU_DEP_1)
	v_or3_b32 v35, v37, v36, v38
	v_cndmask_b32_e32 v34, 0, v35, vcc_lo
.LBB6_3453:                             ;   in Loop: Header=BB6_3280 Depth=4
	s_or_b32 exec_lo, exec_lo, s39
.LBB6_3454:                             ;   in Loop: Header=BB6_3280 Depth=4
	s_delay_alu instid0(SALU_CYCLE_1)
	s_or_b32 exec_lo, exec_lo, s38
	v_lshrrev_b32_e32 v36, 16, v13
	v_lshrrev_b32_e32 v35, 16, v9
	s_and_b32 vcc_lo, exec_lo, s37
	s_cbranch_vccz .LBB6_3464
; %bb.3455:                             ;   in Loop: Header=BB6_3280 Depth=4
	s_delay_alu instid0(VALU_DEP_2) | instskip(SKIP_2) | instid1(VALU_DEP_1)
	v_and_b32_e32 v38, 0xff, v36
	s_mov_b32 s14, 0
	s_mov_b32 s39, exec_lo
                                        ; implicit-def: $sgpr38
	v_cmpx_lt_i16_e32 0x7f, v38
	s_xor_b32 s39, exec_lo, s39
	s_cbranch_execnz .LBB6_3838
; %bb.3456:                             ;   in Loop: Header=BB6_3280 Depth=4
	s_or_saveexec_b32 s39, s39
	v_mov_b32_e32 v37, s38
	s_xor_b32 exec_lo, exec_lo, s39
	s_cbranch_execnz .LBB6_3841
.LBB6_3457:                             ;   in Loop: Header=BB6_3280 Depth=4
	s_or_b32 exec_lo, exec_lo, s39
	s_and_saveexec_b32 s38, s14
	s_cbranch_execz .LBB6_3459
.LBB6_3458:                             ;   in Loop: Header=BB6_3280 Depth=4
	v_bfe_u32 v37, v13, 16, 3
	v_bfe_u32 v48, v13, 19, 4
	v_lshlrev_b32_e32 v49, 24, v36
	s_delay_alu instid0(VALU_DEP_3) | instskip(NEXT) | instid1(VALU_DEP_3)
	v_clz_i32_u32_e32 v38, v37
	v_cmp_eq_u32_e32 vcc_lo, 0, v48
	s_delay_alu instid0(VALU_DEP_2) | instskip(NEXT) | instid1(VALU_DEP_1)
	v_min_u32_e32 v38, 32, v38
	v_subrev_nc_u32_e32 v39, 28, v38
	v_sub_nc_u32_e32 v38, 29, v38
	s_delay_alu instid0(VALU_DEP_1) | instskip(NEXT) | instid1(VALU_DEP_1)
	v_dual_cndmask_b32 v38, v48, v38 :: v_dual_lshlrev_b32 v39, v39, v36
	v_and_b32_e32 v39, 7, v39
	s_delay_alu instid0(VALU_DEP_2) | instskip(NEXT) | instid1(VALU_DEP_2)
	v_lshl_add_u32 v38, v38, 23, 0x3b800000
	v_cndmask_b32_e32 v37, v37, v39, vcc_lo
	v_and_b32_e32 v39, 0x80000000, v49
	s_delay_alu instid0(VALU_DEP_2) | instskip(NEXT) | instid1(VALU_DEP_1)
	v_lshlrev_b32_e32 v37, 20, v37
	v_or3_b32 v37, v39, v38, v37
.LBB6_3459:                             ;   in Loop: Header=BB6_3280 Depth=4
	s_or_b32 exec_lo, exec_lo, s38
	v_and_b32_e32 v39, 0xff, v35
	s_mov_b32 s14, 0
	s_mov_b32 s39, exec_lo
                                        ; implicit-def: $sgpr38
	s_delay_alu instid0(VALU_DEP_1)
	v_cmpx_lt_i16_e32 0x7f, v39
	s_xor_b32 s39, exec_lo, s39
	s_cbranch_execnz .LBB6_3842
; %bb.3460:                             ;   in Loop: Header=BB6_3280 Depth=4
	s_or_saveexec_b32 s39, s39
	v_mov_b32_e32 v38, s38
	s_xor_b32 exec_lo, exec_lo, s39
	s_cbranch_execnz .LBB6_3845
.LBB6_3461:                             ;   in Loop: Header=BB6_3280 Depth=4
	s_or_b32 exec_lo, exec_lo, s39
	s_and_saveexec_b32 s38, s14
	s_cbranch_execz .LBB6_3463
.LBB6_3462:                             ;   in Loop: Header=BB6_3280 Depth=4
	v_bfe_u32 v38, v9, 16, 3
	v_bfe_u32 v49, v9, 19, 4
	v_lshlrev_b32_e32 v50, 24, v35
	s_delay_alu instid0(VALU_DEP_3) | instskip(NEXT) | instid1(VALU_DEP_3)
	v_clz_i32_u32_e32 v39, v38
	v_cmp_eq_u32_e32 vcc_lo, 0, v49
	s_delay_alu instid0(VALU_DEP_2) | instskip(NEXT) | instid1(VALU_DEP_1)
	v_min_u32_e32 v39, 32, v39
	v_subrev_nc_u32_e32 v48, 28, v39
	v_sub_nc_u32_e32 v39, 29, v39
	s_delay_alu instid0(VALU_DEP_2) | instskip(NEXT) | instid1(VALU_DEP_1)
	v_lshlrev_b32_e32 v48, v48, v35
	v_dual_cndmask_b32 v39, v49, v39 :: v_dual_and_b32 v48, 7, v48
	s_delay_alu instid0(VALU_DEP_1) | instskip(NEXT) | instid1(VALU_DEP_2)
	v_lshl_add_u32 v39, v39, 23, 0x3b800000
	v_cndmask_b32_e32 v38, v38, v48, vcc_lo
	v_and_b32_e32 v48, 0x80000000, v50
	s_delay_alu instid0(VALU_DEP_2) | instskip(NEXT) | instid1(VALU_DEP_1)
	v_lshlrev_b32_e32 v38, 20, v38
	v_or3_b32 v38, v48, v39, v38
.LBB6_3463:                             ;   in Loop: Header=BB6_3280 Depth=4
	s_or_b32 exec_lo, exec_lo, s38
	s_delay_alu instid0(VALU_DEP_1) | instskip(SKIP_1) | instid1(VALU_DEP_1)
	v_dual_max_f32 v38, v38, v38 :: v_dual_max_f32 v37, v37, v37
	s_mov_b32 s14, 0
	v_max_f32_e32 v37, v37, v38
	s_branch .LBB6_3465
.LBB6_3464:                             ;   in Loop: Header=BB6_3280 Depth=4
	s_mov_b32 s14, -1
                                        ; implicit-def: $vgpr37
.LBB6_3465:                             ;   in Loop: Header=BB6_3280 Depth=4
	s_delay_alu instid0(SALU_CYCLE_1)
	s_and_b32 vcc_lo, exec_lo, s14
	s_cbranch_vccz .LBB6_3475
; %bb.3466:                             ;   in Loop: Header=BB6_3280 Depth=4
	v_and_b32_e32 v38, 0xff, v36
	s_mov_b32 s14, 0
	s_mov_b32 s39, exec_lo
                                        ; implicit-def: $sgpr38
	s_delay_alu instid0(VALU_DEP_1)
	v_cmpx_lt_i16_e32 0x7f, v38
	s_xor_b32 s39, exec_lo, s39
	s_cbranch_execnz .LBB6_3846
; %bb.3467:                             ;   in Loop: Header=BB6_3280 Depth=4
	s_or_saveexec_b32 s39, s39
	v_mov_b32_e32 v37, s38
	s_xor_b32 exec_lo, exec_lo, s39
	s_cbranch_execnz .LBB6_3849
.LBB6_3468:                             ;   in Loop: Header=BB6_3280 Depth=4
	s_or_b32 exec_lo, exec_lo, s39
	s_and_saveexec_b32 s38, s14
	s_cbranch_execz .LBB6_3470
.LBB6_3469:                             ;   in Loop: Header=BB6_3280 Depth=4
	v_bfe_u32 v37, v13, 16, 3
	v_bfe_u32 v48, v13, 19, 4
	s_delay_alu instid0(VALU_DEP_2) | instskip(NEXT) | instid1(VALU_DEP_2)
	v_clz_i32_u32_e32 v38, v37
	v_cmp_eq_u32_e32 vcc_lo, 0, v48
	s_delay_alu instid0(VALU_DEP_2) | instskip(NEXT) | instid1(VALU_DEP_1)
	v_min_u32_e32 v38, 32, v38
	v_subrev_nc_u32_e32 v39, 28, v38
	v_sub_nc_u32_e32 v38, 29, v38
	s_delay_alu instid0(VALU_DEP_1) | instskip(NEXT) | instid1(VALU_DEP_1)
	v_dual_cndmask_b32 v38, v48, v38 :: v_dual_lshlrev_b32 v39, v39, v36
	v_and_b32_e32 v39, 7, v39
	v_lshlrev_b32_e32 v36, 24, v36
	s_delay_alu instid0(VALU_DEP_3) | instskip(NEXT) | instid1(VALU_DEP_2)
	v_lshl_add_u32 v38, v38, 23, 0x3b800000
	v_dual_cndmask_b32 v37, v37, v39 :: v_dual_and_b32 v36, 0x80000000, v36
	s_delay_alu instid0(VALU_DEP_1) | instskip(NEXT) | instid1(VALU_DEP_1)
	v_lshlrev_b32_e32 v37, 20, v37
	v_or3_b32 v37, v36, v38, v37
.LBB6_3470:                             ;   in Loop: Header=BB6_3280 Depth=4
	s_or_b32 exec_lo, exec_lo, s38
	v_and_b32_e32 v38, 0xff, v35
	s_mov_b32 s14, 0
	s_mov_b32 s39, exec_lo
                                        ; implicit-def: $sgpr38
	s_delay_alu instid0(VALU_DEP_1)
	v_cmpx_lt_i16_e32 0x7f, v38
	s_xor_b32 s39, exec_lo, s39
	s_cbranch_execnz .LBB6_3850
; %bb.3471:                             ;   in Loop: Header=BB6_3280 Depth=4
	s_or_saveexec_b32 s39, s39
	v_mov_b32_e32 v36, s38
	s_xor_b32 exec_lo, exec_lo, s39
	s_cbranch_execnz .LBB6_3853
.LBB6_3472:                             ;   in Loop: Header=BB6_3280 Depth=4
	s_or_b32 exec_lo, exec_lo, s39
	s_and_saveexec_b32 s38, s14
	s_cbranch_execz .LBB6_3474
.LBB6_3473:                             ;   in Loop: Header=BB6_3280 Depth=4
	v_bfe_u32 v36, v9, 16, 3
	v_bfe_u32 v48, v9, 19, 4
	s_delay_alu instid0(VALU_DEP_2) | instskip(NEXT) | instid1(VALU_DEP_2)
	v_clz_i32_u32_e32 v38, v36
	v_cmp_eq_u32_e32 vcc_lo, 0, v48
	s_delay_alu instid0(VALU_DEP_2) | instskip(NEXT) | instid1(VALU_DEP_1)
	v_min_u32_e32 v38, 32, v38
	v_subrev_nc_u32_e32 v39, 28, v38
	v_sub_nc_u32_e32 v38, 29, v38
	s_delay_alu instid0(VALU_DEP_1) | instskip(SKIP_1) | instid1(VALU_DEP_2)
	v_dual_cndmask_b32 v38, v48, v38 :: v_dual_lshlrev_b32 v39, v39, v35
	v_lshlrev_b32_e32 v35, 24, v35
	v_and_b32_e32 v39, 7, v39
	s_delay_alu instid0(VALU_DEP_3) | instskip(NEXT) | instid1(VALU_DEP_3)
	v_lshl_add_u32 v38, v38, 23, 0x3b800000
	v_and_b32_e32 v35, 0x80000000, v35
	s_delay_alu instid0(VALU_DEP_3) | instskip(NEXT) | instid1(VALU_DEP_1)
	v_cndmask_b32_e32 v36, v36, v39, vcc_lo
	v_lshlrev_b32_e32 v36, 20, v36
	s_delay_alu instid0(VALU_DEP_1)
	v_or3_b32 v36, v35, v38, v36
.LBB6_3474:                             ;   in Loop: Header=BB6_3280 Depth=4
	s_or_b32 exec_lo, exec_lo, s38
	s_delay_alu instid0(VALU_DEP_1) | instskip(NEXT) | instid1(VALU_DEP_1)
	v_dual_max_f32 v35, v36, v36 :: v_dual_max_f32 v36, v37, v37
	v_min_f32_e32 v37, v36, v35
.LBB6_3475:                             ;   in Loop: Header=BB6_3280 Depth=4
	s_delay_alu instid0(VALU_DEP_1) | instskip(NEXT) | instid1(VALU_DEP_1)
	v_and_b32_e32 v35, 0x7f800000, v37
	v_cmp_ne_u32_e32 vcc_lo, 0x7f800000, v35
	v_mov_b32_e32 v35, 0x80
	s_and_saveexec_b32 s38, vcc_lo
	s_cbranch_execz .LBB6_3483
; %bb.3476:                             ;   in Loop: Header=BB6_3280 Depth=4
	v_mov_b32_e32 v35, 0
	s_mov_b32 s39, exec_lo
	v_cmpx_ne_u32_e32 0, v37
	s_cbranch_execz .LBB6_3482
; %bb.3477:                             ;   in Loop: Header=BB6_3280 Depth=4
	v_bfe_u32 v35, v37, 23, 8
	v_and_b32_e32 v36, 0x7fffff, v37
	s_delay_alu instid0(VALU_DEP_2) | instskip(SKIP_1) | instid1(VALU_DEP_3)
	v_sub_nc_u32_e32 v38, 0x78, v35
	v_cmp_gt_u32_e32 vcc_lo, 0x79, v35
	v_or_b32_e32 v39, 0x800000, v36
	s_delay_alu instid0(VALU_DEP_3) | instskip(SKIP_2) | instid1(VALU_DEP_3)
	v_cndmask_b32_e32 v38, 0, v38, vcc_lo
	v_cmp_eq_u32_e32 vcc_lo, 0, v35
	v_add_nc_u32_e32 v35, 0xffffff89, v35
	v_cndmask_b32_e64 v38, v38, 0x77, vcc_lo
	v_cndmask_b32_e32 v36, v39, v36, vcc_lo
	s_delay_alu instid0(VALU_DEP_3) | instskip(NEXT) | instid1(VALU_DEP_3)
	v_cndmask_b32_e64 v35, v35, 0xffffff8a, vcc_lo
	v_lshl_add_u32 v39, 0x100000, v38, -1
	s_delay_alu instid0(VALU_DEP_3) | instskip(SKIP_1) | instid1(VALU_DEP_4)
	v_lshrrev_b32_e32 v48, v38, v36
	v_lshlrev_b32_e64 v50, v38, 0x80000
	v_add_nc_u32_e32 v38, v38, v35
	s_delay_alu instid0(VALU_DEP_4) | instskip(NEXT) | instid1(VALU_DEP_4)
	v_and_b32_e32 v36, v39, v36
	v_bfe_u32 v49, v48, 20, 1
	s_delay_alu instid0(VALU_DEP_2) | instskip(NEXT) | instid1(VALU_DEP_2)
	v_cmp_eq_u32_e64 s14, v36, v50
	v_add_nc_u32_e32 v39, -1, v49
	s_delay_alu instid0(VALU_DEP_1) | instskip(SKIP_2) | instid1(VALU_DEP_2)
	v_cndmask_b32_e64 v36, 0, v39, s14
	v_lshrrev_b32_e32 v39, 23, v48
	s_mov_b32 s14, exec_lo
	v_add_nc_u32_e32 v36, v36, v48
	s_delay_alu instid0(VALU_DEP_2) | instskip(NEXT) | instid1(VALU_DEP_2)
	v_xor_b32_e32 v39, 1, v39
	v_and_b32_e32 v35, 0xfffff, v36
	s_delay_alu instid0(VALU_DEP_1) | instskip(NEXT) | instid1(VALU_DEP_3)
	v_add_nc_u32_e32 v36, v35, v48
                                        ; implicit-def: $vgpr35
	v_cmpx_ne_u32_e64 v38, v39
	s_xor_b32 s14, exec_lo, s14
; %bb.3478:                             ;   in Loop: Header=BB6_3280 Depth=4
	s_delay_alu instid0(VALU_DEP_2) | instskip(SKIP_2) | instid1(VALU_DEP_2)
	v_cmp_lt_u32_e32 vcc_lo, 0xffffff, v36
	v_sub_nc_u32_e32 v35, v38, v39
	v_cndmask_b32_e64 v38, 0, 1, vcc_lo
	v_add_co_ci_u32_e32 v35, vcc_lo, 0, v35, vcc_lo
	s_delay_alu instid0(VALU_DEP_2)
	v_lshrrev_b32_e32 v36, v38, v36
; %bb.3479:                             ;   in Loop: Header=BB6_3280 Depth=4
	s_and_not1_saveexec_b32 s14, s14
; %bb.3480:                             ;   in Loop: Header=BB6_3280 Depth=4
	s_delay_alu instid0(VALU_DEP_1)
	v_bfe_u32 v35, v36, 23, 1
; %bb.3481:                             ;   in Loop: Header=BB6_3280 Depth=4
	s_or_b32 exec_lo, exec_lo, s14
	v_lshrrev_b32_e32 v36, 20, v36
	s_delay_alu instid0(VALU_DEP_2) | instskip(SKIP_2) | instid1(VALU_DEP_2)
	v_cmp_gt_i32_e32 vcc_lo, 16, v35
	v_lshrrev_b32_e32 v37, 24, v37
	v_min_i32_e32 v38, 15, v35
	v_dual_cndmask_b32 v36, 7, v36 :: v_dual_and_b32 v37, 0x80, v37
	s_delay_alu instid0(VALU_DEP_1) | instskip(SKIP_1) | instid1(VALU_DEP_2)
	v_or_b32_e32 v35, v35, v36
	v_and_b32_e32 v39, 7, v36
	v_cmp_ne_u32_e32 vcc_lo, 0, v35
	v_lshlrev_b32_e32 v38, 3, v38
	s_delay_alu instid0(VALU_DEP_1) | instskip(NEXT) | instid1(VALU_DEP_1)
	v_and_b32_e32 v38, 0xf8, v38
	v_or3_b32 v36, v38, v37, v39
	s_delay_alu instid0(VALU_DEP_1)
	v_cndmask_b32_e32 v35, 0, v36, vcc_lo
.LBB6_3482:                             ;   in Loop: Header=BB6_3280 Depth=4
	s_or_b32 exec_lo, exec_lo, s39
.LBB6_3483:                             ;   in Loop: Header=BB6_3280 Depth=4
	s_delay_alu instid0(SALU_CYCLE_1)
	s_or_b32 exec_lo, exec_lo, s38
	v_lshrrev_b32_e32 v37, 24, v13
	v_lshrrev_b32_e32 v36, 24, v9
	s_and_b32 vcc_lo, exec_lo, s37
	s_cbranch_vccz .LBB6_3493
; %bb.3484:                             ;   in Loop: Header=BB6_3280 Depth=4
	s_mov_b32 s14, 0
	s_mov_b32 s39, exec_lo
                                        ; implicit-def: $sgpr38
	v_cmpx_lt_i16_e32 0x7f, v37
	s_xor_b32 s39, exec_lo, s39
	s_cbranch_execnz .LBB6_3854
; %bb.3485:                             ;   in Loop: Header=BB6_3280 Depth=4
	s_or_saveexec_b32 s39, s39
	v_mov_b32_e32 v38, s38
	s_xor_b32 exec_lo, exec_lo, s39
	s_cbranch_execnz .LBB6_3857
.LBB6_3486:                             ;   in Loop: Header=BB6_3280 Depth=4
	s_or_b32 exec_lo, exec_lo, s39
	s_and_saveexec_b32 s38, s14
	s_cbranch_execz .LBB6_3488
.LBB6_3487:                             ;   in Loop: Header=BB6_3280 Depth=4
	v_bfe_u32 v38, v13, 24, 3
	v_bfe_u32 v49, v13, 27, 4
	s_delay_alu instid0(VALU_DEP_2) | instskip(NEXT) | instid1(VALU_DEP_2)
	v_clz_i32_u32_e32 v39, v38
	v_cmp_eq_u32_e32 vcc_lo, 0, v49
	s_delay_alu instid0(VALU_DEP_2) | instskip(NEXT) | instid1(VALU_DEP_1)
	v_min_u32_e32 v39, 32, v39
	v_subrev_nc_u32_e32 v48, 28, v39
	v_sub_nc_u32_e32 v39, 29, v39
	s_delay_alu instid0(VALU_DEP_1) | instskip(NEXT) | instid1(VALU_DEP_1)
	v_dual_cndmask_b32 v39, v49, v39 :: v_dual_lshlrev_b32 v48, v48, v37
	v_and_b32_e32 v48, 7, v48
	s_delay_alu instid0(VALU_DEP_2) | instskip(NEXT) | instid1(VALU_DEP_2)
	v_lshl_add_u32 v39, v39, 23, 0x3b800000
	v_cndmask_b32_e32 v38, v38, v48, vcc_lo
	v_and_b32_e32 v48, 0x80000000, v13
	s_delay_alu instid0(VALU_DEP_2) | instskip(NEXT) | instid1(VALU_DEP_1)
	v_lshlrev_b32_e32 v38, 20, v38
	v_or3_b32 v38, v48, v39, v38
.LBB6_3488:                             ;   in Loop: Header=BB6_3280 Depth=4
	s_or_b32 exec_lo, exec_lo, s38
	s_mov_b32 s14, 0
	s_mov_b32 s39, exec_lo
                                        ; implicit-def: $sgpr38
	v_cmpx_lt_i16_e32 0x7f, v36
	s_xor_b32 s39, exec_lo, s39
	s_cbranch_execnz .LBB6_3858
; %bb.3489:                             ;   in Loop: Header=BB6_3280 Depth=4
	s_or_saveexec_b32 s39, s39
	v_mov_b32_e32 v39, s38
	s_xor_b32 exec_lo, exec_lo, s39
	s_cbranch_execnz .LBB6_3861
.LBB6_3490:                             ;   in Loop: Header=BB6_3280 Depth=4
	s_or_b32 exec_lo, exec_lo, s39
	s_and_saveexec_b32 s38, s14
	s_cbranch_execz .LBB6_3492
.LBB6_3491:                             ;   in Loop: Header=BB6_3280 Depth=4
	v_bfe_u32 v39, v9, 24, 3
	v_bfe_u32 v50, v9, 27, 4
	s_delay_alu instid0(VALU_DEP_2) | instskip(NEXT) | instid1(VALU_DEP_2)
	v_clz_i32_u32_e32 v48, v39
	v_cmp_eq_u32_e32 vcc_lo, 0, v50
	s_delay_alu instid0(VALU_DEP_2) | instskip(NEXT) | instid1(VALU_DEP_1)
	v_min_u32_e32 v48, 32, v48
	v_subrev_nc_u32_e32 v49, 28, v48
	v_sub_nc_u32_e32 v48, 29, v48
	s_delay_alu instid0(VALU_DEP_2) | instskip(NEXT) | instid1(VALU_DEP_1)
	v_lshlrev_b32_e32 v49, v49, v36
	v_dual_cndmask_b32 v48, v50, v48 :: v_dual_and_b32 v49, 7, v49
	s_delay_alu instid0(VALU_DEP_1) | instskip(NEXT) | instid1(VALU_DEP_2)
	v_lshl_add_u32 v48, v48, 23, 0x3b800000
	v_cndmask_b32_e32 v39, v39, v49, vcc_lo
	v_and_b32_e32 v49, 0x80000000, v9
	s_delay_alu instid0(VALU_DEP_2) | instskip(NEXT) | instid1(VALU_DEP_1)
	v_lshlrev_b32_e32 v39, 20, v39
	v_or3_b32 v39, v49, v48, v39
.LBB6_3492:                             ;   in Loop: Header=BB6_3280 Depth=4
	s_or_b32 exec_lo, exec_lo, s38
	s_delay_alu instid0(VALU_DEP_1) | instskip(SKIP_1) | instid1(VALU_DEP_1)
	v_dual_max_f32 v39, v39, v39 :: v_dual_max_f32 v38, v38, v38
	s_mov_b32 s14, 0
	v_max_f32_e32 v38, v38, v39
	s_branch .LBB6_3494
.LBB6_3493:                             ;   in Loop: Header=BB6_3280 Depth=4
	s_mov_b32 s14, -1
                                        ; implicit-def: $vgpr38
.LBB6_3494:                             ;   in Loop: Header=BB6_3280 Depth=4
	s_delay_alu instid0(SALU_CYCLE_1)
	s_and_b32 vcc_lo, exec_lo, s14
	s_cbranch_vccz .LBB6_3504
; %bb.3495:                             ;   in Loop: Header=BB6_3280 Depth=4
	s_mov_b32 s14, 0
	s_mov_b32 s39, exec_lo
                                        ; implicit-def: $sgpr38
	v_cmpx_lt_i16_e32 0x7f, v37
	s_xor_b32 s39, exec_lo, s39
	s_cbranch_execnz .LBB6_3862
; %bb.3496:                             ;   in Loop: Header=BB6_3280 Depth=4
	s_or_saveexec_b32 s39, s39
	v_mov_b32_e32 v38, s38
	s_xor_b32 exec_lo, exec_lo, s39
	s_cbranch_execnz .LBB6_3865
.LBB6_3497:                             ;   in Loop: Header=BB6_3280 Depth=4
	s_or_b32 exec_lo, exec_lo, s39
	s_and_saveexec_b32 s38, s14
	s_cbranch_execz .LBB6_3499
.LBB6_3498:                             ;   in Loop: Header=BB6_3280 Depth=4
	v_bfe_u32 v38, v13, 24, 3
	s_delay_alu instid0(VALU_DEP_1) | instskip(NEXT) | instid1(VALU_DEP_1)
	v_clz_i32_u32_e32 v39, v38
	v_min_u32_e32 v39, 32, v39
	s_delay_alu instid0(VALU_DEP_1) | instskip(SKIP_1) | instid1(VALU_DEP_2)
	v_subrev_nc_u32_e32 v48, 28, v39
	v_sub_nc_u32_e32 v39, 29, v39
	v_lshlrev_b32_e32 v37, v48, v37
	v_bfe_u32 v48, v13, 27, 4
	v_and_b32_e32 v13, 0x80000000, v13
	s_delay_alu instid0(VALU_DEP_3) | instskip(NEXT) | instid1(VALU_DEP_3)
	v_and_b32_e32 v37, 7, v37
	v_cmp_eq_u32_e32 vcc_lo, 0, v48
	v_cndmask_b32_e32 v39, v48, v39, vcc_lo
	s_delay_alu instid0(VALU_DEP_3) | instskip(NEXT) | instid1(VALU_DEP_2)
	v_cndmask_b32_e32 v37, v38, v37, vcc_lo
	v_lshl_add_u32 v38, v39, 23, 0x3b800000
	s_delay_alu instid0(VALU_DEP_2) | instskip(NEXT) | instid1(VALU_DEP_1)
	v_lshlrev_b32_e32 v37, 20, v37
	v_or3_b32 v38, v13, v38, v37
.LBB6_3499:                             ;   in Loop: Header=BB6_3280 Depth=4
	s_or_b32 exec_lo, exec_lo, s38
	s_mov_b32 s14, 0
	s_mov_b32 s39, exec_lo
                                        ; implicit-def: $sgpr38
	v_cmpx_lt_i16_e32 0x7f, v36
	s_xor_b32 s39, exec_lo, s39
	s_cbranch_execnz .LBB6_3866
; %bb.3500:                             ;   in Loop: Header=BB6_3280 Depth=4
	s_or_saveexec_b32 s39, s39
	v_mov_b32_e32 v13, s38
	s_xor_b32 exec_lo, exec_lo, s39
	s_cbranch_execnz .LBB6_3869
.LBB6_3501:                             ;   in Loop: Header=BB6_3280 Depth=4
	s_or_b32 exec_lo, exec_lo, s39
	s_and_saveexec_b32 s38, s14
	s_cbranch_execz .LBB6_3503
.LBB6_3502:                             ;   in Loop: Header=BB6_3280 Depth=4
	v_bfe_u32 v13, v9, 24, 3
	s_delay_alu instid0(VALU_DEP_1) | instskip(NEXT) | instid1(VALU_DEP_1)
	v_clz_i32_u32_e32 v37, v13
	v_min_u32_e32 v37, 32, v37
	s_delay_alu instid0(VALU_DEP_1) | instskip(SKIP_1) | instid1(VALU_DEP_2)
	v_subrev_nc_u32_e32 v39, 28, v37
	v_sub_nc_u32_e32 v37, 29, v37
	v_lshlrev_b32_e32 v36, v39, v36
	v_bfe_u32 v39, v9, 27, 4
	v_and_b32_e32 v9, 0x80000000, v9
	s_delay_alu instid0(VALU_DEP_2) | instskip(NEXT) | instid1(VALU_DEP_4)
	v_cmp_eq_u32_e32 vcc_lo, 0, v39
	v_dual_cndmask_b32 v37, v39, v37 :: v_dual_and_b32 v36, 7, v36
	s_delay_alu instid0(VALU_DEP_1) | instskip(NEXT) | instid1(VALU_DEP_2)
	v_cndmask_b32_e32 v13, v13, v36, vcc_lo
	v_lshl_add_u32 v36, v37, 23, 0x3b800000
	s_delay_alu instid0(VALU_DEP_2) | instskip(NEXT) | instid1(VALU_DEP_1)
	v_lshlrev_b32_e32 v13, 20, v13
	v_or3_b32 v13, v9, v36, v13
.LBB6_3503:                             ;   in Loop: Header=BB6_3280 Depth=4
	s_or_b32 exec_lo, exec_lo, s38
	s_delay_alu instid0(VALU_DEP_1) | instskip(SKIP_1) | instid1(VALU_DEP_1)
	v_max_f32_e32 v9, v13, v13
	v_max_f32_e32 v13, v38, v38
	v_min_f32_e32 v38, v13, v9
.LBB6_3504:                             ;   in Loop: Header=BB6_3280 Depth=4
	s_delay_alu instid0(VALU_DEP_1) | instskip(NEXT) | instid1(VALU_DEP_1)
	v_and_b32_e32 v9, 0x7f800000, v38
	v_cmp_ne_u32_e32 vcc_lo, 0x7f800000, v9
	v_mov_b32_e32 v9, 0x8000
	s_and_saveexec_b32 s38, vcc_lo
	s_cbranch_execz .LBB6_3512
; %bb.3505:                             ;   in Loop: Header=BB6_3280 Depth=4
	v_mov_b32_e32 v9, 0
	s_mov_b32 s39, exec_lo
	v_cmpx_ne_u32_e32 0, v38
	s_cbranch_execz .LBB6_3511
; %bb.3506:                             ;   in Loop: Header=BB6_3280 Depth=4
	v_bfe_u32 v9, v38, 23, 8
	s_delay_alu instid0(VALU_DEP_1) | instskip(SKIP_1) | instid1(VALU_DEP_2)
	v_sub_nc_u32_e32 v36, 0x78, v9
	v_cmp_gt_u32_e32 vcc_lo, 0x79, v9
	v_dual_cndmask_b32 v36, 0, v36 :: v_dual_and_b32 v13, 0x7fffff, v38
	s_delay_alu instid0(VALU_DEP_1) | instskip(SKIP_2) | instid1(VALU_DEP_4)
	v_or_b32_e32 v37, 0x800000, v13
	v_cmp_eq_u32_e32 vcc_lo, 0, v9
	v_add_nc_u32_e32 v9, 0xffffff89, v9
	v_cndmask_b32_e64 v36, v36, 0x77, vcc_lo
	s_delay_alu instid0(VALU_DEP_4) | instskip(NEXT) | instid1(VALU_DEP_3)
	v_cndmask_b32_e32 v13, v37, v13, vcc_lo
	v_cndmask_b32_e64 v9, v9, 0xffffff8a, vcc_lo
	s_delay_alu instid0(VALU_DEP_3) | instskip(NEXT) | instid1(VALU_DEP_3)
	v_lshl_add_u32 v37, 0x100000, v36, -1
	v_lshrrev_b32_e32 v39, v36, v13
	v_lshlrev_b32_e64 v49, v36, 0x80000
	s_delay_alu instid0(VALU_DEP_4) | instskip(NEXT) | instid1(VALU_DEP_4)
	v_add_nc_u32_e32 v36, v36, v9
	v_and_b32_e32 v13, v37, v13
	s_delay_alu instid0(VALU_DEP_4) | instskip(NEXT) | instid1(VALU_DEP_2)
	v_bfe_u32 v48, v39, 20, 1
	v_cmp_eq_u32_e64 s14, v13, v49
	s_delay_alu instid0(VALU_DEP_2) | instskip(NEXT) | instid1(VALU_DEP_1)
	v_add_nc_u32_e32 v37, -1, v48
	v_cndmask_b32_e64 v13, 0, v37, s14
	v_lshrrev_b32_e32 v37, 23, v39
	s_mov_b32 s14, exec_lo
	s_delay_alu instid0(VALU_DEP_2) | instskip(NEXT) | instid1(VALU_DEP_2)
	v_add_nc_u32_e32 v13, v13, v39
	v_xor_b32_e32 v37, 1, v37
	s_delay_alu instid0(VALU_DEP_2) | instskip(NEXT) | instid1(VALU_DEP_1)
	v_and_b32_e32 v9, 0xfffff, v13
	v_add_nc_u32_e32 v13, v9, v39
                                        ; implicit-def: $vgpr9
	s_delay_alu instid0(VALU_DEP_3)
	v_cmpx_ne_u32_e64 v36, v37
	s_xor_b32 s14, exec_lo, s14
; %bb.3507:                             ;   in Loop: Header=BB6_3280 Depth=4
	s_delay_alu instid0(VALU_DEP_2) | instskip(SKIP_2) | instid1(VALU_DEP_2)
	v_cmp_lt_u32_e32 vcc_lo, 0xffffff, v13
	v_sub_nc_u32_e32 v9, v36, v37
	v_cndmask_b32_e64 v36, 0, 1, vcc_lo
	v_add_co_ci_u32_e32 v9, vcc_lo, 0, v9, vcc_lo
	s_delay_alu instid0(VALU_DEP_2)
	v_lshrrev_b32_e32 v13, v36, v13
; %bb.3508:                             ;   in Loop: Header=BB6_3280 Depth=4
	s_and_not1_saveexec_b32 s14, s14
; %bb.3509:                             ;   in Loop: Header=BB6_3280 Depth=4
	s_delay_alu instid0(VALU_DEP_1)
	v_bfe_u32 v9, v13, 23, 1
; %bb.3510:                             ;   in Loop: Header=BB6_3280 Depth=4
	s_or_b32 exec_lo, exec_lo, s14
	v_lshrrev_b32_e32 v13, 20, v13
	s_delay_alu instid0(VALU_DEP_2) | instskip(SKIP_2) | instid1(VALU_DEP_2)
	v_cmp_gt_i32_e32 vcc_lo, 16, v9
	v_min_i32_e32 v36, 15, v9
	v_lshrrev_b32_e32 v37, 24, v38
	v_dual_cndmask_b32 v13, 7, v13 :: v_dual_lshlrev_b32 v36, 3, v36
	s_delay_alu instid0(VALU_DEP_2) | instskip(NEXT) | instid1(VALU_DEP_2)
	v_and_b32_e32 v37, 0x80, v37
	v_or_b32_e32 v9, v9, v13
	v_and_b32_e32 v38, 7, v13
	s_delay_alu instid0(VALU_DEP_2) | instskip(SKIP_1) | instid1(VALU_DEP_1)
	v_cmp_ne_u32_e32 vcc_lo, 0, v9
	v_and_b32_e32 v36, 0xf8, v36
	v_or3_b32 v36, v37, v36, v38
	s_delay_alu instid0(VALU_DEP_1) | instskip(NEXT) | instid1(VALU_DEP_1)
	v_lshlrev_b32_e32 v13, 8, v36
	v_cndmask_b32_e32 v9, 0, v13, vcc_lo
.LBB6_3511:                             ;   in Loop: Header=BB6_3280 Depth=4
	s_or_b32 exec_lo, exec_lo, s39
.LBB6_3512:                             ;   in Loop: Header=BB6_3280 Depth=4
	s_delay_alu instid0(SALU_CYCLE_1) | instskip(NEXT) | instid1(SALU_CYCLE_1)
	s_or_b32 exec_lo, exec_lo, s38
	s_and_b32 vcc_lo, exec_lo, s37
	s_cbranch_vccz .LBB6_3522
; %bb.3513:                             ;   in Loop: Header=BB6_3280 Depth=4
	v_and_b32_e32 v36, 0xff, v14
	s_mov_b32 s14, 0
	s_mov_b32 s39, exec_lo
                                        ; implicit-def: $sgpr38
	s_delay_alu instid0(VALU_DEP_1)
	v_cmpx_lt_i16_e32 0x7f, v36
	s_xor_b32 s39, exec_lo, s39
	s_cbranch_execnz .LBB6_3870
; %bb.3514:                             ;   in Loop: Header=BB6_3280 Depth=4
	s_or_saveexec_b32 s39, s39
	v_mov_b32_e32 v13, s38
	s_xor_b32 exec_lo, exec_lo, s39
	s_cbranch_execnz .LBB6_3873
.LBB6_3515:                             ;   in Loop: Header=BB6_3280 Depth=4
	s_or_b32 exec_lo, exec_lo, s39
	s_and_saveexec_b32 s38, s14
	s_cbranch_execz .LBB6_3517
.LBB6_3516:                             ;   in Loop: Header=BB6_3280 Depth=4
	v_bfe_u32 v38, v14, 3, 4
	v_lshlrev_b32_e32 v39, 24, v14
	s_delay_alu instid0(VALU_DEP_2) | instskip(SKIP_1) | instid1(VALU_DEP_1)
	v_cmp_eq_u32_e32 vcc_lo, 0, v38
	v_and_b32_e32 v13, 7, v14
	v_clz_i32_u32_e32 v36, v13
	s_delay_alu instid0(VALU_DEP_1) | instskip(NEXT) | instid1(VALU_DEP_1)
	v_min_u32_e32 v36, 32, v36
	v_subrev_nc_u32_e32 v37, 28, v36
	v_sub_nc_u32_e32 v36, 29, v36
	s_delay_alu instid0(VALU_DEP_1) | instskip(NEXT) | instid1(VALU_DEP_1)
	v_dual_cndmask_b32 v36, v38, v36 :: v_dual_lshlrev_b32 v37, v37, v14
	v_and_b32_e32 v37, 7, v37
	s_delay_alu instid0(VALU_DEP_2) | instskip(NEXT) | instid1(VALU_DEP_2)
	v_lshl_add_u32 v36, v36, 23, 0x3b800000
	v_cndmask_b32_e32 v13, v13, v37, vcc_lo
	v_and_b32_e32 v37, 0x80000000, v39
	s_delay_alu instid0(VALU_DEP_2) | instskip(NEXT) | instid1(VALU_DEP_1)
	v_lshlrev_b32_e32 v13, 20, v13
	v_or3_b32 v13, v37, v36, v13
.LBB6_3517:                             ;   in Loop: Header=BB6_3280 Depth=4
	s_or_b32 exec_lo, exec_lo, s38
	v_and_b32_e32 v37, 0xff, v10
	s_mov_b32 s14, 0
	s_mov_b32 s39, exec_lo
                                        ; implicit-def: $sgpr38
	s_delay_alu instid0(VALU_DEP_1)
	v_cmpx_lt_i16_e32 0x7f, v37
	s_xor_b32 s39, exec_lo, s39
	s_cbranch_execnz .LBB6_3874
; %bb.3518:                             ;   in Loop: Header=BB6_3280 Depth=4
	s_or_saveexec_b32 s39, s39
	v_mov_b32_e32 v36, s38
	s_xor_b32 exec_lo, exec_lo, s39
	s_cbranch_execnz .LBB6_3877
.LBB6_3519:                             ;   in Loop: Header=BB6_3280 Depth=4
	s_or_b32 exec_lo, exec_lo, s39
	s_and_saveexec_b32 s38, s14
	s_cbranch_execz .LBB6_3521
.LBB6_3520:                             ;   in Loop: Header=BB6_3280 Depth=4
	v_bfe_u32 v39, v10, 3, 4
	v_lshlrev_b32_e32 v48, 24, v10
	s_delay_alu instid0(VALU_DEP_2) | instskip(SKIP_1) | instid1(VALU_DEP_1)
	v_cmp_eq_u32_e32 vcc_lo, 0, v39
	v_and_b32_e32 v36, 7, v10
	v_clz_i32_u32_e32 v37, v36
	s_delay_alu instid0(VALU_DEP_1) | instskip(NEXT) | instid1(VALU_DEP_1)
	v_min_u32_e32 v37, 32, v37
	v_subrev_nc_u32_e32 v38, 28, v37
	v_sub_nc_u32_e32 v37, 29, v37
	s_delay_alu instid0(VALU_DEP_1) | instskip(NEXT) | instid1(VALU_DEP_1)
	v_dual_cndmask_b32 v37, v39, v37 :: v_dual_lshlrev_b32 v38, v38, v10
	v_and_b32_e32 v38, 7, v38
	s_delay_alu instid0(VALU_DEP_2) | instskip(NEXT) | instid1(VALU_DEP_2)
	v_lshl_add_u32 v37, v37, 23, 0x3b800000
	v_cndmask_b32_e32 v36, v36, v38, vcc_lo
	v_and_b32_e32 v38, 0x80000000, v48
	s_delay_alu instid0(VALU_DEP_2) | instskip(NEXT) | instid1(VALU_DEP_1)
	v_lshlrev_b32_e32 v36, 20, v36
	v_or3_b32 v36, v38, v37, v36
.LBB6_3521:                             ;   in Loop: Header=BB6_3280 Depth=4
	s_or_b32 exec_lo, exec_lo, s38
	s_delay_alu instid0(VALU_DEP_1) | instskip(SKIP_1) | instid1(VALU_DEP_1)
	v_dual_max_f32 v36, v36, v36 :: v_dual_max_f32 v13, v13, v13
	s_mov_b32 s14, 0
	v_max_f32_e32 v36, v13, v36
	s_branch .LBB6_3523
.LBB6_3522:                             ;   in Loop: Header=BB6_3280 Depth=4
	s_mov_b32 s14, -1
                                        ; implicit-def: $vgpr36
.LBB6_3523:                             ;   in Loop: Header=BB6_3280 Depth=4
	s_delay_alu instid0(SALU_CYCLE_1)
	s_and_b32 vcc_lo, exec_lo, s14
	s_cbranch_vccz .LBB6_3533
; %bb.3524:                             ;   in Loop: Header=BB6_3280 Depth=4
	v_and_b32_e32 v36, 0xff, v14
	s_mov_b32 s14, 0
	s_mov_b32 s39, exec_lo
                                        ; implicit-def: $sgpr38
	s_delay_alu instid0(VALU_DEP_1)
	v_cmpx_lt_i16_e32 0x7f, v36
	s_xor_b32 s39, exec_lo, s39
	s_cbranch_execnz .LBB6_3878
; %bb.3525:                             ;   in Loop: Header=BB6_3280 Depth=4
	s_or_saveexec_b32 s39, s39
	v_mov_b32_e32 v13, s38
	s_xor_b32 exec_lo, exec_lo, s39
	s_cbranch_execnz .LBB6_3881
.LBB6_3526:                             ;   in Loop: Header=BB6_3280 Depth=4
	s_or_b32 exec_lo, exec_lo, s39
	s_and_saveexec_b32 s38, s14
	s_cbranch_execz .LBB6_3528
.LBB6_3527:                             ;   in Loop: Header=BB6_3280 Depth=4
	v_bfe_u32 v38, v14, 3, 4
	v_lshlrev_b32_e32 v39, 24, v14
	s_delay_alu instid0(VALU_DEP_2) | instskip(SKIP_1) | instid1(VALU_DEP_1)
	v_cmp_eq_u32_e32 vcc_lo, 0, v38
	v_and_b32_e32 v13, 7, v14
	v_clz_i32_u32_e32 v36, v13
	s_delay_alu instid0(VALU_DEP_1) | instskip(NEXT) | instid1(VALU_DEP_1)
	v_min_u32_e32 v36, 32, v36
	v_subrev_nc_u32_e32 v37, 28, v36
	v_sub_nc_u32_e32 v36, 29, v36
	s_delay_alu instid0(VALU_DEP_1) | instskip(NEXT) | instid1(VALU_DEP_1)
	v_dual_cndmask_b32 v36, v38, v36 :: v_dual_lshlrev_b32 v37, v37, v14
	v_and_b32_e32 v37, 7, v37
	s_delay_alu instid0(VALU_DEP_2) | instskip(NEXT) | instid1(VALU_DEP_2)
	v_lshl_add_u32 v36, v36, 23, 0x3b800000
	v_cndmask_b32_e32 v13, v13, v37, vcc_lo
	v_and_b32_e32 v37, 0x80000000, v39
	s_delay_alu instid0(VALU_DEP_2) | instskip(NEXT) | instid1(VALU_DEP_1)
	v_lshlrev_b32_e32 v13, 20, v13
	v_or3_b32 v13, v37, v36, v13
.LBB6_3528:                             ;   in Loop: Header=BB6_3280 Depth=4
	s_or_b32 exec_lo, exec_lo, s38
	v_and_b32_e32 v37, 0xff, v10
	s_mov_b32 s14, 0
	s_mov_b32 s39, exec_lo
                                        ; implicit-def: $sgpr38
	s_delay_alu instid0(VALU_DEP_1)
	v_cmpx_lt_i16_e32 0x7f, v37
	s_xor_b32 s39, exec_lo, s39
	s_cbranch_execnz .LBB6_3882
; %bb.3529:                             ;   in Loop: Header=BB6_3280 Depth=4
	s_or_saveexec_b32 s39, s39
	v_mov_b32_e32 v36, s38
	s_xor_b32 exec_lo, exec_lo, s39
	s_cbranch_execnz .LBB6_3885
.LBB6_3530:                             ;   in Loop: Header=BB6_3280 Depth=4
	s_or_b32 exec_lo, exec_lo, s39
	s_and_saveexec_b32 s38, s14
	s_cbranch_execz .LBB6_3532
.LBB6_3531:                             ;   in Loop: Header=BB6_3280 Depth=4
	v_bfe_u32 v39, v10, 3, 4
	v_lshlrev_b32_e32 v48, 24, v10
	s_delay_alu instid0(VALU_DEP_2) | instskip(SKIP_1) | instid1(VALU_DEP_1)
	v_cmp_eq_u32_e32 vcc_lo, 0, v39
	v_and_b32_e32 v36, 7, v10
	v_clz_i32_u32_e32 v37, v36
	s_delay_alu instid0(VALU_DEP_1) | instskip(NEXT) | instid1(VALU_DEP_1)
	v_min_u32_e32 v37, 32, v37
	v_subrev_nc_u32_e32 v38, 28, v37
	v_sub_nc_u32_e32 v37, 29, v37
	s_delay_alu instid0(VALU_DEP_1) | instskip(NEXT) | instid1(VALU_DEP_1)
	v_dual_cndmask_b32 v37, v39, v37 :: v_dual_lshlrev_b32 v38, v38, v10
	v_and_b32_e32 v38, 7, v38
	s_delay_alu instid0(VALU_DEP_2) | instskip(NEXT) | instid1(VALU_DEP_2)
	v_lshl_add_u32 v37, v37, 23, 0x3b800000
	v_cndmask_b32_e32 v36, v36, v38, vcc_lo
	v_and_b32_e32 v38, 0x80000000, v48
	s_delay_alu instid0(VALU_DEP_2) | instskip(NEXT) | instid1(VALU_DEP_1)
	v_lshlrev_b32_e32 v36, 20, v36
	v_or3_b32 v36, v38, v37, v36
.LBB6_3532:                             ;   in Loop: Header=BB6_3280 Depth=4
	s_or_b32 exec_lo, exec_lo, s38
	s_delay_alu instid0(VALU_DEP_1) | instskip(NEXT) | instid1(VALU_DEP_1)
	v_dual_max_f32 v36, v36, v36 :: v_dual_max_f32 v13, v13, v13
	v_min_f32_e32 v36, v13, v36
.LBB6_3533:                             ;   in Loop: Header=BB6_3280 Depth=4
	s_delay_alu instid0(VALU_DEP_1) | instskip(NEXT) | instid1(VALU_DEP_1)
	v_and_b32_e32 v13, 0x7f800000, v36
	v_cmp_ne_u32_e32 vcc_lo, 0x7f800000, v13
	v_mov_b32_e32 v13, 0x80
	s_and_saveexec_b32 s38, vcc_lo
	s_cbranch_execz .LBB6_3541
; %bb.3534:                             ;   in Loop: Header=BB6_3280 Depth=4
	v_mov_b32_e32 v13, 0
	s_mov_b32 s39, exec_lo
	v_cmpx_ne_u32_e32 0, v36
	s_cbranch_execz .LBB6_3540
; %bb.3535:                             ;   in Loop: Header=BB6_3280 Depth=4
	v_bfe_u32 v13, v36, 23, 8
	s_delay_alu instid0(VALU_DEP_1) | instskip(SKIP_1) | instid1(VALU_DEP_2)
	v_sub_nc_u32_e32 v38, 0x78, v13
	v_cmp_gt_u32_e32 vcc_lo, 0x79, v13
	v_dual_cndmask_b32 v38, 0, v38 :: v_dual_and_b32 v37, 0x7fffff, v36
	s_delay_alu instid0(VALU_DEP_1) | instskip(SKIP_2) | instid1(VALU_DEP_4)
	v_or_b32_e32 v39, 0x800000, v37
	v_cmp_eq_u32_e32 vcc_lo, 0, v13
	v_add_nc_u32_e32 v13, 0xffffff89, v13
	v_cndmask_b32_e64 v38, v38, 0x77, vcc_lo
	s_delay_alu instid0(VALU_DEP_4) | instskip(NEXT) | instid1(VALU_DEP_3)
	v_cndmask_b32_e32 v37, v39, v37, vcc_lo
	v_cndmask_b32_e64 v13, v13, 0xffffff8a, vcc_lo
	s_delay_alu instid0(VALU_DEP_3) | instskip(NEXT) | instid1(VALU_DEP_3)
	v_lshl_add_u32 v39, 0x100000, v38, -1
	v_lshrrev_b32_e32 v48, v38, v37
	v_lshlrev_b32_e64 v50, v38, 0x80000
	s_delay_alu instid0(VALU_DEP_4) | instskip(NEXT) | instid1(VALU_DEP_4)
	v_add_nc_u32_e32 v38, v38, v13
	v_and_b32_e32 v37, v39, v37
	s_delay_alu instid0(VALU_DEP_4) | instskip(NEXT) | instid1(VALU_DEP_2)
	v_bfe_u32 v49, v48, 20, 1
	v_cmp_eq_u32_e64 s14, v37, v50
	s_delay_alu instid0(VALU_DEP_2) | instskip(NEXT) | instid1(VALU_DEP_1)
	v_add_nc_u32_e32 v39, -1, v49
	v_cndmask_b32_e64 v37, 0, v39, s14
	v_lshrrev_b32_e32 v39, 23, v48
	s_mov_b32 s14, exec_lo
	s_delay_alu instid0(VALU_DEP_2) | instskip(NEXT) | instid1(VALU_DEP_2)
	v_add_nc_u32_e32 v37, v37, v48
	v_xor_b32_e32 v39, 1, v39
	s_delay_alu instid0(VALU_DEP_2) | instskip(NEXT) | instid1(VALU_DEP_1)
	v_and_b32_e32 v13, 0xfffff, v37
	v_add_nc_u32_e32 v37, v13, v48
                                        ; implicit-def: $vgpr13
	s_delay_alu instid0(VALU_DEP_3)
	v_cmpx_ne_u32_e64 v38, v39
	s_xor_b32 s14, exec_lo, s14
; %bb.3536:                             ;   in Loop: Header=BB6_3280 Depth=4
	s_delay_alu instid0(VALU_DEP_2) | instskip(SKIP_2) | instid1(VALU_DEP_2)
	v_cmp_lt_u32_e32 vcc_lo, 0xffffff, v37
	v_sub_nc_u32_e32 v13, v38, v39
	v_cndmask_b32_e64 v38, 0, 1, vcc_lo
	v_add_co_ci_u32_e32 v13, vcc_lo, 0, v13, vcc_lo
	s_delay_alu instid0(VALU_DEP_2)
	v_lshrrev_b32_e32 v37, v38, v37
; %bb.3537:                             ;   in Loop: Header=BB6_3280 Depth=4
	s_and_not1_saveexec_b32 s14, s14
; %bb.3538:                             ;   in Loop: Header=BB6_3280 Depth=4
	s_delay_alu instid0(VALU_DEP_1)
	v_bfe_u32 v13, v37, 23, 1
; %bb.3539:                             ;   in Loop: Header=BB6_3280 Depth=4
	s_or_b32 exec_lo, exec_lo, s14
	v_lshrrev_b32_e32 v37, 20, v37
	s_delay_alu instid0(VALU_DEP_2) | instskip(SKIP_2) | instid1(VALU_DEP_2)
	v_cmp_gt_i32_e32 vcc_lo, 16, v13
	v_lshrrev_b32_e32 v36, 24, v36
	v_min_i32_e32 v38, 15, v13
	v_dual_cndmask_b32 v37, 7, v37 :: v_dual_and_b32 v36, 0x80, v36
	s_delay_alu instid0(VALU_DEP_1) | instskip(SKIP_1) | instid1(VALU_DEP_2)
	v_or_b32_e32 v13, v13, v37
	v_and_b32_e32 v39, 7, v37
	v_cmp_ne_u32_e32 vcc_lo, 0, v13
	v_lshlrev_b32_e32 v38, 3, v38
	s_delay_alu instid0(VALU_DEP_1) | instskip(NEXT) | instid1(VALU_DEP_1)
	v_or3_b32 v36, v38, v36, v39
	v_cndmask_b32_e32 v13, 0, v36, vcc_lo
.LBB6_3540:                             ;   in Loop: Header=BB6_3280 Depth=4
	s_or_b32 exec_lo, exec_lo, s39
.LBB6_3541:                             ;   in Loop: Header=BB6_3280 Depth=4
	s_delay_alu instid0(SALU_CYCLE_1)
	s_or_b32 exec_lo, exec_lo, s38
	v_lshrrev_b16 v37, 8, v14
	v_lshrrev_b16 v36, 8, v10
	s_and_b32 vcc_lo, exec_lo, s37
	s_cbranch_vccz .LBB6_3551
; %bb.3542:                             ;   in Loop: Header=BB6_3280 Depth=4
	s_mov_b32 s14, 0
	s_mov_b32 s39, exec_lo
                                        ; implicit-def: $sgpr38
	v_cmpx_lt_i16_e32 0x7f, v37
	s_xor_b32 s39, exec_lo, s39
	s_cbranch_execnz .LBB6_3886
; %bb.3543:                             ;   in Loop: Header=BB6_3280 Depth=4
	s_or_saveexec_b32 s39, s39
	v_mov_b32_e32 v38, s38
	s_xor_b32 exec_lo, exec_lo, s39
	s_cbranch_execnz .LBB6_3889
.LBB6_3544:                             ;   in Loop: Header=BB6_3280 Depth=4
	s_or_b32 exec_lo, exec_lo, s39
	s_and_saveexec_b32 s38, s14
	s_cbranch_execz .LBB6_3546
.LBB6_3545:                             ;   in Loop: Header=BB6_3280 Depth=4
	v_and_b32_e32 v38, 0xffff, v37
	s_delay_alu instid0(VALU_DEP_1) | instskip(NEXT) | instid1(VALU_DEP_1)
	v_and_b32_e32 v39, 7, v38
	v_clz_i32_u32_e32 v48, v39
	s_delay_alu instid0(VALU_DEP_1) | instskip(NEXT) | instid1(VALU_DEP_1)
	v_min_u32_e32 v48, 32, v48
	v_subrev_nc_u32_e32 v49, 28, v48
	v_sub_nc_u32_e32 v48, 29, v48
	s_delay_alu instid0(VALU_DEP_2) | instskip(SKIP_1) | instid1(VALU_DEP_2)
	v_lshlrev_b32_e32 v49, v49, v38
	v_bfe_u32 v38, v38, 3, 4
	v_and_b32_e32 v49, 7, v49
	s_delay_alu instid0(VALU_DEP_2) | instskip(SKIP_1) | instid1(VALU_DEP_3)
	v_cmp_eq_u32_e32 vcc_lo, 0, v38
	v_cndmask_b32_e32 v38, v38, v48, vcc_lo
	v_dual_cndmask_b32 v39, v39, v49 :: v_dual_lshlrev_b32 v50, 16, v14
	s_delay_alu instid0(VALU_DEP_2) | instskip(NEXT) | instid1(VALU_DEP_2)
	v_lshl_add_u32 v38, v38, 23, 0x3b800000
	v_and_b32_e32 v48, 0x80000000, v50
	s_delay_alu instid0(VALU_DEP_3) | instskip(NEXT) | instid1(VALU_DEP_1)
	v_lshlrev_b32_e32 v39, 20, v39
	v_or3_b32 v38, v48, v38, v39
.LBB6_3546:                             ;   in Loop: Header=BB6_3280 Depth=4
	s_or_b32 exec_lo, exec_lo, s38
	s_mov_b32 s14, 0
	s_mov_b32 s39, exec_lo
                                        ; implicit-def: $sgpr38
	v_cmpx_lt_i16_e32 0x7f, v36
	s_xor_b32 s39, exec_lo, s39
	s_cbranch_execnz .LBB6_3890
; %bb.3547:                             ;   in Loop: Header=BB6_3280 Depth=4
	s_or_saveexec_b32 s39, s39
	v_mov_b32_e32 v39, s38
	s_xor_b32 exec_lo, exec_lo, s39
	s_cbranch_execnz .LBB6_3893
.LBB6_3548:                             ;   in Loop: Header=BB6_3280 Depth=4
	s_or_b32 exec_lo, exec_lo, s39
	s_and_saveexec_b32 s38, s14
	s_cbranch_execz .LBB6_3550
.LBB6_3549:                             ;   in Loop: Header=BB6_3280 Depth=4
	v_and_b32_e32 v39, 0xffff, v36
	v_lshlrev_b32_e32 v51, 16, v10
	s_delay_alu instid0(VALU_DEP_2) | instskip(NEXT) | instid1(VALU_DEP_1)
	v_and_b32_e32 v48, 7, v39
	v_clz_i32_u32_e32 v49, v48
	s_delay_alu instid0(VALU_DEP_1) | instskip(NEXT) | instid1(VALU_DEP_1)
	v_min_u32_e32 v49, 32, v49
	v_subrev_nc_u32_e32 v50, 28, v49
	v_sub_nc_u32_e32 v49, 29, v49
	s_delay_alu instid0(VALU_DEP_2) | instskip(SKIP_1) | instid1(VALU_DEP_2)
	v_lshlrev_b32_e32 v50, v50, v39
	v_bfe_u32 v39, v39, 3, 4
	v_and_b32_e32 v50, 7, v50
	s_delay_alu instid0(VALU_DEP_2) | instskip(NEXT) | instid1(VALU_DEP_2)
	v_cmp_eq_u32_e32 vcc_lo, 0, v39
	v_dual_cndmask_b32 v39, v39, v49 :: v_dual_cndmask_b32 v48, v48, v50
	v_and_b32_e32 v49, 0x80000000, v51
	s_delay_alu instid0(VALU_DEP_2) | instskip(NEXT) | instid1(VALU_DEP_3)
	v_lshl_add_u32 v39, v39, 23, 0x3b800000
	v_lshlrev_b32_e32 v48, 20, v48
	s_delay_alu instid0(VALU_DEP_1)
	v_or3_b32 v39, v49, v39, v48
.LBB6_3550:                             ;   in Loop: Header=BB6_3280 Depth=4
	s_or_b32 exec_lo, exec_lo, s38
	s_delay_alu instid0(VALU_DEP_1) | instskip(SKIP_1) | instid1(VALU_DEP_1)
	v_dual_max_f32 v39, v39, v39 :: v_dual_max_f32 v38, v38, v38
	s_mov_b32 s14, 0
	v_max_f32_e32 v38, v38, v39
	s_branch .LBB6_3552
.LBB6_3551:                             ;   in Loop: Header=BB6_3280 Depth=4
	s_mov_b32 s14, -1
                                        ; implicit-def: $vgpr38
.LBB6_3552:                             ;   in Loop: Header=BB6_3280 Depth=4
	s_delay_alu instid0(SALU_CYCLE_1)
	s_and_b32 vcc_lo, exec_lo, s14
	s_cbranch_vccz .LBB6_3562
; %bb.3553:                             ;   in Loop: Header=BB6_3280 Depth=4
	s_mov_b32 s14, 0
	s_mov_b32 s39, exec_lo
                                        ; implicit-def: $sgpr38
	v_cmpx_lt_i16_e32 0x7f, v37
	s_xor_b32 s39, exec_lo, s39
	s_cbranch_execnz .LBB6_3894
; %bb.3554:                             ;   in Loop: Header=BB6_3280 Depth=4
	s_or_saveexec_b32 s39, s39
	v_mov_b32_e32 v38, s38
	s_xor_b32 exec_lo, exec_lo, s39
	s_cbranch_execnz .LBB6_3897
.LBB6_3555:                             ;   in Loop: Header=BB6_3280 Depth=4
	s_or_b32 exec_lo, exec_lo, s39
	s_and_saveexec_b32 s38, s14
	s_cbranch_execz .LBB6_3557
.LBB6_3556:                             ;   in Loop: Header=BB6_3280 Depth=4
	v_and_b32_e32 v37, 0xffff, v37
	v_lshlrev_b32_e32 v49, 16, v14
	s_delay_alu instid0(VALU_DEP_2) | instskip(NEXT) | instid1(VALU_DEP_1)
	v_and_b32_e32 v38, 7, v37
	v_clz_i32_u32_e32 v39, v38
	s_delay_alu instid0(VALU_DEP_1) | instskip(NEXT) | instid1(VALU_DEP_1)
	v_min_u32_e32 v39, 32, v39
	v_subrev_nc_u32_e32 v48, 28, v39
	v_sub_nc_u32_e32 v39, 29, v39
	s_delay_alu instid0(VALU_DEP_2) | instskip(SKIP_1) | instid1(VALU_DEP_2)
	v_lshlrev_b32_e32 v48, v48, v37
	v_bfe_u32 v37, v37, 3, 4
	v_and_b32_e32 v48, 7, v48
	s_delay_alu instid0(VALU_DEP_2) | instskip(NEXT) | instid1(VALU_DEP_2)
	v_cmp_eq_u32_e32 vcc_lo, 0, v37
	v_dual_cndmask_b32 v37, v37, v39 :: v_dual_cndmask_b32 v38, v38, v48
	v_and_b32_e32 v39, 0x80000000, v49
	s_delay_alu instid0(VALU_DEP_2) | instskip(NEXT) | instid1(VALU_DEP_3)
	v_lshl_add_u32 v37, v37, 23, 0x3b800000
	v_lshlrev_b32_e32 v38, 20, v38
	s_delay_alu instid0(VALU_DEP_1)
	v_or3_b32 v38, v39, v37, v38
.LBB6_3557:                             ;   in Loop: Header=BB6_3280 Depth=4
	s_or_b32 exec_lo, exec_lo, s38
	s_mov_b32 s14, 0
	s_mov_b32 s39, exec_lo
                                        ; implicit-def: $sgpr38
	v_cmpx_lt_i16_e32 0x7f, v36
	s_xor_b32 s39, exec_lo, s39
	s_cbranch_execnz .LBB6_3898
; %bb.3558:                             ;   in Loop: Header=BB6_3280 Depth=4
	s_or_saveexec_b32 s39, s39
	v_mov_b32_e32 v37, s38
	s_xor_b32 exec_lo, exec_lo, s39
	s_cbranch_execnz .LBB6_3901
.LBB6_3559:                             ;   in Loop: Header=BB6_3280 Depth=4
	s_or_b32 exec_lo, exec_lo, s39
	s_and_saveexec_b32 s38, s14
	s_cbranch_execz .LBB6_3561
.LBB6_3560:                             ;   in Loop: Header=BB6_3280 Depth=4
	v_and_b32_e32 v36, 0xffff, v36
	v_lshlrev_b32_e32 v49, 16, v10
	s_delay_alu instid0(VALU_DEP_2) | instskip(NEXT) | instid1(VALU_DEP_1)
	v_and_b32_e32 v37, 7, v36
	v_clz_i32_u32_e32 v39, v37
	s_delay_alu instid0(VALU_DEP_1) | instskip(NEXT) | instid1(VALU_DEP_1)
	v_min_u32_e32 v39, 32, v39
	v_subrev_nc_u32_e32 v48, 28, v39
	v_sub_nc_u32_e32 v39, 29, v39
	s_delay_alu instid0(VALU_DEP_2) | instskip(SKIP_1) | instid1(VALU_DEP_2)
	v_lshlrev_b32_e32 v48, v48, v36
	v_bfe_u32 v36, v36, 3, 4
	v_and_b32_e32 v48, 7, v48
	s_delay_alu instid0(VALU_DEP_2) | instskip(NEXT) | instid1(VALU_DEP_2)
	v_cmp_eq_u32_e32 vcc_lo, 0, v36
	v_dual_cndmask_b32 v36, v36, v39 :: v_dual_cndmask_b32 v37, v37, v48
	v_and_b32_e32 v39, 0x80000000, v49
	s_delay_alu instid0(VALU_DEP_2) | instskip(NEXT) | instid1(VALU_DEP_3)
	v_lshl_add_u32 v36, v36, 23, 0x3b800000
	v_lshlrev_b32_e32 v37, 20, v37
	s_delay_alu instid0(VALU_DEP_1)
	v_or3_b32 v37, v39, v36, v37
.LBB6_3561:                             ;   in Loop: Header=BB6_3280 Depth=4
	s_or_b32 exec_lo, exec_lo, s38
	s_delay_alu instid0(VALU_DEP_1) | instskip(NEXT) | instid1(VALU_DEP_1)
	v_dual_max_f32 v36, v37, v37 :: v_dual_max_f32 v37, v38, v38
	v_min_f32_e32 v38, v37, v36
.LBB6_3562:                             ;   in Loop: Header=BB6_3280 Depth=4
	s_delay_alu instid0(VALU_DEP_1) | instskip(NEXT) | instid1(VALU_DEP_1)
	v_and_b32_e32 v36, 0x7f800000, v38
	v_cmp_ne_u32_e32 vcc_lo, 0x7f800000, v36
	v_mov_b32_e32 v36, 0x80
	s_and_saveexec_b32 s38, vcc_lo
	s_cbranch_execz .LBB6_3570
; %bb.3563:                             ;   in Loop: Header=BB6_3280 Depth=4
	v_mov_b32_e32 v36, 0
	s_mov_b32 s39, exec_lo
	v_cmpx_ne_u32_e32 0, v38
	s_cbranch_execz .LBB6_3569
; %bb.3564:                             ;   in Loop: Header=BB6_3280 Depth=4
	v_bfe_u32 v36, v38, 23, 8
	v_and_b32_e32 v37, 0x7fffff, v38
	s_delay_alu instid0(VALU_DEP_2) | instskip(SKIP_1) | instid1(VALU_DEP_3)
	v_sub_nc_u32_e32 v39, 0x78, v36
	v_cmp_gt_u32_e32 vcc_lo, 0x79, v36
	v_or_b32_e32 v48, 0x800000, v37
	s_delay_alu instid0(VALU_DEP_3) | instskip(SKIP_2) | instid1(VALU_DEP_3)
	v_cndmask_b32_e32 v39, 0, v39, vcc_lo
	v_cmp_eq_u32_e32 vcc_lo, 0, v36
	v_add_nc_u32_e32 v36, 0xffffff89, v36
	v_cndmask_b32_e64 v39, v39, 0x77, vcc_lo
	v_cndmask_b32_e32 v37, v48, v37, vcc_lo
	s_delay_alu instid0(VALU_DEP_3) | instskip(NEXT) | instid1(VALU_DEP_3)
	v_cndmask_b32_e64 v36, v36, 0xffffff8a, vcc_lo
	v_lshl_add_u32 v48, 0x100000, v39, -1
	s_delay_alu instid0(VALU_DEP_3) | instskip(SKIP_1) | instid1(VALU_DEP_4)
	v_lshrrev_b32_e32 v49, v39, v37
	v_lshlrev_b32_e64 v51, v39, 0x80000
	v_add_nc_u32_e32 v39, v39, v36
	s_delay_alu instid0(VALU_DEP_4) | instskip(NEXT) | instid1(VALU_DEP_4)
	v_and_b32_e32 v37, v48, v37
	v_bfe_u32 v50, v49, 20, 1
	s_delay_alu instid0(VALU_DEP_2) | instskip(NEXT) | instid1(VALU_DEP_2)
	v_cmp_eq_u32_e64 s14, v37, v51
	v_add_nc_u32_e32 v48, -1, v50
	s_delay_alu instid0(VALU_DEP_1) | instskip(SKIP_2) | instid1(VALU_DEP_2)
	v_cndmask_b32_e64 v37, 0, v48, s14
	v_lshrrev_b32_e32 v48, 23, v49
	s_mov_b32 s14, exec_lo
	v_add_nc_u32_e32 v37, v37, v49
	s_delay_alu instid0(VALU_DEP_2) | instskip(NEXT) | instid1(VALU_DEP_2)
	v_xor_b32_e32 v48, 1, v48
	v_and_b32_e32 v36, 0xfffff, v37
	s_delay_alu instid0(VALU_DEP_1) | instskip(NEXT) | instid1(VALU_DEP_3)
	v_add_nc_u32_e32 v37, v36, v49
                                        ; implicit-def: $vgpr36
	v_cmpx_ne_u32_e64 v39, v48
	s_xor_b32 s14, exec_lo, s14
; %bb.3565:                             ;   in Loop: Header=BB6_3280 Depth=4
	s_delay_alu instid0(VALU_DEP_2) | instskip(SKIP_2) | instid1(VALU_DEP_2)
	v_cmp_lt_u32_e32 vcc_lo, 0xffffff, v37
	v_sub_nc_u32_e32 v36, v39, v48
	v_cndmask_b32_e64 v39, 0, 1, vcc_lo
	v_add_co_ci_u32_e32 v36, vcc_lo, 0, v36, vcc_lo
	s_delay_alu instid0(VALU_DEP_2)
	v_lshrrev_b32_e32 v37, v39, v37
; %bb.3566:                             ;   in Loop: Header=BB6_3280 Depth=4
	s_and_not1_saveexec_b32 s14, s14
; %bb.3567:                             ;   in Loop: Header=BB6_3280 Depth=4
	s_delay_alu instid0(VALU_DEP_1)
	v_bfe_u32 v36, v37, 23, 1
; %bb.3568:                             ;   in Loop: Header=BB6_3280 Depth=4
	s_or_b32 exec_lo, exec_lo, s14
	v_lshrrev_b32_e32 v37, 20, v37
	s_delay_alu instid0(VALU_DEP_2) | instskip(SKIP_2) | instid1(VALU_DEP_2)
	v_cmp_gt_i32_e32 vcc_lo, 16, v36
	v_lshrrev_b32_e32 v38, 24, v38
	v_min_i32_e32 v39, 15, v36
	v_dual_cndmask_b32 v37, 7, v37 :: v_dual_and_b32 v38, 0x80, v38
	s_delay_alu instid0(VALU_DEP_1) | instskip(SKIP_1) | instid1(VALU_DEP_2)
	v_or_b32_e32 v36, v36, v37
	v_and_b32_e32 v48, 7, v37
	v_cmp_ne_u32_e32 vcc_lo, 0, v36
	v_lshlrev_b32_e32 v39, 3, v39
	s_delay_alu instid0(VALU_DEP_1) | instskip(NEXT) | instid1(VALU_DEP_1)
	v_or3_b32 v37, v39, v38, v48
	v_cndmask_b32_e32 v36, 0, v37, vcc_lo
.LBB6_3569:                             ;   in Loop: Header=BB6_3280 Depth=4
	s_or_b32 exec_lo, exec_lo, s39
.LBB6_3570:                             ;   in Loop: Header=BB6_3280 Depth=4
	s_delay_alu instid0(SALU_CYCLE_1)
	s_or_b32 exec_lo, exec_lo, s38
	v_lshrrev_b32_e32 v38, 16, v14
	v_lshrrev_b32_e32 v37, 16, v10
	s_and_b32 vcc_lo, exec_lo, s37
	s_cbranch_vccz .LBB6_3580
; %bb.3571:                             ;   in Loop: Header=BB6_3280 Depth=4
	s_delay_alu instid0(VALU_DEP_2) | instskip(SKIP_2) | instid1(VALU_DEP_1)
	v_and_b32_e32 v48, 0xff, v38
	s_mov_b32 s14, 0
	s_mov_b32 s39, exec_lo
                                        ; implicit-def: $sgpr38
	v_cmpx_lt_i16_e32 0x7f, v48
	s_xor_b32 s39, exec_lo, s39
	s_cbranch_execnz .LBB6_3902
; %bb.3572:                             ;   in Loop: Header=BB6_3280 Depth=4
	s_or_saveexec_b32 s39, s39
	v_mov_b32_e32 v39, s38
	s_xor_b32 exec_lo, exec_lo, s39
	s_cbranch_execnz .LBB6_3905
.LBB6_3573:                             ;   in Loop: Header=BB6_3280 Depth=4
	s_or_b32 exec_lo, exec_lo, s39
	s_and_saveexec_b32 s38, s14
	s_cbranch_execz .LBB6_3575
.LBB6_3574:                             ;   in Loop: Header=BB6_3280 Depth=4
	v_bfe_u32 v39, v14, 16, 3
	v_bfe_u32 v50, v14, 19, 4
	v_lshlrev_b32_e32 v51, 24, v38
	s_delay_alu instid0(VALU_DEP_3) | instskip(NEXT) | instid1(VALU_DEP_3)
	v_clz_i32_u32_e32 v48, v39
	v_cmp_eq_u32_e32 vcc_lo, 0, v50
	s_delay_alu instid0(VALU_DEP_2) | instskip(NEXT) | instid1(VALU_DEP_1)
	v_min_u32_e32 v48, 32, v48
	v_subrev_nc_u32_e32 v49, 28, v48
	v_sub_nc_u32_e32 v48, 29, v48
	s_delay_alu instid0(VALU_DEP_1) | instskip(NEXT) | instid1(VALU_DEP_1)
	v_dual_cndmask_b32 v48, v50, v48 :: v_dual_lshlrev_b32 v49, v49, v38
	v_and_b32_e32 v49, 7, v49
	s_delay_alu instid0(VALU_DEP_2) | instskip(NEXT) | instid1(VALU_DEP_2)
	v_lshl_add_u32 v48, v48, 23, 0x3b800000
	v_cndmask_b32_e32 v39, v39, v49, vcc_lo
	v_and_b32_e32 v49, 0x80000000, v51
	s_delay_alu instid0(VALU_DEP_2) | instskip(NEXT) | instid1(VALU_DEP_1)
	v_lshlrev_b32_e32 v39, 20, v39
	v_or3_b32 v39, v49, v48, v39
.LBB6_3575:                             ;   in Loop: Header=BB6_3280 Depth=4
	s_or_b32 exec_lo, exec_lo, s38
	v_and_b32_e32 v49, 0xff, v37
	s_mov_b32 s14, 0
	s_mov_b32 s39, exec_lo
                                        ; implicit-def: $sgpr38
	s_delay_alu instid0(VALU_DEP_1)
	v_cmpx_lt_i16_e32 0x7f, v49
	s_xor_b32 s39, exec_lo, s39
	s_cbranch_execnz .LBB6_3906
; %bb.3576:                             ;   in Loop: Header=BB6_3280 Depth=4
	s_or_saveexec_b32 s39, s39
	v_mov_b32_e32 v48, s38
	s_xor_b32 exec_lo, exec_lo, s39
	s_cbranch_execnz .LBB6_3909
.LBB6_3577:                             ;   in Loop: Header=BB6_3280 Depth=4
	s_or_b32 exec_lo, exec_lo, s39
	s_and_saveexec_b32 s38, s14
	s_cbranch_execz .LBB6_3579
.LBB6_3578:                             ;   in Loop: Header=BB6_3280 Depth=4
	v_bfe_u32 v48, v10, 16, 3
	v_bfe_u32 v51, v10, 19, 4
	v_lshlrev_b32_e32 v112, 24, v37
	s_delay_alu instid0(VALU_DEP_3) | instskip(NEXT) | instid1(VALU_DEP_3)
	v_clz_i32_u32_e32 v49, v48
	v_cmp_eq_u32_e32 vcc_lo, 0, v51
	s_delay_alu instid0(VALU_DEP_2) | instskip(NEXT) | instid1(VALU_DEP_1)
	v_min_u32_e32 v49, 32, v49
	v_subrev_nc_u32_e32 v50, 28, v49
	v_sub_nc_u32_e32 v49, 29, v49
	s_delay_alu instid0(VALU_DEP_2) | instskip(NEXT) | instid1(VALU_DEP_1)
	v_lshlrev_b32_e32 v50, v50, v37
	v_dual_cndmask_b32 v49, v51, v49 :: v_dual_and_b32 v50, 7, v50
	s_delay_alu instid0(VALU_DEP_1) | instskip(NEXT) | instid1(VALU_DEP_2)
	v_lshl_add_u32 v49, v49, 23, 0x3b800000
	v_cndmask_b32_e32 v48, v48, v50, vcc_lo
	v_and_b32_e32 v50, 0x80000000, v112
	s_delay_alu instid0(VALU_DEP_2) | instskip(NEXT) | instid1(VALU_DEP_1)
	v_lshlrev_b32_e32 v48, 20, v48
	v_or3_b32 v48, v50, v49, v48
.LBB6_3579:                             ;   in Loop: Header=BB6_3280 Depth=4
	s_or_b32 exec_lo, exec_lo, s38
	s_delay_alu instid0(VALU_DEP_1) | instskip(SKIP_1) | instid1(VALU_DEP_1)
	v_dual_max_f32 v48, v48, v48 :: v_dual_max_f32 v39, v39, v39
	s_mov_b32 s14, 0
	v_max_f32_e32 v39, v39, v48
	s_branch .LBB6_3581
.LBB6_3580:                             ;   in Loop: Header=BB6_3280 Depth=4
	s_mov_b32 s14, -1
                                        ; implicit-def: $vgpr39
.LBB6_3581:                             ;   in Loop: Header=BB6_3280 Depth=4
	s_delay_alu instid0(SALU_CYCLE_1)
	s_and_b32 vcc_lo, exec_lo, s14
	s_cbranch_vccz .LBB6_3591
; %bb.3582:                             ;   in Loop: Header=BB6_3280 Depth=4
	v_and_b32_e32 v48, 0xff, v38
	s_mov_b32 s14, 0
	s_mov_b32 s39, exec_lo
                                        ; implicit-def: $sgpr38
	s_delay_alu instid0(VALU_DEP_1)
	v_cmpx_lt_i16_e32 0x7f, v48
	s_xor_b32 s39, exec_lo, s39
	s_cbranch_execnz .LBB6_3910
; %bb.3583:                             ;   in Loop: Header=BB6_3280 Depth=4
	s_or_saveexec_b32 s39, s39
	v_mov_b32_e32 v39, s38
	s_xor_b32 exec_lo, exec_lo, s39
	s_cbranch_execnz .LBB6_3913
.LBB6_3584:                             ;   in Loop: Header=BB6_3280 Depth=4
	s_or_b32 exec_lo, exec_lo, s39
	s_and_saveexec_b32 s38, s14
	s_cbranch_execz .LBB6_3586
.LBB6_3585:                             ;   in Loop: Header=BB6_3280 Depth=4
	v_bfe_u32 v39, v14, 16, 3
	v_bfe_u32 v50, v14, 19, 4
	s_delay_alu instid0(VALU_DEP_2) | instskip(NEXT) | instid1(VALU_DEP_2)
	v_clz_i32_u32_e32 v48, v39
	v_cmp_eq_u32_e32 vcc_lo, 0, v50
	s_delay_alu instid0(VALU_DEP_2) | instskip(NEXT) | instid1(VALU_DEP_1)
	v_min_u32_e32 v48, 32, v48
	v_subrev_nc_u32_e32 v49, 28, v48
	v_sub_nc_u32_e32 v48, 29, v48
	s_delay_alu instid0(VALU_DEP_1) | instskip(NEXT) | instid1(VALU_DEP_1)
	v_dual_cndmask_b32 v48, v50, v48 :: v_dual_lshlrev_b32 v49, v49, v38
	v_and_b32_e32 v49, 7, v49
	v_lshlrev_b32_e32 v38, 24, v38
	s_delay_alu instid0(VALU_DEP_3) | instskip(NEXT) | instid1(VALU_DEP_2)
	v_lshl_add_u32 v48, v48, 23, 0x3b800000
	v_dual_cndmask_b32 v39, v39, v49 :: v_dual_and_b32 v38, 0x80000000, v38
	s_delay_alu instid0(VALU_DEP_1) | instskip(NEXT) | instid1(VALU_DEP_1)
	v_lshlrev_b32_e32 v39, 20, v39
	v_or3_b32 v39, v38, v48, v39
.LBB6_3586:                             ;   in Loop: Header=BB6_3280 Depth=4
	s_or_b32 exec_lo, exec_lo, s38
	v_and_b32_e32 v48, 0xff, v37
	s_mov_b32 s14, 0
	s_mov_b32 s39, exec_lo
                                        ; implicit-def: $sgpr38
	s_delay_alu instid0(VALU_DEP_1)
	v_cmpx_lt_i16_e32 0x7f, v48
	s_xor_b32 s39, exec_lo, s39
	s_cbranch_execnz .LBB6_3914
; %bb.3587:                             ;   in Loop: Header=BB6_3280 Depth=4
	s_or_saveexec_b32 s39, s39
	v_mov_b32_e32 v38, s38
	s_xor_b32 exec_lo, exec_lo, s39
	s_cbranch_execnz .LBB6_3917
.LBB6_3588:                             ;   in Loop: Header=BB6_3280 Depth=4
	s_or_b32 exec_lo, exec_lo, s39
	s_and_saveexec_b32 s38, s14
	s_cbranch_execz .LBB6_3590
.LBB6_3589:                             ;   in Loop: Header=BB6_3280 Depth=4
	v_bfe_u32 v38, v10, 16, 3
	v_bfe_u32 v50, v10, 19, 4
	s_delay_alu instid0(VALU_DEP_2) | instskip(NEXT) | instid1(VALU_DEP_2)
	v_clz_i32_u32_e32 v48, v38
	v_cmp_eq_u32_e32 vcc_lo, 0, v50
	s_delay_alu instid0(VALU_DEP_2) | instskip(NEXT) | instid1(VALU_DEP_1)
	v_min_u32_e32 v48, 32, v48
	v_subrev_nc_u32_e32 v49, 28, v48
	v_sub_nc_u32_e32 v48, 29, v48
	s_delay_alu instid0(VALU_DEP_1) | instskip(SKIP_1) | instid1(VALU_DEP_2)
	v_dual_cndmask_b32 v48, v50, v48 :: v_dual_lshlrev_b32 v49, v49, v37
	v_lshlrev_b32_e32 v37, 24, v37
	v_and_b32_e32 v49, 7, v49
	s_delay_alu instid0(VALU_DEP_3) | instskip(NEXT) | instid1(VALU_DEP_3)
	v_lshl_add_u32 v48, v48, 23, 0x3b800000
	v_and_b32_e32 v37, 0x80000000, v37
	s_delay_alu instid0(VALU_DEP_3) | instskip(NEXT) | instid1(VALU_DEP_1)
	v_cndmask_b32_e32 v38, v38, v49, vcc_lo
	v_lshlrev_b32_e32 v38, 20, v38
	s_delay_alu instid0(VALU_DEP_1)
	v_or3_b32 v38, v37, v48, v38
.LBB6_3590:                             ;   in Loop: Header=BB6_3280 Depth=4
	s_or_b32 exec_lo, exec_lo, s38
	s_delay_alu instid0(VALU_DEP_1) | instskip(NEXT) | instid1(VALU_DEP_1)
	v_dual_max_f32 v37, v38, v38 :: v_dual_max_f32 v38, v39, v39
	v_min_f32_e32 v39, v38, v37
.LBB6_3591:                             ;   in Loop: Header=BB6_3280 Depth=4
	s_delay_alu instid0(VALU_DEP_1) | instskip(NEXT) | instid1(VALU_DEP_1)
	v_and_b32_e32 v37, 0x7f800000, v39
	v_cmp_ne_u32_e32 vcc_lo, 0x7f800000, v37
	v_mov_b32_e32 v37, 0x80
	s_and_saveexec_b32 s38, vcc_lo
	s_cbranch_execz .LBB6_3599
; %bb.3592:                             ;   in Loop: Header=BB6_3280 Depth=4
	v_mov_b32_e32 v37, 0
	s_mov_b32 s39, exec_lo
	v_cmpx_ne_u32_e32 0, v39
	s_cbranch_execz .LBB6_3598
; %bb.3593:                             ;   in Loop: Header=BB6_3280 Depth=4
	v_bfe_u32 v37, v39, 23, 8
	v_and_b32_e32 v38, 0x7fffff, v39
	s_delay_alu instid0(VALU_DEP_2) | instskip(SKIP_1) | instid1(VALU_DEP_3)
	v_sub_nc_u32_e32 v48, 0x78, v37
	v_cmp_gt_u32_e32 vcc_lo, 0x79, v37
	v_or_b32_e32 v49, 0x800000, v38
	s_delay_alu instid0(VALU_DEP_3) | instskip(SKIP_2) | instid1(VALU_DEP_3)
	v_cndmask_b32_e32 v48, 0, v48, vcc_lo
	v_cmp_eq_u32_e32 vcc_lo, 0, v37
	v_add_nc_u32_e32 v37, 0xffffff89, v37
	v_cndmask_b32_e64 v48, v48, 0x77, vcc_lo
	v_cndmask_b32_e32 v38, v49, v38, vcc_lo
	s_delay_alu instid0(VALU_DEP_3) | instskip(NEXT) | instid1(VALU_DEP_3)
	v_cndmask_b32_e64 v37, v37, 0xffffff8a, vcc_lo
	v_lshl_add_u32 v49, 0x100000, v48, -1
	s_delay_alu instid0(VALU_DEP_3) | instskip(SKIP_1) | instid1(VALU_DEP_4)
	v_lshrrev_b32_e32 v50, v48, v38
	v_lshlrev_b32_e64 v112, v48, 0x80000
	v_add_nc_u32_e32 v48, v48, v37
	s_delay_alu instid0(VALU_DEP_4) | instskip(NEXT) | instid1(VALU_DEP_4)
	v_and_b32_e32 v38, v49, v38
	v_bfe_u32 v51, v50, 20, 1
	s_delay_alu instid0(VALU_DEP_2) | instskip(NEXT) | instid1(VALU_DEP_2)
	v_cmp_eq_u32_e64 s14, v38, v112
	v_add_nc_u32_e32 v49, -1, v51
	s_delay_alu instid0(VALU_DEP_1) | instskip(SKIP_2) | instid1(VALU_DEP_2)
	v_cndmask_b32_e64 v38, 0, v49, s14
	v_lshrrev_b32_e32 v49, 23, v50
	s_mov_b32 s14, exec_lo
	v_add_nc_u32_e32 v38, v38, v50
	s_delay_alu instid0(VALU_DEP_2) | instskip(NEXT) | instid1(VALU_DEP_2)
	v_xor_b32_e32 v49, 1, v49
	v_and_b32_e32 v37, 0xfffff, v38
	s_delay_alu instid0(VALU_DEP_1) | instskip(NEXT) | instid1(VALU_DEP_3)
	v_add_nc_u32_e32 v38, v37, v50
                                        ; implicit-def: $vgpr37
	v_cmpx_ne_u32_e64 v48, v49
	s_xor_b32 s14, exec_lo, s14
; %bb.3594:                             ;   in Loop: Header=BB6_3280 Depth=4
	s_delay_alu instid0(VALU_DEP_2) | instskip(SKIP_2) | instid1(VALU_DEP_2)
	v_cmp_lt_u32_e32 vcc_lo, 0xffffff, v38
	v_sub_nc_u32_e32 v37, v48, v49
	v_cndmask_b32_e64 v48, 0, 1, vcc_lo
	v_add_co_ci_u32_e32 v37, vcc_lo, 0, v37, vcc_lo
	s_delay_alu instid0(VALU_DEP_2)
	v_lshrrev_b32_e32 v38, v48, v38
; %bb.3595:                             ;   in Loop: Header=BB6_3280 Depth=4
	s_and_not1_saveexec_b32 s14, s14
; %bb.3596:                             ;   in Loop: Header=BB6_3280 Depth=4
	s_delay_alu instid0(VALU_DEP_1)
	v_bfe_u32 v37, v38, 23, 1
; %bb.3597:                             ;   in Loop: Header=BB6_3280 Depth=4
	s_or_b32 exec_lo, exec_lo, s14
	v_lshrrev_b32_e32 v38, 20, v38
	s_delay_alu instid0(VALU_DEP_2) | instskip(SKIP_2) | instid1(VALU_DEP_2)
	v_cmp_gt_i32_e32 vcc_lo, 16, v37
	v_lshrrev_b32_e32 v39, 24, v39
	v_min_i32_e32 v48, 15, v37
	v_dual_cndmask_b32 v38, 7, v38 :: v_dual_and_b32 v39, 0x80, v39
	s_delay_alu instid0(VALU_DEP_1) | instskip(SKIP_1) | instid1(VALU_DEP_2)
	v_or_b32_e32 v37, v37, v38
	v_and_b32_e32 v49, 7, v38
	v_cmp_ne_u32_e32 vcc_lo, 0, v37
	v_lshlrev_b32_e32 v48, 3, v48
	s_delay_alu instid0(VALU_DEP_1) | instskip(NEXT) | instid1(VALU_DEP_1)
	v_or3_b32 v38, v48, v39, v49
	v_cndmask_b32_e32 v37, 0, v38, vcc_lo
.LBB6_3598:                             ;   in Loop: Header=BB6_3280 Depth=4
	s_or_b32 exec_lo, exec_lo, s39
.LBB6_3599:                             ;   in Loop: Header=BB6_3280 Depth=4
	s_delay_alu instid0(SALU_CYCLE_1)
	s_or_b32 exec_lo, exec_lo, s38
	v_lshrrev_b32_e32 v39, 24, v14
	v_lshrrev_b32_e32 v38, 24, v10
	s_and_b32 vcc_lo, exec_lo, s37
	s_cbranch_vccz .LBB6_3609
; %bb.3600:                             ;   in Loop: Header=BB6_3280 Depth=4
	s_mov_b32 s14, 0
	s_mov_b32 s39, exec_lo
                                        ; implicit-def: $sgpr38
	v_cmpx_lt_i16_e32 0x7f, v39
	s_xor_b32 s39, exec_lo, s39
	s_cbranch_execnz .LBB6_3918
; %bb.3601:                             ;   in Loop: Header=BB6_3280 Depth=4
	s_or_saveexec_b32 s39, s39
	v_mov_b32_e32 v48, s38
	s_xor_b32 exec_lo, exec_lo, s39
	s_cbranch_execnz .LBB6_3921
.LBB6_3602:                             ;   in Loop: Header=BB6_3280 Depth=4
	s_or_b32 exec_lo, exec_lo, s39
	s_and_saveexec_b32 s38, s14
	s_cbranch_execz .LBB6_3604
.LBB6_3603:                             ;   in Loop: Header=BB6_3280 Depth=4
	v_bfe_u32 v48, v14, 24, 3
	v_bfe_u32 v51, v14, 27, 4
	s_delay_alu instid0(VALU_DEP_2) | instskip(NEXT) | instid1(VALU_DEP_2)
	v_clz_i32_u32_e32 v49, v48
	v_cmp_eq_u32_e32 vcc_lo, 0, v51
	s_delay_alu instid0(VALU_DEP_2) | instskip(NEXT) | instid1(VALU_DEP_1)
	v_min_u32_e32 v49, 32, v49
	v_subrev_nc_u32_e32 v50, 28, v49
	v_sub_nc_u32_e32 v49, 29, v49
	s_delay_alu instid0(VALU_DEP_1) | instskip(NEXT) | instid1(VALU_DEP_1)
	v_dual_cndmask_b32 v49, v51, v49 :: v_dual_lshlrev_b32 v50, v50, v39
	v_and_b32_e32 v50, 7, v50
	s_delay_alu instid0(VALU_DEP_2) | instskip(NEXT) | instid1(VALU_DEP_2)
	v_lshl_add_u32 v49, v49, 23, 0x3b800000
	v_cndmask_b32_e32 v48, v48, v50, vcc_lo
	v_and_b32_e32 v50, 0x80000000, v14
	s_delay_alu instid0(VALU_DEP_2) | instskip(NEXT) | instid1(VALU_DEP_1)
	v_lshlrev_b32_e32 v48, 20, v48
	v_or3_b32 v48, v50, v49, v48
.LBB6_3604:                             ;   in Loop: Header=BB6_3280 Depth=4
	s_or_b32 exec_lo, exec_lo, s38
	s_mov_b32 s14, 0
	s_mov_b32 s39, exec_lo
                                        ; implicit-def: $sgpr38
	v_cmpx_lt_i16_e32 0x7f, v38
	s_xor_b32 s39, exec_lo, s39
	s_cbranch_execnz .LBB6_3922
; %bb.3605:                             ;   in Loop: Header=BB6_3280 Depth=4
	s_or_saveexec_b32 s39, s39
	v_mov_b32_e32 v49, s38
	s_xor_b32 exec_lo, exec_lo, s39
	s_cbranch_execnz .LBB6_3925
.LBB6_3606:                             ;   in Loop: Header=BB6_3280 Depth=4
	s_or_b32 exec_lo, exec_lo, s39
	s_and_saveexec_b32 s38, s14
	s_cbranch_execz .LBB6_3608
.LBB6_3607:                             ;   in Loop: Header=BB6_3280 Depth=4
	v_bfe_u32 v49, v10, 24, 3
	v_bfe_u32 v112, v10, 27, 4
	s_delay_alu instid0(VALU_DEP_2) | instskip(NEXT) | instid1(VALU_DEP_2)
	v_clz_i32_u32_e32 v50, v49
	v_cmp_eq_u32_e32 vcc_lo, 0, v112
	s_delay_alu instid0(VALU_DEP_2) | instskip(NEXT) | instid1(VALU_DEP_1)
	v_min_u32_e32 v50, 32, v50
	v_subrev_nc_u32_e32 v51, 28, v50
	v_sub_nc_u32_e32 v50, 29, v50
	s_delay_alu instid0(VALU_DEP_2) | instskip(NEXT) | instid1(VALU_DEP_1)
	v_lshlrev_b32_e32 v51, v51, v38
	v_dual_cndmask_b32 v50, v112, v50 :: v_dual_and_b32 v51, 7, v51
	s_delay_alu instid0(VALU_DEP_1) | instskip(NEXT) | instid1(VALU_DEP_2)
	v_lshl_add_u32 v50, v50, 23, 0x3b800000
	v_cndmask_b32_e32 v49, v49, v51, vcc_lo
	v_and_b32_e32 v51, 0x80000000, v10
	s_delay_alu instid0(VALU_DEP_2) | instskip(NEXT) | instid1(VALU_DEP_1)
	v_lshlrev_b32_e32 v49, 20, v49
	v_or3_b32 v49, v51, v50, v49
.LBB6_3608:                             ;   in Loop: Header=BB6_3280 Depth=4
	s_or_b32 exec_lo, exec_lo, s38
	s_delay_alu instid0(VALU_DEP_1) | instskip(SKIP_1) | instid1(VALU_DEP_1)
	v_dual_max_f32 v49, v49, v49 :: v_dual_max_f32 v48, v48, v48
	s_mov_b32 s14, 0
	v_max_f32_e32 v48, v48, v49
	s_branch .LBB6_3610
.LBB6_3609:                             ;   in Loop: Header=BB6_3280 Depth=4
	s_mov_b32 s14, -1
                                        ; implicit-def: $vgpr48
.LBB6_3610:                             ;   in Loop: Header=BB6_3280 Depth=4
	s_delay_alu instid0(SALU_CYCLE_1)
	s_and_b32 vcc_lo, exec_lo, s14
	s_cbranch_vccz .LBB6_3620
; %bb.3611:                             ;   in Loop: Header=BB6_3280 Depth=4
	s_mov_b32 s14, 0
	s_mov_b32 s39, exec_lo
                                        ; implicit-def: $sgpr38
	v_cmpx_lt_i16_e32 0x7f, v39
	s_xor_b32 s39, exec_lo, s39
	s_cbranch_execnz .LBB6_3926
; %bb.3612:                             ;   in Loop: Header=BB6_3280 Depth=4
	s_or_saveexec_b32 s39, s39
	v_mov_b32_e32 v48, s38
	s_xor_b32 exec_lo, exec_lo, s39
	s_cbranch_execnz .LBB6_3929
.LBB6_3613:                             ;   in Loop: Header=BB6_3280 Depth=4
	s_or_b32 exec_lo, exec_lo, s39
	s_and_saveexec_b32 s38, s14
	s_cbranch_execz .LBB6_3615
.LBB6_3614:                             ;   in Loop: Header=BB6_3280 Depth=4
	v_bfe_u32 v48, v14, 24, 3
	s_delay_alu instid0(VALU_DEP_1) | instskip(NEXT) | instid1(VALU_DEP_1)
	v_clz_i32_u32_e32 v49, v48
	v_min_u32_e32 v49, 32, v49
	s_delay_alu instid0(VALU_DEP_1) | instskip(SKIP_1) | instid1(VALU_DEP_2)
	v_subrev_nc_u32_e32 v50, 28, v49
	v_sub_nc_u32_e32 v49, 29, v49
	v_lshlrev_b32_e32 v39, v50, v39
	v_bfe_u32 v50, v14, 27, 4
	v_and_b32_e32 v14, 0x80000000, v14
	s_delay_alu instid0(VALU_DEP_3) | instskip(NEXT) | instid1(VALU_DEP_3)
	v_and_b32_e32 v39, 7, v39
	v_cmp_eq_u32_e32 vcc_lo, 0, v50
	v_cndmask_b32_e32 v49, v50, v49, vcc_lo
	s_delay_alu instid0(VALU_DEP_3) | instskip(NEXT) | instid1(VALU_DEP_2)
	v_cndmask_b32_e32 v39, v48, v39, vcc_lo
	v_lshl_add_u32 v48, v49, 23, 0x3b800000
	s_delay_alu instid0(VALU_DEP_2) | instskip(NEXT) | instid1(VALU_DEP_1)
	v_lshlrev_b32_e32 v39, 20, v39
	v_or3_b32 v48, v14, v48, v39
.LBB6_3615:                             ;   in Loop: Header=BB6_3280 Depth=4
	s_or_b32 exec_lo, exec_lo, s38
	s_mov_b32 s14, 0
	s_mov_b32 s39, exec_lo
                                        ; implicit-def: $sgpr38
	v_cmpx_lt_i16_e32 0x7f, v38
	s_xor_b32 s39, exec_lo, s39
	s_cbranch_execnz .LBB6_3930
; %bb.3616:                             ;   in Loop: Header=BB6_3280 Depth=4
	s_or_saveexec_b32 s39, s39
	v_mov_b32_e32 v14, s38
	s_xor_b32 exec_lo, exec_lo, s39
	s_cbranch_execnz .LBB6_3933
.LBB6_3617:                             ;   in Loop: Header=BB6_3280 Depth=4
	s_or_b32 exec_lo, exec_lo, s39
	s_and_saveexec_b32 s38, s14
	s_cbranch_execz .LBB6_3619
.LBB6_3618:                             ;   in Loop: Header=BB6_3280 Depth=4
	v_bfe_u32 v14, v10, 24, 3
	s_delay_alu instid0(VALU_DEP_1) | instskip(NEXT) | instid1(VALU_DEP_1)
	v_clz_i32_u32_e32 v39, v14
	v_min_u32_e32 v39, 32, v39
	s_delay_alu instid0(VALU_DEP_1) | instskip(SKIP_1) | instid1(VALU_DEP_2)
	v_subrev_nc_u32_e32 v49, 28, v39
	v_sub_nc_u32_e32 v39, 29, v39
	v_lshlrev_b32_e32 v38, v49, v38
	v_bfe_u32 v49, v10, 27, 4
	v_and_b32_e32 v10, 0x80000000, v10
	s_delay_alu instid0(VALU_DEP_2) | instskip(NEXT) | instid1(VALU_DEP_4)
	v_cmp_eq_u32_e32 vcc_lo, 0, v49
	v_dual_cndmask_b32 v39, v49, v39 :: v_dual_and_b32 v38, 7, v38
	s_delay_alu instid0(VALU_DEP_1) | instskip(NEXT) | instid1(VALU_DEP_2)
	v_cndmask_b32_e32 v14, v14, v38, vcc_lo
	v_lshl_add_u32 v38, v39, 23, 0x3b800000
	s_delay_alu instid0(VALU_DEP_2) | instskip(NEXT) | instid1(VALU_DEP_1)
	v_lshlrev_b32_e32 v14, 20, v14
	v_or3_b32 v14, v10, v38, v14
.LBB6_3619:                             ;   in Loop: Header=BB6_3280 Depth=4
	s_or_b32 exec_lo, exec_lo, s38
	s_delay_alu instid0(VALU_DEP_1) | instskip(SKIP_1) | instid1(VALU_DEP_1)
	v_max_f32_e32 v10, v14, v14
	v_max_f32_e32 v14, v48, v48
	v_min_f32_e32 v48, v14, v10
.LBB6_3620:                             ;   in Loop: Header=BB6_3280 Depth=4
	s_delay_alu instid0(VALU_DEP_1) | instskip(NEXT) | instid1(VALU_DEP_1)
	v_and_b32_e32 v10, 0x7f800000, v48
	v_cmp_ne_u32_e32 vcc_lo, 0x7f800000, v10
	v_mov_b32_e32 v10, 0x80
	s_and_saveexec_b32 s38, vcc_lo
	s_cbranch_execz .LBB6_3628
; %bb.3621:                             ;   in Loop: Header=BB6_3280 Depth=4
	v_mov_b32_e32 v10, 0
	s_mov_b32 s39, exec_lo
	v_cmpx_ne_u32_e32 0, v48
	s_cbranch_execz .LBB6_3627
; %bb.3622:                             ;   in Loop: Header=BB6_3280 Depth=4
	v_bfe_u32 v10, v48, 23, 8
	v_and_b32_e32 v14, 0x7fffff, v48
	s_delay_alu instid0(VALU_DEP_2) | instskip(SKIP_1) | instid1(VALU_DEP_3)
	v_sub_nc_u32_e32 v38, 0x78, v10
	v_cmp_gt_u32_e32 vcc_lo, 0x79, v10
	v_or_b32_e32 v39, 0x800000, v14
	s_delay_alu instid0(VALU_DEP_3) | instskip(SKIP_2) | instid1(VALU_DEP_3)
	v_cndmask_b32_e32 v38, 0, v38, vcc_lo
	v_cmp_eq_u32_e32 vcc_lo, 0, v10
	v_add_nc_u32_e32 v10, 0xffffff89, v10
	v_cndmask_b32_e64 v38, v38, 0x77, vcc_lo
	v_cndmask_b32_e32 v14, v39, v14, vcc_lo
	s_delay_alu instid0(VALU_DEP_3) | instskip(NEXT) | instid1(VALU_DEP_3)
	v_cndmask_b32_e64 v10, v10, 0xffffff8a, vcc_lo
	v_lshl_add_u32 v39, 0x100000, v38, -1
	s_delay_alu instid0(VALU_DEP_3) | instskip(SKIP_1) | instid1(VALU_DEP_4)
	v_lshrrev_b32_e32 v49, v38, v14
	v_lshlrev_b32_e64 v51, v38, 0x80000
	v_add_nc_u32_e32 v38, v38, v10
	s_delay_alu instid0(VALU_DEP_4) | instskip(NEXT) | instid1(VALU_DEP_4)
	v_and_b32_e32 v14, v39, v14
	v_bfe_u32 v50, v49, 20, 1
	s_delay_alu instid0(VALU_DEP_2) | instskip(NEXT) | instid1(VALU_DEP_2)
	v_cmp_eq_u32_e64 s14, v14, v51
	v_add_nc_u32_e32 v39, -1, v50
	s_delay_alu instid0(VALU_DEP_1) | instskip(SKIP_2) | instid1(VALU_DEP_2)
	v_cndmask_b32_e64 v14, 0, v39, s14
	v_lshrrev_b32_e32 v39, 23, v49
	s_mov_b32 s14, exec_lo
	v_add_nc_u32_e32 v14, v14, v49
	s_delay_alu instid0(VALU_DEP_2) | instskip(NEXT) | instid1(VALU_DEP_2)
	v_xor_b32_e32 v39, 1, v39
	v_and_b32_e32 v10, 0xfffff, v14
	s_delay_alu instid0(VALU_DEP_1) | instskip(NEXT) | instid1(VALU_DEP_3)
	v_add_nc_u32_e32 v14, v10, v49
                                        ; implicit-def: $vgpr10
	v_cmpx_ne_u32_e64 v38, v39
	s_xor_b32 s14, exec_lo, s14
; %bb.3623:                             ;   in Loop: Header=BB6_3280 Depth=4
	s_delay_alu instid0(VALU_DEP_2) | instskip(SKIP_2) | instid1(VALU_DEP_2)
	v_cmp_lt_u32_e32 vcc_lo, 0xffffff, v14
	v_sub_nc_u32_e32 v10, v38, v39
	v_cndmask_b32_e64 v38, 0, 1, vcc_lo
	v_add_co_ci_u32_e32 v10, vcc_lo, 0, v10, vcc_lo
	s_delay_alu instid0(VALU_DEP_2)
	v_lshrrev_b32_e32 v14, v38, v14
; %bb.3624:                             ;   in Loop: Header=BB6_3280 Depth=4
	s_and_not1_saveexec_b32 s14, s14
; %bb.3625:                             ;   in Loop: Header=BB6_3280 Depth=4
	s_delay_alu instid0(VALU_DEP_1)
	v_bfe_u32 v10, v14, 23, 1
; %bb.3626:                             ;   in Loop: Header=BB6_3280 Depth=4
	s_or_b32 exec_lo, exec_lo, s14
	v_lshrrev_b32_e32 v14, 20, v14
	s_delay_alu instid0(VALU_DEP_2) | instskip(SKIP_2) | instid1(VALU_DEP_4)
	v_cmp_gt_i32_e32 vcc_lo, 16, v10
	v_lshrrev_b32_e32 v38, 24, v48
	v_min_i32_e32 v39, 15, v10
	v_cndmask_b32_e32 v14, 7, v14, vcc_lo
	s_delay_alu instid0(VALU_DEP_3) | instskip(NEXT) | instid1(VALU_DEP_3)
	v_and_b32_e32 v38, 0x80, v38
	v_lshlrev_b32_e32 v39, 3, v39
	s_delay_alu instid0(VALU_DEP_3) | instskip(SKIP_1) | instid1(VALU_DEP_2)
	v_and_b32_e32 v48, 7, v14
	v_or_b32_e32 v10, v10, v14
	v_or3_b32 v14, v39, v38, v48
	s_delay_alu instid0(VALU_DEP_2) | instskip(NEXT) | instid1(VALU_DEP_2)
	v_cmp_ne_u32_e32 vcc_lo, 0, v10
	v_cndmask_b32_e32 v10, 0, v14, vcc_lo
.LBB6_3627:                             ;   in Loop: Header=BB6_3280 Depth=4
	s_or_b32 exec_lo, exec_lo, s39
.LBB6_3628:                             ;   in Loop: Header=BB6_3280 Depth=4
	s_delay_alu instid0(SALU_CYCLE_1) | instskip(NEXT) | instid1(SALU_CYCLE_1)
	s_or_b32 exec_lo, exec_lo, s38
	s_and_b32 vcc_lo, exec_lo, s37
	s_cbranch_vccz .LBB6_3638
; %bb.3629:                             ;   in Loop: Header=BB6_3280 Depth=4
	v_and_b32_e32 v38, 0xff, v15
	s_mov_b32 s14, 0
	s_mov_b32 s39, exec_lo
                                        ; implicit-def: $sgpr38
	s_delay_alu instid0(VALU_DEP_1)
	v_cmpx_lt_i16_e32 0x7f, v38
	s_xor_b32 s39, exec_lo, s39
	s_cbranch_execnz .LBB6_3934
; %bb.3630:                             ;   in Loop: Header=BB6_3280 Depth=4
	s_or_saveexec_b32 s39, s39
	v_mov_b32_e32 v14, s38
	s_xor_b32 exec_lo, exec_lo, s39
	s_cbranch_execnz .LBB6_3937
.LBB6_3631:                             ;   in Loop: Header=BB6_3280 Depth=4
	s_or_b32 exec_lo, exec_lo, s39
	s_and_saveexec_b32 s38, s14
	s_cbranch_execz .LBB6_3633
.LBB6_3632:                             ;   in Loop: Header=BB6_3280 Depth=4
	v_and_b32_e32 v14, 7, v15
	v_bfe_u32 v48, v15, 3, 4
	v_lshlrev_b32_e32 v49, 24, v15
	s_delay_alu instid0(VALU_DEP_3) | instskip(NEXT) | instid1(VALU_DEP_3)
	v_clz_i32_u32_e32 v38, v14
	v_cmp_eq_u32_e32 vcc_lo, 0, v48
	s_delay_alu instid0(VALU_DEP_2) | instskip(NEXT) | instid1(VALU_DEP_1)
	v_min_u32_e32 v38, 32, v38
	v_subrev_nc_u32_e32 v39, 28, v38
	v_sub_nc_u32_e32 v38, 29, v38
	s_delay_alu instid0(VALU_DEP_1) | instskip(NEXT) | instid1(VALU_DEP_1)
	v_dual_cndmask_b32 v38, v48, v38 :: v_dual_lshlrev_b32 v39, v39, v15
	v_and_b32_e32 v39, 7, v39
	s_delay_alu instid0(VALU_DEP_2) | instskip(NEXT) | instid1(VALU_DEP_2)
	v_lshl_add_u32 v38, v38, 23, 0x3b800000
	v_dual_cndmask_b32 v14, v14, v39 :: v_dual_and_b32 v39, 0x80000000, v49
	s_delay_alu instid0(VALU_DEP_1) | instskip(NEXT) | instid1(VALU_DEP_1)
	v_lshlrev_b32_e32 v14, 20, v14
	v_or3_b32 v14, v39, v38, v14
.LBB6_3633:                             ;   in Loop: Header=BB6_3280 Depth=4
	s_or_b32 exec_lo, exec_lo, s38
	v_and_b32_e32 v39, 0xff, v11
	s_mov_b32 s14, 0
	s_mov_b32 s39, exec_lo
                                        ; implicit-def: $sgpr38
	s_delay_alu instid0(VALU_DEP_1)
	v_cmpx_lt_i16_e32 0x7f, v39
	s_xor_b32 s39, exec_lo, s39
	s_cbranch_execnz .LBB6_3938
; %bb.3634:                             ;   in Loop: Header=BB6_3280 Depth=4
	s_or_saveexec_b32 s39, s39
	v_mov_b32_e32 v38, s38
	s_xor_b32 exec_lo, exec_lo, s39
	s_cbranch_execnz .LBB6_3941
.LBB6_3635:                             ;   in Loop: Header=BB6_3280 Depth=4
	s_or_b32 exec_lo, exec_lo, s39
	s_and_saveexec_b32 s38, s14
	s_cbranch_execz .LBB6_3637
.LBB6_3636:                             ;   in Loop: Header=BB6_3280 Depth=4
	v_and_b32_e32 v38, 7, v11
	v_bfe_u32 v49, v11, 3, 4
	v_lshlrev_b32_e32 v50, 24, v11
	s_delay_alu instid0(VALU_DEP_3) | instskip(NEXT) | instid1(VALU_DEP_3)
	v_clz_i32_u32_e32 v39, v38
	v_cmp_eq_u32_e32 vcc_lo, 0, v49
	s_delay_alu instid0(VALU_DEP_2) | instskip(NEXT) | instid1(VALU_DEP_1)
	v_min_u32_e32 v39, 32, v39
	v_subrev_nc_u32_e32 v48, 28, v39
	v_sub_nc_u32_e32 v39, 29, v39
	s_delay_alu instid0(VALU_DEP_2) | instskip(NEXT) | instid1(VALU_DEP_1)
	v_lshlrev_b32_e32 v48, v48, v11
	v_dual_cndmask_b32 v39, v49, v39 :: v_dual_and_b32 v48, 7, v48
	s_delay_alu instid0(VALU_DEP_1) | instskip(NEXT) | instid1(VALU_DEP_2)
	v_lshl_add_u32 v39, v39, 23, 0x3b800000
	v_cndmask_b32_e32 v38, v38, v48, vcc_lo
	v_and_b32_e32 v48, 0x80000000, v50
	s_delay_alu instid0(VALU_DEP_2) | instskip(NEXT) | instid1(VALU_DEP_1)
	v_lshlrev_b32_e32 v38, 20, v38
	v_or3_b32 v38, v48, v39, v38
.LBB6_3637:                             ;   in Loop: Header=BB6_3280 Depth=4
	s_or_b32 exec_lo, exec_lo, s38
	s_delay_alu instid0(VALU_DEP_1) | instskip(SKIP_2) | instid1(VALU_DEP_1)
	v_max_f32_e32 v38, v38, v38
	v_max_f32_e32 v14, v14, v14
	s_mov_b32 s14, 0
	v_max_f32_e32 v38, v14, v38
	s_branch .LBB6_3639
.LBB6_3638:                             ;   in Loop: Header=BB6_3280 Depth=4
	s_mov_b32 s14, -1
                                        ; implicit-def: $vgpr38
.LBB6_3639:                             ;   in Loop: Header=BB6_3280 Depth=4
	s_delay_alu instid0(SALU_CYCLE_1)
	s_and_b32 vcc_lo, exec_lo, s14
	s_cbranch_vccz .LBB6_3649
; %bb.3640:                             ;   in Loop: Header=BB6_3280 Depth=4
	v_and_b32_e32 v38, 0xff, v15
	s_mov_b32 s14, 0
	s_mov_b32 s39, exec_lo
                                        ; implicit-def: $sgpr38
	s_delay_alu instid0(VALU_DEP_1)
	v_cmpx_lt_i16_e32 0x7f, v38
	s_xor_b32 s39, exec_lo, s39
	s_cbranch_execnz .LBB6_3942
; %bb.3641:                             ;   in Loop: Header=BB6_3280 Depth=4
	s_or_saveexec_b32 s39, s39
	v_mov_b32_e32 v14, s38
	s_xor_b32 exec_lo, exec_lo, s39
	s_cbranch_execnz .LBB6_3945
.LBB6_3642:                             ;   in Loop: Header=BB6_3280 Depth=4
	s_or_b32 exec_lo, exec_lo, s39
	s_and_saveexec_b32 s38, s14
	s_cbranch_execz .LBB6_3644
.LBB6_3643:                             ;   in Loop: Header=BB6_3280 Depth=4
	v_and_b32_e32 v14, 7, v15
	v_bfe_u32 v48, v15, 3, 4
	v_lshlrev_b32_e32 v49, 24, v15
	s_delay_alu instid0(VALU_DEP_3) | instskip(NEXT) | instid1(VALU_DEP_3)
	v_clz_i32_u32_e32 v38, v14
	v_cmp_eq_u32_e32 vcc_lo, 0, v48
	s_delay_alu instid0(VALU_DEP_2) | instskip(NEXT) | instid1(VALU_DEP_1)
	v_min_u32_e32 v38, 32, v38
	v_subrev_nc_u32_e32 v39, 28, v38
	v_sub_nc_u32_e32 v38, 29, v38
	s_delay_alu instid0(VALU_DEP_1) | instskip(NEXT) | instid1(VALU_DEP_1)
	v_dual_cndmask_b32 v38, v48, v38 :: v_dual_lshlrev_b32 v39, v39, v15
	v_and_b32_e32 v39, 7, v39
	s_delay_alu instid0(VALU_DEP_2) | instskip(NEXT) | instid1(VALU_DEP_2)
	v_lshl_add_u32 v38, v38, 23, 0x3b800000
	v_dual_cndmask_b32 v14, v14, v39 :: v_dual_and_b32 v39, 0x80000000, v49
	s_delay_alu instid0(VALU_DEP_1) | instskip(NEXT) | instid1(VALU_DEP_1)
	v_lshlrev_b32_e32 v14, 20, v14
	v_or3_b32 v14, v39, v38, v14
.LBB6_3644:                             ;   in Loop: Header=BB6_3280 Depth=4
	s_or_b32 exec_lo, exec_lo, s38
	v_and_b32_e32 v39, 0xff, v11
	s_mov_b32 s14, 0
	s_mov_b32 s39, exec_lo
                                        ; implicit-def: $sgpr38
	s_delay_alu instid0(VALU_DEP_1)
	v_cmpx_lt_i16_e32 0x7f, v39
	s_xor_b32 s39, exec_lo, s39
	s_cbranch_execnz .LBB6_3946
; %bb.3645:                             ;   in Loop: Header=BB6_3280 Depth=4
	s_or_saveexec_b32 s39, s39
	v_mov_b32_e32 v38, s38
	s_xor_b32 exec_lo, exec_lo, s39
	s_cbranch_execnz .LBB6_3949
.LBB6_3646:                             ;   in Loop: Header=BB6_3280 Depth=4
	s_or_b32 exec_lo, exec_lo, s39
	s_and_saveexec_b32 s38, s14
	s_cbranch_execz .LBB6_3648
.LBB6_3647:                             ;   in Loop: Header=BB6_3280 Depth=4
	v_and_b32_e32 v38, 7, v11
	v_bfe_u32 v49, v11, 3, 4
	v_lshlrev_b32_e32 v50, 24, v11
	s_delay_alu instid0(VALU_DEP_3) | instskip(NEXT) | instid1(VALU_DEP_3)
	v_clz_i32_u32_e32 v39, v38
	v_cmp_eq_u32_e32 vcc_lo, 0, v49
	s_delay_alu instid0(VALU_DEP_2) | instskip(NEXT) | instid1(VALU_DEP_1)
	v_min_u32_e32 v39, 32, v39
	v_subrev_nc_u32_e32 v48, 28, v39
	v_sub_nc_u32_e32 v39, 29, v39
	s_delay_alu instid0(VALU_DEP_2) | instskip(NEXT) | instid1(VALU_DEP_1)
	v_lshlrev_b32_e32 v48, v48, v11
	v_dual_cndmask_b32 v39, v49, v39 :: v_dual_and_b32 v48, 7, v48
	s_delay_alu instid0(VALU_DEP_1) | instskip(NEXT) | instid1(VALU_DEP_2)
	v_lshl_add_u32 v39, v39, 23, 0x3b800000
	v_cndmask_b32_e32 v38, v38, v48, vcc_lo
	v_and_b32_e32 v48, 0x80000000, v50
	s_delay_alu instid0(VALU_DEP_2) | instskip(NEXT) | instid1(VALU_DEP_1)
	v_lshlrev_b32_e32 v38, 20, v38
	v_or3_b32 v38, v48, v39, v38
.LBB6_3648:                             ;   in Loop: Header=BB6_3280 Depth=4
	s_or_b32 exec_lo, exec_lo, s38
	s_delay_alu instid0(VALU_DEP_1) | instskip(SKIP_1) | instid1(VALU_DEP_1)
	v_max_f32_e32 v38, v38, v38
	v_max_f32_e32 v14, v14, v14
	v_min_f32_e32 v38, v14, v38
.LBB6_3649:                             ;   in Loop: Header=BB6_3280 Depth=4
	s_delay_alu instid0(VALU_DEP_1) | instskip(NEXT) | instid1(VALU_DEP_1)
	v_and_b32_e32 v14, 0x7f800000, v38
	v_cmp_ne_u32_e32 vcc_lo, 0x7f800000, v14
	v_mov_b32_e32 v14, 0x80
	s_and_saveexec_b32 s38, vcc_lo
	s_cbranch_execz .LBB6_3657
; %bb.3650:                             ;   in Loop: Header=BB6_3280 Depth=4
	v_mov_b32_e32 v14, 0
	s_mov_b32 s39, exec_lo
	v_cmpx_ne_u32_e32 0, v38
	s_cbranch_execz .LBB6_3656
; %bb.3651:                             ;   in Loop: Header=BB6_3280 Depth=4
	v_bfe_u32 v14, v38, 23, 8
	s_delay_alu instid0(VALU_DEP_1) | instskip(SKIP_1) | instid1(VALU_DEP_2)
	v_sub_nc_u32_e32 v48, 0x78, v14
	v_cmp_gt_u32_e32 vcc_lo, 0x79, v14
	v_dual_cndmask_b32 v48, 0, v48 :: v_dual_and_b32 v39, 0x7fffff, v38
	s_delay_alu instid0(VALU_DEP_1) | instskip(SKIP_2) | instid1(VALU_DEP_4)
	v_or_b32_e32 v49, 0x800000, v39
	v_cmp_eq_u32_e32 vcc_lo, 0, v14
	v_add_nc_u32_e32 v14, 0xffffff89, v14
	v_cndmask_b32_e64 v48, v48, 0x77, vcc_lo
	s_delay_alu instid0(VALU_DEP_4) | instskip(NEXT) | instid1(VALU_DEP_3)
	v_cndmask_b32_e32 v39, v49, v39, vcc_lo
	v_cndmask_b32_e64 v14, v14, 0xffffff8a, vcc_lo
	s_delay_alu instid0(VALU_DEP_3) | instskip(NEXT) | instid1(VALU_DEP_3)
	v_lshl_add_u32 v49, 0x100000, v48, -1
	v_lshrrev_b32_e32 v50, v48, v39
	v_lshlrev_b32_e64 v112, v48, 0x80000
	s_delay_alu instid0(VALU_DEP_4) | instskip(NEXT) | instid1(VALU_DEP_4)
	v_add_nc_u32_e32 v48, v48, v14
	v_and_b32_e32 v39, v49, v39
	s_delay_alu instid0(VALU_DEP_4) | instskip(NEXT) | instid1(VALU_DEP_2)
	v_bfe_u32 v51, v50, 20, 1
	v_cmp_eq_u32_e64 s14, v39, v112
	s_delay_alu instid0(VALU_DEP_2) | instskip(NEXT) | instid1(VALU_DEP_1)
	v_add_nc_u32_e32 v49, -1, v51
	v_cndmask_b32_e64 v39, 0, v49, s14
	v_lshrrev_b32_e32 v49, 23, v50
	s_mov_b32 s14, exec_lo
	s_delay_alu instid0(VALU_DEP_2) | instskip(NEXT) | instid1(VALU_DEP_2)
	v_add_nc_u32_e32 v39, v39, v50
	v_xor_b32_e32 v49, 1, v49
	s_delay_alu instid0(VALU_DEP_2) | instskip(NEXT) | instid1(VALU_DEP_1)
	v_and_b32_e32 v14, 0xfffff, v39
	v_add_nc_u32_e32 v39, v14, v50
                                        ; implicit-def: $vgpr14
	s_delay_alu instid0(VALU_DEP_3)
	v_cmpx_ne_u32_e64 v48, v49
	s_xor_b32 s14, exec_lo, s14
; %bb.3652:                             ;   in Loop: Header=BB6_3280 Depth=4
	s_delay_alu instid0(VALU_DEP_2) | instskip(SKIP_2) | instid1(VALU_DEP_2)
	v_cmp_lt_u32_e32 vcc_lo, 0xffffff, v39
	v_sub_nc_u32_e32 v14, v48, v49
	v_cndmask_b32_e64 v48, 0, 1, vcc_lo
	v_add_co_ci_u32_e32 v14, vcc_lo, 0, v14, vcc_lo
	s_delay_alu instid0(VALU_DEP_2)
	v_lshrrev_b32_e32 v39, v48, v39
; %bb.3653:                             ;   in Loop: Header=BB6_3280 Depth=4
	s_and_not1_saveexec_b32 s14, s14
; %bb.3654:                             ;   in Loop: Header=BB6_3280 Depth=4
	s_delay_alu instid0(VALU_DEP_1)
	v_bfe_u32 v14, v39, 23, 1
; %bb.3655:                             ;   in Loop: Header=BB6_3280 Depth=4
	s_or_b32 exec_lo, exec_lo, s14
	v_lshrrev_b32_e32 v39, 20, v39
	s_delay_alu instid0(VALU_DEP_2) | instskip(SKIP_2) | instid1(VALU_DEP_2)
	v_cmp_gt_i32_e32 vcc_lo, 16, v14
	v_lshrrev_b32_e32 v38, 24, v38
	v_min_i32_e32 v48, 15, v14
	v_dual_cndmask_b32 v39, 7, v39 :: v_dual_and_b32 v38, 0x80, v38
	s_delay_alu instid0(VALU_DEP_2) | instskip(NEXT) | instid1(VALU_DEP_2)
	v_lshlrev_b32_e32 v48, 3, v48
	v_or_b32_e32 v14, v14, v39
	s_delay_alu instid0(VALU_DEP_1) | instskip(SKIP_1) | instid1(VALU_DEP_1)
	v_cmp_ne_u32_e32 vcc_lo, 0, v14
	v_and_b32_e32 v49, 7, v39
	v_or3_b32 v38, v48, v38, v49
	s_delay_alu instid0(VALU_DEP_1)
	v_cndmask_b32_e32 v14, 0, v38, vcc_lo
.LBB6_3656:                             ;   in Loop: Header=BB6_3280 Depth=4
	s_or_b32 exec_lo, exec_lo, s39
.LBB6_3657:                             ;   in Loop: Header=BB6_3280 Depth=4
	s_delay_alu instid0(SALU_CYCLE_1)
	s_or_b32 exec_lo, exec_lo, s38
	v_lshrrev_b16 v39, 8, v15
	v_lshrrev_b16 v38, 8, v11
	s_and_b32 vcc_lo, exec_lo, s37
	s_cbranch_vccz .LBB6_3667
; %bb.3658:                             ;   in Loop: Header=BB6_3280 Depth=4
	s_mov_b32 s14, 0
	s_mov_b32 s39, exec_lo
                                        ; implicit-def: $sgpr38
	v_cmpx_lt_i16_e32 0x7f, v39
	s_xor_b32 s39, exec_lo, s39
	s_cbranch_execnz .LBB6_3950
; %bb.3659:                             ;   in Loop: Header=BB6_3280 Depth=4
	s_or_saveexec_b32 s39, s39
	v_mov_b32_e32 v48, s38
	s_xor_b32 exec_lo, exec_lo, s39
	s_cbranch_execnz .LBB6_3953
.LBB6_3660:                             ;   in Loop: Header=BB6_3280 Depth=4
	s_or_b32 exec_lo, exec_lo, s39
	s_and_saveexec_b32 s38, s14
	s_cbranch_execz .LBB6_3662
.LBB6_3661:                             ;   in Loop: Header=BB6_3280 Depth=4
	v_and_b32_e32 v48, 0xffff, v39
	v_lshlrev_b32_e32 v112, 16, v15
	s_delay_alu instid0(VALU_DEP_2) | instskip(NEXT) | instid1(VALU_DEP_1)
	v_and_b32_e32 v49, 7, v48
	v_clz_i32_u32_e32 v50, v49
	s_delay_alu instid0(VALU_DEP_1) | instskip(NEXT) | instid1(VALU_DEP_1)
	v_min_u32_e32 v50, 32, v50
	v_subrev_nc_u32_e32 v51, 28, v50
	v_sub_nc_u32_e32 v50, 29, v50
	s_delay_alu instid0(VALU_DEP_2) | instskip(SKIP_1) | instid1(VALU_DEP_2)
	v_lshlrev_b32_e32 v51, v51, v48
	v_bfe_u32 v48, v48, 3, 4
	v_and_b32_e32 v51, 7, v51
	s_delay_alu instid0(VALU_DEP_2) | instskip(NEXT) | instid1(VALU_DEP_2)
	v_cmp_eq_u32_e32 vcc_lo, 0, v48
	v_dual_cndmask_b32 v48, v48, v50 :: v_dual_cndmask_b32 v49, v49, v51
	v_and_b32_e32 v50, 0x80000000, v112
	s_delay_alu instid0(VALU_DEP_2) | instskip(NEXT) | instid1(VALU_DEP_3)
	v_lshl_add_u32 v48, v48, 23, 0x3b800000
	v_lshlrev_b32_e32 v49, 20, v49
	s_delay_alu instid0(VALU_DEP_1)
	v_or3_b32 v48, v50, v48, v49
.LBB6_3662:                             ;   in Loop: Header=BB6_3280 Depth=4
	s_or_b32 exec_lo, exec_lo, s38
	s_mov_b32 s14, 0
	s_mov_b32 s39, exec_lo
                                        ; implicit-def: $sgpr38
	v_cmpx_lt_i16_e32 0x7f, v38
	s_xor_b32 s39, exec_lo, s39
	s_cbranch_execnz .LBB6_3954
; %bb.3663:                             ;   in Loop: Header=BB6_3280 Depth=4
	s_or_saveexec_b32 s39, s39
	v_mov_b32_e32 v49, s38
	s_xor_b32 exec_lo, exec_lo, s39
	s_cbranch_execnz .LBB6_3957
.LBB6_3664:                             ;   in Loop: Header=BB6_3280 Depth=4
	s_or_b32 exec_lo, exec_lo, s39
	s_and_saveexec_b32 s38, s14
	s_cbranch_execz .LBB6_3666
.LBB6_3665:                             ;   in Loop: Header=BB6_3280 Depth=4
	v_and_b32_e32 v49, 0xffff, v38
	v_lshlrev_b32_e32 v113, 16, v11
	s_delay_alu instid0(VALU_DEP_2) | instskip(NEXT) | instid1(VALU_DEP_1)
	v_and_b32_e32 v50, 7, v49
	v_clz_i32_u32_e32 v51, v50
	s_delay_alu instid0(VALU_DEP_1) | instskip(NEXT) | instid1(VALU_DEP_1)
	v_min_u32_e32 v51, 32, v51
	v_subrev_nc_u32_e32 v112, 28, v51
	v_sub_nc_u32_e32 v51, 29, v51
	s_delay_alu instid0(VALU_DEP_2) | instskip(SKIP_1) | instid1(VALU_DEP_2)
	v_lshlrev_b32_e32 v112, v112, v49
	v_bfe_u32 v49, v49, 3, 4
	v_and_b32_e32 v112, 7, v112
	s_delay_alu instid0(VALU_DEP_2) | instskip(NEXT) | instid1(VALU_DEP_2)
	v_cmp_eq_u32_e32 vcc_lo, 0, v49
	v_dual_cndmask_b32 v49, v49, v51 :: v_dual_cndmask_b32 v50, v50, v112
	v_and_b32_e32 v51, 0x80000000, v113
	s_delay_alu instid0(VALU_DEP_2) | instskip(NEXT) | instid1(VALU_DEP_3)
	v_lshl_add_u32 v49, v49, 23, 0x3b800000
	v_lshlrev_b32_e32 v50, 20, v50
	s_delay_alu instid0(VALU_DEP_1)
	v_or3_b32 v49, v51, v49, v50
.LBB6_3666:                             ;   in Loop: Header=BB6_3280 Depth=4
	s_or_b32 exec_lo, exec_lo, s38
	s_delay_alu instid0(VALU_DEP_1) | instskip(SKIP_1) | instid1(VALU_DEP_1)
	v_dual_max_f32 v49, v49, v49 :: v_dual_max_f32 v48, v48, v48
	s_mov_b32 s14, 0
	v_max_f32_e32 v48, v48, v49
	s_branch .LBB6_3668
.LBB6_3667:                             ;   in Loop: Header=BB6_3280 Depth=4
	s_mov_b32 s14, -1
                                        ; implicit-def: $vgpr48
.LBB6_3668:                             ;   in Loop: Header=BB6_3280 Depth=4
	s_delay_alu instid0(SALU_CYCLE_1)
	s_and_b32 vcc_lo, exec_lo, s14
	s_cbranch_vccz .LBB6_3678
; %bb.3669:                             ;   in Loop: Header=BB6_3280 Depth=4
	s_mov_b32 s14, 0
	s_mov_b32 s39, exec_lo
                                        ; implicit-def: $sgpr38
	v_cmpx_lt_i16_e32 0x7f, v39
	s_xor_b32 s39, exec_lo, s39
	s_cbranch_execnz .LBB6_3958
; %bb.3670:                             ;   in Loop: Header=BB6_3280 Depth=4
	s_or_saveexec_b32 s39, s39
	v_mov_b32_e32 v48, s38
	s_xor_b32 exec_lo, exec_lo, s39
	s_cbranch_execnz .LBB6_3961
.LBB6_3671:                             ;   in Loop: Header=BB6_3280 Depth=4
	s_or_b32 exec_lo, exec_lo, s39
	s_and_saveexec_b32 s38, s14
	s_cbranch_execz .LBB6_3673
.LBB6_3672:                             ;   in Loop: Header=BB6_3280 Depth=4
	v_and_b32_e32 v39, 0xffff, v39
	v_lshlrev_b32_e32 v51, 16, v15
	s_delay_alu instid0(VALU_DEP_2) | instskip(NEXT) | instid1(VALU_DEP_1)
	v_and_b32_e32 v48, 7, v39
	v_clz_i32_u32_e32 v49, v48
	s_delay_alu instid0(VALU_DEP_1) | instskip(NEXT) | instid1(VALU_DEP_1)
	v_min_u32_e32 v49, 32, v49
	v_subrev_nc_u32_e32 v50, 28, v49
	v_sub_nc_u32_e32 v49, 29, v49
	s_delay_alu instid0(VALU_DEP_2) | instskip(SKIP_1) | instid1(VALU_DEP_2)
	v_lshlrev_b32_e32 v50, v50, v39
	v_bfe_u32 v39, v39, 3, 4
	v_and_b32_e32 v50, 7, v50
	s_delay_alu instid0(VALU_DEP_2) | instskip(NEXT) | instid1(VALU_DEP_2)
	v_cmp_eq_u32_e32 vcc_lo, 0, v39
	v_dual_cndmask_b32 v39, v39, v49 :: v_dual_cndmask_b32 v48, v48, v50
	v_and_b32_e32 v49, 0x80000000, v51
	s_delay_alu instid0(VALU_DEP_2) | instskip(NEXT) | instid1(VALU_DEP_3)
	v_lshl_add_u32 v39, v39, 23, 0x3b800000
	v_lshlrev_b32_e32 v48, 20, v48
	s_delay_alu instid0(VALU_DEP_1)
	v_or3_b32 v48, v49, v39, v48
.LBB6_3673:                             ;   in Loop: Header=BB6_3280 Depth=4
	s_or_b32 exec_lo, exec_lo, s38
	s_mov_b32 s14, 0
	s_mov_b32 s39, exec_lo
                                        ; implicit-def: $sgpr38
	v_cmpx_lt_i16_e32 0x7f, v38
	s_xor_b32 s39, exec_lo, s39
	s_cbranch_execnz .LBB6_3962
; %bb.3674:                             ;   in Loop: Header=BB6_3280 Depth=4
	s_or_saveexec_b32 s39, s39
	v_mov_b32_e32 v39, s38
	s_xor_b32 exec_lo, exec_lo, s39
	s_cbranch_execnz .LBB6_3965
.LBB6_3675:                             ;   in Loop: Header=BB6_3280 Depth=4
	s_or_b32 exec_lo, exec_lo, s39
	s_and_saveexec_b32 s38, s14
	s_cbranch_execz .LBB6_3677
.LBB6_3676:                             ;   in Loop: Header=BB6_3280 Depth=4
	v_and_b32_e32 v38, 0xffff, v38
	v_lshlrev_b32_e32 v51, 16, v11
	s_delay_alu instid0(VALU_DEP_2) | instskip(NEXT) | instid1(VALU_DEP_1)
	v_and_b32_e32 v39, 7, v38
	v_clz_i32_u32_e32 v49, v39
	s_delay_alu instid0(VALU_DEP_1) | instskip(NEXT) | instid1(VALU_DEP_1)
	v_min_u32_e32 v49, 32, v49
	v_subrev_nc_u32_e32 v50, 28, v49
	v_sub_nc_u32_e32 v49, 29, v49
	s_delay_alu instid0(VALU_DEP_2) | instskip(SKIP_1) | instid1(VALU_DEP_2)
	v_lshlrev_b32_e32 v50, v50, v38
	v_bfe_u32 v38, v38, 3, 4
	v_and_b32_e32 v50, 7, v50
	s_delay_alu instid0(VALU_DEP_2) | instskip(NEXT) | instid1(VALU_DEP_2)
	v_cmp_eq_u32_e32 vcc_lo, 0, v38
	v_dual_cndmask_b32 v38, v38, v49 :: v_dual_cndmask_b32 v39, v39, v50
	v_and_b32_e32 v49, 0x80000000, v51
	s_delay_alu instid0(VALU_DEP_2) | instskip(NEXT) | instid1(VALU_DEP_3)
	v_lshl_add_u32 v38, v38, 23, 0x3b800000
	v_lshlrev_b32_e32 v39, 20, v39
	s_delay_alu instid0(VALU_DEP_1)
	v_or3_b32 v39, v49, v38, v39
.LBB6_3677:                             ;   in Loop: Header=BB6_3280 Depth=4
	s_or_b32 exec_lo, exec_lo, s38
	s_delay_alu instid0(VALU_DEP_1) | instskip(NEXT) | instid1(VALU_DEP_1)
	v_dual_max_f32 v38, v39, v39 :: v_dual_max_f32 v39, v48, v48
	v_min_f32_e32 v48, v39, v38
.LBB6_3678:                             ;   in Loop: Header=BB6_3280 Depth=4
	s_delay_alu instid0(VALU_DEP_1) | instskip(NEXT) | instid1(VALU_DEP_1)
	v_and_b32_e32 v38, 0x7f800000, v48
	v_cmp_ne_u32_e32 vcc_lo, 0x7f800000, v38
	v_mov_b32_e32 v38, 0x80
	s_and_saveexec_b32 s38, vcc_lo
	s_cbranch_execz .LBB6_3686
; %bb.3679:                             ;   in Loop: Header=BB6_3280 Depth=4
	v_mov_b32_e32 v38, 0
	s_mov_b32 s39, exec_lo
	v_cmpx_ne_u32_e32 0, v48
	s_cbranch_execz .LBB6_3685
; %bb.3680:                             ;   in Loop: Header=BB6_3280 Depth=4
	v_bfe_u32 v38, v48, 23, 8
	v_and_b32_e32 v39, 0x7fffff, v48
	s_delay_alu instid0(VALU_DEP_2) | instskip(SKIP_1) | instid1(VALU_DEP_3)
	v_sub_nc_u32_e32 v49, 0x78, v38
	v_cmp_gt_u32_e32 vcc_lo, 0x79, v38
	v_or_b32_e32 v50, 0x800000, v39
	s_delay_alu instid0(VALU_DEP_3) | instskip(SKIP_2) | instid1(VALU_DEP_3)
	v_cndmask_b32_e32 v49, 0, v49, vcc_lo
	v_cmp_eq_u32_e32 vcc_lo, 0, v38
	v_add_nc_u32_e32 v38, 0xffffff89, v38
	v_cndmask_b32_e64 v49, v49, 0x77, vcc_lo
	v_cndmask_b32_e32 v39, v50, v39, vcc_lo
	s_delay_alu instid0(VALU_DEP_3) | instskip(NEXT) | instid1(VALU_DEP_3)
	v_cndmask_b32_e64 v38, v38, 0xffffff8a, vcc_lo
	v_lshl_add_u32 v50, 0x100000, v49, -1
	s_delay_alu instid0(VALU_DEP_3) | instskip(SKIP_1) | instid1(VALU_DEP_4)
	v_lshrrev_b32_e32 v51, v49, v39
	v_lshlrev_b32_e64 v113, v49, 0x80000
	v_add_nc_u32_e32 v49, v49, v38
	s_delay_alu instid0(VALU_DEP_4) | instskip(NEXT) | instid1(VALU_DEP_4)
	v_and_b32_e32 v39, v50, v39
	v_bfe_u32 v112, v51, 20, 1
	s_delay_alu instid0(VALU_DEP_2) | instskip(NEXT) | instid1(VALU_DEP_2)
	v_cmp_eq_u32_e64 s14, v39, v113
	v_add_nc_u32_e32 v50, -1, v112
	s_delay_alu instid0(VALU_DEP_1) | instskip(SKIP_2) | instid1(VALU_DEP_2)
	v_cndmask_b32_e64 v39, 0, v50, s14
	v_lshrrev_b32_e32 v50, 23, v51
	s_mov_b32 s14, exec_lo
	v_add_nc_u32_e32 v39, v39, v51
	s_delay_alu instid0(VALU_DEP_2) | instskip(NEXT) | instid1(VALU_DEP_2)
	v_xor_b32_e32 v50, 1, v50
	v_and_b32_e32 v38, 0xfffff, v39
	s_delay_alu instid0(VALU_DEP_1) | instskip(NEXT) | instid1(VALU_DEP_3)
	v_add_nc_u32_e32 v39, v38, v51
                                        ; implicit-def: $vgpr38
	v_cmpx_ne_u32_e64 v49, v50
	s_xor_b32 s14, exec_lo, s14
; %bb.3681:                             ;   in Loop: Header=BB6_3280 Depth=4
	s_delay_alu instid0(VALU_DEP_2) | instskip(SKIP_2) | instid1(VALU_DEP_2)
	v_cmp_lt_u32_e32 vcc_lo, 0xffffff, v39
	v_sub_nc_u32_e32 v38, v49, v50
	v_cndmask_b32_e64 v49, 0, 1, vcc_lo
	v_add_co_ci_u32_e32 v38, vcc_lo, 0, v38, vcc_lo
	s_delay_alu instid0(VALU_DEP_2)
	v_lshrrev_b32_e32 v39, v49, v39
; %bb.3682:                             ;   in Loop: Header=BB6_3280 Depth=4
	s_and_not1_saveexec_b32 s14, s14
; %bb.3683:                             ;   in Loop: Header=BB6_3280 Depth=4
	s_delay_alu instid0(VALU_DEP_1)
	v_bfe_u32 v38, v39, 23, 1
; %bb.3684:                             ;   in Loop: Header=BB6_3280 Depth=4
	s_or_b32 exec_lo, exec_lo, s14
	v_lshrrev_b32_e32 v39, 20, v39
	s_delay_alu instid0(VALU_DEP_2) | instskip(SKIP_2) | instid1(VALU_DEP_2)
	v_cmp_gt_i32_e32 vcc_lo, 16, v38
	v_lshrrev_b32_e32 v48, 24, v48
	v_min_i32_e32 v49, 15, v38
	v_dual_cndmask_b32 v39, 7, v39 :: v_dual_and_b32 v48, 0x80, v48
	s_delay_alu instid0(VALU_DEP_1) | instskip(SKIP_1) | instid1(VALU_DEP_2)
	v_or_b32_e32 v38, v38, v39
	v_and_b32_e32 v50, 7, v39
	v_cmp_ne_u32_e32 vcc_lo, 0, v38
	v_lshlrev_b32_e32 v49, 3, v49
	s_delay_alu instid0(VALU_DEP_1) | instskip(NEXT) | instid1(VALU_DEP_1)
	v_or3_b32 v39, v49, v48, v50
	v_cndmask_b32_e32 v38, 0, v39, vcc_lo
.LBB6_3685:                             ;   in Loop: Header=BB6_3280 Depth=4
	s_or_b32 exec_lo, exec_lo, s39
.LBB6_3686:                             ;   in Loop: Header=BB6_3280 Depth=4
	s_delay_alu instid0(SALU_CYCLE_1)
	s_or_b32 exec_lo, exec_lo, s38
	v_lshrrev_b32_e32 v48, 16, v15
	v_lshrrev_b32_e32 v39, 16, v11
	s_and_b32 vcc_lo, exec_lo, s37
	s_cbranch_vccz .LBB6_3696
; %bb.3687:                             ;   in Loop: Header=BB6_3280 Depth=4
	s_delay_alu instid0(VALU_DEP_2) | instskip(SKIP_2) | instid1(VALU_DEP_1)
	v_and_b32_e32 v50, 0xff, v48
	s_mov_b32 s14, 0
	s_mov_b32 s39, exec_lo
                                        ; implicit-def: $sgpr38
	v_cmpx_lt_i16_e32 0x7f, v50
	s_xor_b32 s39, exec_lo, s39
	s_cbranch_execnz .LBB6_3966
; %bb.3688:                             ;   in Loop: Header=BB6_3280 Depth=4
	s_or_saveexec_b32 s39, s39
	v_mov_b32_e32 v49, s38
	s_xor_b32 exec_lo, exec_lo, s39
	s_cbranch_execnz .LBB6_3969
.LBB6_3689:                             ;   in Loop: Header=BB6_3280 Depth=4
	s_or_b32 exec_lo, exec_lo, s39
	s_and_saveexec_b32 s38, s14
	s_cbranch_execz .LBB6_3691
.LBB6_3690:                             ;   in Loop: Header=BB6_3280 Depth=4
	v_bfe_u32 v49, v15, 16, 3
	v_bfe_u32 v112, v15, 19, 4
	v_lshlrev_b32_e32 v113, 24, v48
	s_delay_alu instid0(VALU_DEP_3) | instskip(NEXT) | instid1(VALU_DEP_3)
	v_clz_i32_u32_e32 v50, v49
	v_cmp_eq_u32_e32 vcc_lo, 0, v112
	s_delay_alu instid0(VALU_DEP_2) | instskip(NEXT) | instid1(VALU_DEP_1)
	v_min_u32_e32 v50, 32, v50
	v_subrev_nc_u32_e32 v51, 28, v50
	v_sub_nc_u32_e32 v50, 29, v50
	s_delay_alu instid0(VALU_DEP_1) | instskip(NEXT) | instid1(VALU_DEP_1)
	v_dual_cndmask_b32 v50, v112, v50 :: v_dual_lshlrev_b32 v51, v51, v48
	v_and_b32_e32 v51, 7, v51
	s_delay_alu instid0(VALU_DEP_2) | instskip(NEXT) | instid1(VALU_DEP_2)
	v_lshl_add_u32 v50, v50, 23, 0x3b800000
	v_cndmask_b32_e32 v49, v49, v51, vcc_lo
	v_and_b32_e32 v51, 0x80000000, v113
	s_delay_alu instid0(VALU_DEP_2) | instskip(NEXT) | instid1(VALU_DEP_1)
	v_lshlrev_b32_e32 v49, 20, v49
	v_or3_b32 v49, v51, v50, v49
.LBB6_3691:                             ;   in Loop: Header=BB6_3280 Depth=4
	s_or_b32 exec_lo, exec_lo, s38
	v_and_b32_e32 v51, 0xff, v39
	s_mov_b32 s14, 0
	s_mov_b32 s39, exec_lo
                                        ; implicit-def: $sgpr38
	s_delay_alu instid0(VALU_DEP_1)
	v_cmpx_lt_i16_e32 0x7f, v51
	s_xor_b32 s39, exec_lo, s39
	s_cbranch_execnz .LBB6_3970
; %bb.3692:                             ;   in Loop: Header=BB6_3280 Depth=4
	s_or_saveexec_b32 s39, s39
	v_mov_b32_e32 v50, s38
	s_xor_b32 exec_lo, exec_lo, s39
	s_cbranch_execnz .LBB6_3973
.LBB6_3693:                             ;   in Loop: Header=BB6_3280 Depth=4
	s_or_b32 exec_lo, exec_lo, s39
	s_and_saveexec_b32 s38, s14
	s_cbranch_execz .LBB6_3695
.LBB6_3694:                             ;   in Loop: Header=BB6_3280 Depth=4
	v_bfe_u32 v50, v11, 16, 3
	v_bfe_u32 v113, v11, 19, 4
	v_lshlrev_b32_e32 v114, 24, v39
	s_delay_alu instid0(VALU_DEP_3) | instskip(NEXT) | instid1(VALU_DEP_3)
	v_clz_i32_u32_e32 v51, v50
	v_cmp_eq_u32_e32 vcc_lo, 0, v113
	s_delay_alu instid0(VALU_DEP_2) | instskip(NEXT) | instid1(VALU_DEP_1)
	v_min_u32_e32 v51, 32, v51
	v_subrev_nc_u32_e32 v112, 28, v51
	v_sub_nc_u32_e32 v51, 29, v51
	s_delay_alu instid0(VALU_DEP_2) | instskip(NEXT) | instid1(VALU_DEP_1)
	v_lshlrev_b32_e32 v112, v112, v39
	v_dual_cndmask_b32 v51, v113, v51 :: v_dual_and_b32 v112, 7, v112
	s_delay_alu instid0(VALU_DEP_1) | instskip(NEXT) | instid1(VALU_DEP_2)
	v_lshl_add_u32 v51, v51, 23, 0x3b800000
	v_cndmask_b32_e32 v50, v50, v112, vcc_lo
	v_and_b32_e32 v112, 0x80000000, v114
	s_delay_alu instid0(VALU_DEP_2) | instskip(NEXT) | instid1(VALU_DEP_1)
	v_lshlrev_b32_e32 v50, 20, v50
	v_or3_b32 v50, v112, v51, v50
.LBB6_3695:                             ;   in Loop: Header=BB6_3280 Depth=4
	s_or_b32 exec_lo, exec_lo, s38
	s_delay_alu instid0(VALU_DEP_1) | instskip(SKIP_1) | instid1(VALU_DEP_1)
	v_dual_max_f32 v50, v50, v50 :: v_dual_max_f32 v49, v49, v49
	s_mov_b32 s14, 0
	v_max_f32_e32 v49, v49, v50
	s_branch .LBB6_3697
.LBB6_3696:                             ;   in Loop: Header=BB6_3280 Depth=4
	s_mov_b32 s14, -1
                                        ; implicit-def: $vgpr49
.LBB6_3697:                             ;   in Loop: Header=BB6_3280 Depth=4
	s_delay_alu instid0(SALU_CYCLE_1)
	s_and_b32 vcc_lo, exec_lo, s14
	s_cbranch_vccz .LBB6_3707
; %bb.3698:                             ;   in Loop: Header=BB6_3280 Depth=4
	v_and_b32_e32 v50, 0xff, v48
	s_mov_b32 s14, 0
	s_mov_b32 s39, exec_lo
                                        ; implicit-def: $sgpr38
	s_delay_alu instid0(VALU_DEP_1)
	v_cmpx_lt_i16_e32 0x7f, v50
	s_xor_b32 s39, exec_lo, s39
	s_cbranch_execnz .LBB6_3974
; %bb.3699:                             ;   in Loop: Header=BB6_3280 Depth=4
	s_or_saveexec_b32 s39, s39
	v_mov_b32_e32 v49, s38
	s_xor_b32 exec_lo, exec_lo, s39
	s_cbranch_execnz .LBB6_3977
.LBB6_3700:                             ;   in Loop: Header=BB6_3280 Depth=4
	s_or_b32 exec_lo, exec_lo, s39
	s_and_saveexec_b32 s38, s14
	s_cbranch_execz .LBB6_3702
.LBB6_3701:                             ;   in Loop: Header=BB6_3280 Depth=4
	v_bfe_u32 v49, v15, 16, 3
	v_bfe_u32 v112, v15, 19, 4
	s_delay_alu instid0(VALU_DEP_2) | instskip(NEXT) | instid1(VALU_DEP_2)
	v_clz_i32_u32_e32 v50, v49
	v_cmp_eq_u32_e32 vcc_lo, 0, v112
	s_delay_alu instid0(VALU_DEP_2) | instskip(NEXT) | instid1(VALU_DEP_1)
	v_min_u32_e32 v50, 32, v50
	v_subrev_nc_u32_e32 v51, 28, v50
	v_sub_nc_u32_e32 v50, 29, v50
	s_delay_alu instid0(VALU_DEP_1) | instskip(NEXT) | instid1(VALU_DEP_1)
	v_dual_cndmask_b32 v50, v112, v50 :: v_dual_lshlrev_b32 v51, v51, v48
	v_and_b32_e32 v51, 7, v51
	v_lshlrev_b32_e32 v48, 24, v48
	s_delay_alu instid0(VALU_DEP_3) | instskip(NEXT) | instid1(VALU_DEP_2)
	v_lshl_add_u32 v50, v50, 23, 0x3b800000
	v_dual_cndmask_b32 v49, v49, v51 :: v_dual_and_b32 v48, 0x80000000, v48
	s_delay_alu instid0(VALU_DEP_1) | instskip(NEXT) | instid1(VALU_DEP_1)
	v_lshlrev_b32_e32 v49, 20, v49
	v_or3_b32 v49, v48, v50, v49
.LBB6_3702:                             ;   in Loop: Header=BB6_3280 Depth=4
	s_or_b32 exec_lo, exec_lo, s38
	v_and_b32_e32 v50, 0xff, v39
	s_mov_b32 s14, 0
	s_mov_b32 s39, exec_lo
                                        ; implicit-def: $sgpr38
	s_delay_alu instid0(VALU_DEP_1)
	v_cmpx_lt_i16_e32 0x7f, v50
	s_xor_b32 s39, exec_lo, s39
	s_cbranch_execnz .LBB6_3978
; %bb.3703:                             ;   in Loop: Header=BB6_3280 Depth=4
	s_or_saveexec_b32 s39, s39
	v_mov_b32_e32 v48, s38
	s_xor_b32 exec_lo, exec_lo, s39
	s_cbranch_execnz .LBB6_3981
.LBB6_3704:                             ;   in Loop: Header=BB6_3280 Depth=4
	s_or_b32 exec_lo, exec_lo, s39
	s_and_saveexec_b32 s38, s14
	s_cbranch_execz .LBB6_3706
.LBB6_3705:                             ;   in Loop: Header=BB6_3280 Depth=4
	v_bfe_u32 v48, v11, 16, 3
	v_bfe_u32 v112, v11, 19, 4
	s_delay_alu instid0(VALU_DEP_2) | instskip(NEXT) | instid1(VALU_DEP_2)
	v_clz_i32_u32_e32 v50, v48
	v_cmp_eq_u32_e32 vcc_lo, 0, v112
	s_delay_alu instid0(VALU_DEP_2) | instskip(NEXT) | instid1(VALU_DEP_1)
	v_min_u32_e32 v50, 32, v50
	v_subrev_nc_u32_e32 v51, 28, v50
	v_sub_nc_u32_e32 v50, 29, v50
	s_delay_alu instid0(VALU_DEP_1) | instskip(SKIP_1) | instid1(VALU_DEP_2)
	v_dual_cndmask_b32 v50, v112, v50 :: v_dual_lshlrev_b32 v51, v51, v39
	v_lshlrev_b32_e32 v39, 24, v39
	v_and_b32_e32 v51, 7, v51
	s_delay_alu instid0(VALU_DEP_3) | instskip(NEXT) | instid1(VALU_DEP_3)
	v_lshl_add_u32 v50, v50, 23, 0x3b800000
	v_and_b32_e32 v39, 0x80000000, v39
	s_delay_alu instid0(VALU_DEP_3) | instskip(NEXT) | instid1(VALU_DEP_1)
	v_cndmask_b32_e32 v48, v48, v51, vcc_lo
	v_lshlrev_b32_e32 v48, 20, v48
	s_delay_alu instid0(VALU_DEP_1)
	v_or3_b32 v48, v39, v50, v48
.LBB6_3706:                             ;   in Loop: Header=BB6_3280 Depth=4
	s_or_b32 exec_lo, exec_lo, s38
	s_delay_alu instid0(VALU_DEP_1) | instskip(NEXT) | instid1(VALU_DEP_1)
	v_dual_max_f32 v39, v48, v48 :: v_dual_max_f32 v48, v49, v49
	v_min_f32_e32 v49, v48, v39
.LBB6_3707:                             ;   in Loop: Header=BB6_3280 Depth=4
	s_delay_alu instid0(VALU_DEP_1) | instskip(NEXT) | instid1(VALU_DEP_1)
	v_and_b32_e32 v39, 0x7f800000, v49
	v_cmp_ne_u32_e32 vcc_lo, 0x7f800000, v39
	v_mov_b32_e32 v39, 0x80
	s_and_saveexec_b32 s38, vcc_lo
	s_cbranch_execz .LBB6_3715
; %bb.3708:                             ;   in Loop: Header=BB6_3280 Depth=4
	v_mov_b32_e32 v39, 0
	s_mov_b32 s39, exec_lo
	v_cmpx_ne_u32_e32 0, v49
	s_cbranch_execz .LBB6_3714
; %bb.3709:                             ;   in Loop: Header=BB6_3280 Depth=4
	v_bfe_u32 v39, v49, 23, 8
	v_and_b32_e32 v48, 0x7fffff, v49
	s_delay_alu instid0(VALU_DEP_2) | instskip(SKIP_1) | instid1(VALU_DEP_3)
	v_sub_nc_u32_e32 v50, 0x78, v39
	v_cmp_gt_u32_e32 vcc_lo, 0x79, v39
	v_or_b32_e32 v51, 0x800000, v48
	s_delay_alu instid0(VALU_DEP_3) | instskip(SKIP_2) | instid1(VALU_DEP_3)
	v_cndmask_b32_e32 v50, 0, v50, vcc_lo
	v_cmp_eq_u32_e32 vcc_lo, 0, v39
	v_add_nc_u32_e32 v39, 0xffffff89, v39
	v_cndmask_b32_e64 v50, v50, 0x77, vcc_lo
	v_cndmask_b32_e32 v48, v51, v48, vcc_lo
	s_delay_alu instid0(VALU_DEP_3) | instskip(NEXT) | instid1(VALU_DEP_3)
	v_cndmask_b32_e64 v39, v39, 0xffffff8a, vcc_lo
	v_lshl_add_u32 v51, 0x100000, v50, -1
	s_delay_alu instid0(VALU_DEP_3) | instskip(SKIP_1) | instid1(VALU_DEP_4)
	v_lshrrev_b32_e32 v112, v50, v48
	v_lshlrev_b32_e64 v114, v50, 0x80000
	v_add_nc_u32_e32 v50, v50, v39
	s_delay_alu instid0(VALU_DEP_4) | instskip(NEXT) | instid1(VALU_DEP_4)
	v_and_b32_e32 v48, v51, v48
	v_bfe_u32 v113, v112, 20, 1
	s_delay_alu instid0(VALU_DEP_2) | instskip(NEXT) | instid1(VALU_DEP_2)
	v_cmp_eq_u32_e64 s14, v48, v114
	v_add_nc_u32_e32 v51, -1, v113
	s_delay_alu instid0(VALU_DEP_1) | instskip(SKIP_2) | instid1(VALU_DEP_2)
	v_cndmask_b32_e64 v48, 0, v51, s14
	v_lshrrev_b32_e32 v51, 23, v112
	s_mov_b32 s14, exec_lo
	v_add_nc_u32_e32 v48, v48, v112
	s_delay_alu instid0(VALU_DEP_2) | instskip(NEXT) | instid1(VALU_DEP_2)
	v_xor_b32_e32 v51, 1, v51
	v_and_b32_e32 v39, 0xfffff, v48
	s_delay_alu instid0(VALU_DEP_1) | instskip(NEXT) | instid1(VALU_DEP_3)
	v_add_nc_u32_e32 v48, v39, v112
                                        ; implicit-def: $vgpr39
	v_cmpx_ne_u32_e64 v50, v51
	s_xor_b32 s14, exec_lo, s14
; %bb.3710:                             ;   in Loop: Header=BB6_3280 Depth=4
	s_delay_alu instid0(VALU_DEP_2) | instskip(SKIP_2) | instid1(VALU_DEP_2)
	v_cmp_lt_u32_e32 vcc_lo, 0xffffff, v48
	v_sub_nc_u32_e32 v39, v50, v51
	v_cndmask_b32_e64 v50, 0, 1, vcc_lo
	v_add_co_ci_u32_e32 v39, vcc_lo, 0, v39, vcc_lo
	s_delay_alu instid0(VALU_DEP_2)
	v_lshrrev_b32_e32 v48, v50, v48
; %bb.3711:                             ;   in Loop: Header=BB6_3280 Depth=4
	s_and_not1_saveexec_b32 s14, s14
; %bb.3712:                             ;   in Loop: Header=BB6_3280 Depth=4
	s_delay_alu instid0(VALU_DEP_1)
	v_bfe_u32 v39, v48, 23, 1
; %bb.3713:                             ;   in Loop: Header=BB6_3280 Depth=4
	s_or_b32 exec_lo, exec_lo, s14
	v_lshrrev_b32_e32 v48, 20, v48
	s_delay_alu instid0(VALU_DEP_2) | instskip(SKIP_2) | instid1(VALU_DEP_2)
	v_cmp_gt_i32_e32 vcc_lo, 16, v39
	v_lshrrev_b32_e32 v49, 24, v49
	v_min_i32_e32 v50, 15, v39
	v_dual_cndmask_b32 v48, 7, v48 :: v_dual_and_b32 v49, 0x80, v49
	s_delay_alu instid0(VALU_DEP_1) | instskip(SKIP_1) | instid1(VALU_DEP_2)
	v_or_b32_e32 v39, v39, v48
	v_and_b32_e32 v51, 7, v48
	v_cmp_ne_u32_e32 vcc_lo, 0, v39
	v_lshlrev_b32_e32 v50, 3, v50
	s_delay_alu instid0(VALU_DEP_1) | instskip(NEXT) | instid1(VALU_DEP_1)
	v_and_b32_e32 v50, 0xf8, v50
	v_or3_b32 v48, v50, v49, v51
	s_delay_alu instid0(VALU_DEP_1)
	v_cndmask_b32_e32 v39, 0, v48, vcc_lo
.LBB6_3714:                             ;   in Loop: Header=BB6_3280 Depth=4
	s_or_b32 exec_lo, exec_lo, s39
.LBB6_3715:                             ;   in Loop: Header=BB6_3280 Depth=4
	s_delay_alu instid0(SALU_CYCLE_1)
	s_or_b32 exec_lo, exec_lo, s38
	v_lshrrev_b32_e32 v49, 24, v15
	v_lshrrev_b32_e32 v48, 24, v11
	s_and_b32 vcc_lo, exec_lo, s37
	s_cbranch_vccz .LBB6_3725
; %bb.3716:                             ;   in Loop: Header=BB6_3280 Depth=4
	s_mov_b32 s14, 0
	s_mov_b32 s39, exec_lo
                                        ; implicit-def: $sgpr38
	v_cmpx_lt_i16_e32 0x7f, v49
	s_xor_b32 s39, exec_lo, s39
	s_cbranch_execnz .LBB6_3982
; %bb.3717:                             ;   in Loop: Header=BB6_3280 Depth=4
	s_or_saveexec_b32 s39, s39
	v_mov_b32_e32 v50, s38
	s_xor_b32 exec_lo, exec_lo, s39
	s_cbranch_execnz .LBB6_3985
.LBB6_3718:                             ;   in Loop: Header=BB6_3280 Depth=4
	s_or_b32 exec_lo, exec_lo, s39
	s_and_saveexec_b32 s38, s14
	s_cbranch_execz .LBB6_3720
.LBB6_3719:                             ;   in Loop: Header=BB6_3280 Depth=4
	v_bfe_u32 v50, v15, 24, 3
	v_bfe_u32 v113, v15, 27, 4
	s_delay_alu instid0(VALU_DEP_2) | instskip(NEXT) | instid1(VALU_DEP_2)
	v_clz_i32_u32_e32 v51, v50
	v_cmp_eq_u32_e32 vcc_lo, 0, v113
	s_delay_alu instid0(VALU_DEP_2) | instskip(NEXT) | instid1(VALU_DEP_1)
	v_min_u32_e32 v51, 32, v51
	v_subrev_nc_u32_e32 v112, 28, v51
	v_sub_nc_u32_e32 v51, 29, v51
	s_delay_alu instid0(VALU_DEP_1) | instskip(NEXT) | instid1(VALU_DEP_1)
	v_dual_cndmask_b32 v51, v113, v51 :: v_dual_lshlrev_b32 v112, v112, v49
	v_and_b32_e32 v112, 7, v112
	s_delay_alu instid0(VALU_DEP_2) | instskip(NEXT) | instid1(VALU_DEP_2)
	v_lshl_add_u32 v51, v51, 23, 0x3b800000
	v_cndmask_b32_e32 v50, v50, v112, vcc_lo
	v_and_b32_e32 v112, 0x80000000, v15
	s_delay_alu instid0(VALU_DEP_2) | instskip(NEXT) | instid1(VALU_DEP_1)
	v_lshlrev_b32_e32 v50, 20, v50
	v_or3_b32 v50, v112, v51, v50
.LBB6_3720:                             ;   in Loop: Header=BB6_3280 Depth=4
	s_or_b32 exec_lo, exec_lo, s38
	s_mov_b32 s14, 0
	s_mov_b32 s39, exec_lo
                                        ; implicit-def: $sgpr38
	v_cmpx_lt_i16_e32 0x7f, v48
	s_xor_b32 s39, exec_lo, s39
	s_cbranch_execnz .LBB6_3986
; %bb.3721:                             ;   in Loop: Header=BB6_3280 Depth=4
	s_or_saveexec_b32 s39, s39
	v_mov_b32_e32 v51, s38
	s_xor_b32 exec_lo, exec_lo, s39
	s_cbranch_execnz .LBB6_3989
.LBB6_3722:                             ;   in Loop: Header=BB6_3280 Depth=4
	s_or_b32 exec_lo, exec_lo, s39
	s_and_saveexec_b32 s38, s14
	s_cbranch_execz .LBB6_3724
.LBB6_3723:                             ;   in Loop: Header=BB6_3280 Depth=4
	v_bfe_u32 v51, v11, 24, 3
	v_bfe_u32 v114, v11, 27, 4
	s_delay_alu instid0(VALU_DEP_2) | instskip(NEXT) | instid1(VALU_DEP_2)
	v_clz_i32_u32_e32 v112, v51
	v_cmp_eq_u32_e32 vcc_lo, 0, v114
	s_delay_alu instid0(VALU_DEP_2) | instskip(NEXT) | instid1(VALU_DEP_1)
	v_min_u32_e32 v112, 32, v112
	v_subrev_nc_u32_e32 v113, 28, v112
	v_sub_nc_u32_e32 v112, 29, v112
	s_delay_alu instid0(VALU_DEP_2) | instskip(NEXT) | instid1(VALU_DEP_1)
	v_lshlrev_b32_e32 v113, v113, v48
	v_dual_cndmask_b32 v112, v114, v112 :: v_dual_and_b32 v113, 7, v113
	s_delay_alu instid0(VALU_DEP_1) | instskip(NEXT) | instid1(VALU_DEP_2)
	v_lshl_add_u32 v112, v112, 23, 0x3b800000
	v_cndmask_b32_e32 v51, v51, v113, vcc_lo
	v_and_b32_e32 v113, 0x80000000, v11
	s_delay_alu instid0(VALU_DEP_2) | instskip(NEXT) | instid1(VALU_DEP_1)
	v_lshlrev_b32_e32 v51, 20, v51
	v_or3_b32 v51, v113, v112, v51
.LBB6_3724:                             ;   in Loop: Header=BB6_3280 Depth=4
	s_or_b32 exec_lo, exec_lo, s38
	s_delay_alu instid0(VALU_DEP_1) | instskip(SKIP_1) | instid1(VALU_DEP_1)
	v_dual_max_f32 v51, v51, v51 :: v_dual_max_f32 v50, v50, v50
	s_mov_b32 s14, 0
	v_max_f32_e32 v50, v50, v51
	s_branch .LBB6_3726
.LBB6_3725:                             ;   in Loop: Header=BB6_3280 Depth=4
	s_mov_b32 s14, -1
                                        ; implicit-def: $vgpr50
.LBB6_3726:                             ;   in Loop: Header=BB6_3280 Depth=4
	s_delay_alu instid0(SALU_CYCLE_1)
	s_and_b32 vcc_lo, exec_lo, s14
	s_cbranch_vccz .LBB6_3736
; %bb.3727:                             ;   in Loop: Header=BB6_3280 Depth=4
	s_mov_b32 s14, 0
	s_mov_b32 s39, exec_lo
                                        ; implicit-def: $sgpr38
	v_cmpx_lt_i16_e32 0x7f, v49
	s_xor_b32 s39, exec_lo, s39
	s_cbranch_execnz .LBB6_3990
; %bb.3728:                             ;   in Loop: Header=BB6_3280 Depth=4
	s_or_saveexec_b32 s39, s39
	v_mov_b32_e32 v50, s38
	s_xor_b32 exec_lo, exec_lo, s39
	s_cbranch_execnz .LBB6_3993
.LBB6_3729:                             ;   in Loop: Header=BB6_3280 Depth=4
	s_or_b32 exec_lo, exec_lo, s39
	s_and_saveexec_b32 s38, s14
	s_cbranch_execz .LBB6_3731
.LBB6_3730:                             ;   in Loop: Header=BB6_3280 Depth=4
	v_bfe_u32 v50, v15, 24, 3
	s_delay_alu instid0(VALU_DEP_1) | instskip(NEXT) | instid1(VALU_DEP_1)
	v_clz_i32_u32_e32 v51, v50
	v_min_u32_e32 v51, 32, v51
	s_delay_alu instid0(VALU_DEP_1) | instskip(SKIP_1) | instid1(VALU_DEP_2)
	v_subrev_nc_u32_e32 v112, 28, v51
	v_sub_nc_u32_e32 v51, 29, v51
	v_lshlrev_b32_e32 v49, v112, v49
	v_bfe_u32 v112, v15, 27, 4
	v_and_b32_e32 v15, 0x80000000, v15
	s_delay_alu instid0(VALU_DEP_3) | instskip(NEXT) | instid1(VALU_DEP_3)
	v_and_b32_e32 v49, 7, v49
	v_cmp_eq_u32_e32 vcc_lo, 0, v112
	v_cndmask_b32_e32 v51, v112, v51, vcc_lo
	s_delay_alu instid0(VALU_DEP_3) | instskip(NEXT) | instid1(VALU_DEP_2)
	v_cndmask_b32_e32 v49, v50, v49, vcc_lo
	v_lshl_add_u32 v50, v51, 23, 0x3b800000
	s_delay_alu instid0(VALU_DEP_2) | instskip(NEXT) | instid1(VALU_DEP_1)
	v_lshlrev_b32_e32 v49, 20, v49
	v_or3_b32 v50, v15, v50, v49
.LBB6_3731:                             ;   in Loop: Header=BB6_3280 Depth=4
	s_or_b32 exec_lo, exec_lo, s38
	s_mov_b32 s14, 0
	s_mov_b32 s39, exec_lo
                                        ; implicit-def: $sgpr38
	v_cmpx_lt_i16_e32 0x7f, v48
	s_xor_b32 s39, exec_lo, s39
	s_cbranch_execnz .LBB6_3994
; %bb.3732:                             ;   in Loop: Header=BB6_3280 Depth=4
	s_or_saveexec_b32 s39, s39
	v_mov_b32_e32 v15, s38
	s_xor_b32 exec_lo, exec_lo, s39
	s_cbranch_execnz .LBB6_3997
.LBB6_3733:                             ;   in Loop: Header=BB6_3280 Depth=4
	s_or_b32 exec_lo, exec_lo, s39
	s_and_saveexec_b32 s38, s14
	s_cbranch_execz .LBB6_3735
.LBB6_3734:                             ;   in Loop: Header=BB6_3280 Depth=4
	v_bfe_u32 v15, v11, 24, 3
	s_delay_alu instid0(VALU_DEP_1) | instskip(NEXT) | instid1(VALU_DEP_1)
	v_clz_i32_u32_e32 v49, v15
	v_min_u32_e32 v49, 32, v49
	s_delay_alu instid0(VALU_DEP_1) | instskip(SKIP_1) | instid1(VALU_DEP_2)
	v_subrev_nc_u32_e32 v51, 28, v49
	v_sub_nc_u32_e32 v49, 29, v49
	v_lshlrev_b32_e32 v48, v51, v48
	v_bfe_u32 v51, v11, 27, 4
	v_and_b32_e32 v11, 0x80000000, v11
	s_delay_alu instid0(VALU_DEP_2) | instskip(NEXT) | instid1(VALU_DEP_4)
	v_cmp_eq_u32_e32 vcc_lo, 0, v51
	v_dual_cndmask_b32 v49, v51, v49 :: v_dual_and_b32 v48, 7, v48
	s_delay_alu instid0(VALU_DEP_1) | instskip(NEXT) | instid1(VALU_DEP_2)
	v_cndmask_b32_e32 v15, v15, v48, vcc_lo
	v_lshl_add_u32 v48, v49, 23, 0x3b800000
	s_delay_alu instid0(VALU_DEP_2) | instskip(NEXT) | instid1(VALU_DEP_1)
	v_lshlrev_b32_e32 v15, 20, v15
	v_or3_b32 v15, v11, v48, v15
.LBB6_3735:                             ;   in Loop: Header=BB6_3280 Depth=4
	s_or_b32 exec_lo, exec_lo, s38
	s_delay_alu instid0(VALU_DEP_1) | instskip(SKIP_1) | instid1(VALU_DEP_1)
	v_max_f32_e32 v11, v15, v15
	v_max_f32_e32 v15, v50, v50
	v_min_f32_e32 v50, v15, v11
.LBB6_3736:                             ;   in Loop: Header=BB6_3280 Depth=4
	s_delay_alu instid0(VALU_DEP_1) | instskip(NEXT) | instid1(VALU_DEP_1)
	v_and_b32_e32 v11, 0x7f800000, v50
	v_cmp_ne_u32_e32 vcc_lo, 0x7f800000, v11
	v_mov_b32_e32 v11, 0x8000
	s_and_saveexec_b32 s38, vcc_lo
	s_cbranch_execz .LBB6_3279
; %bb.3737:                             ;   in Loop: Header=BB6_3280 Depth=4
	v_mov_b32_e32 v11, 0
	s_mov_b32 s39, exec_lo
	v_cmpx_ne_u32_e32 0, v50
	s_cbranch_execz .LBB6_3278
; %bb.3738:                             ;   in Loop: Header=BB6_3280 Depth=4
	v_bfe_u32 v11, v50, 23, 8
	s_delay_alu instid0(VALU_DEP_1) | instskip(SKIP_1) | instid1(VALU_DEP_2)
	v_sub_nc_u32_e32 v48, 0x78, v11
	v_cmp_gt_u32_e32 vcc_lo, 0x79, v11
	v_dual_cndmask_b32 v48, 0, v48 :: v_dual_and_b32 v15, 0x7fffff, v50
	s_delay_alu instid0(VALU_DEP_1) | instskip(SKIP_2) | instid1(VALU_DEP_4)
	v_or_b32_e32 v49, 0x800000, v15
	v_cmp_eq_u32_e32 vcc_lo, 0, v11
	v_add_nc_u32_e32 v11, 0xffffff89, v11
	v_cndmask_b32_e64 v48, v48, 0x77, vcc_lo
	s_delay_alu instid0(VALU_DEP_4) | instskip(NEXT) | instid1(VALU_DEP_3)
	v_cndmask_b32_e32 v15, v49, v15, vcc_lo
	v_cndmask_b32_e64 v11, v11, 0xffffff8a, vcc_lo
	s_delay_alu instid0(VALU_DEP_3) | instskip(NEXT) | instid1(VALU_DEP_3)
	v_lshl_add_u32 v49, 0x100000, v48, -1
	v_lshrrev_b32_e32 v51, v48, v15
	v_lshlrev_b32_e64 v113, v48, 0x80000
	s_delay_alu instid0(VALU_DEP_4) | instskip(NEXT) | instid1(VALU_DEP_4)
	v_add_nc_u32_e32 v48, v48, v11
	v_and_b32_e32 v15, v49, v15
	s_delay_alu instid0(VALU_DEP_4) | instskip(NEXT) | instid1(VALU_DEP_2)
	v_bfe_u32 v112, v51, 20, 1
	v_cmp_eq_u32_e64 s14, v15, v113
	s_delay_alu instid0(VALU_DEP_2) | instskip(NEXT) | instid1(VALU_DEP_1)
	v_add_nc_u32_e32 v49, -1, v112
	v_cndmask_b32_e64 v15, 0, v49, s14
	v_lshrrev_b32_e32 v49, 23, v51
	s_mov_b32 s14, exec_lo
	s_delay_alu instid0(VALU_DEP_2) | instskip(NEXT) | instid1(VALU_DEP_2)
	v_add_nc_u32_e32 v15, v15, v51
	v_xor_b32_e32 v49, 1, v49
	s_delay_alu instid0(VALU_DEP_2) | instskip(NEXT) | instid1(VALU_DEP_1)
	v_and_b32_e32 v11, 0xfffff, v15
	v_add_nc_u32_e32 v15, v11, v51
                                        ; implicit-def: $vgpr11
	s_delay_alu instid0(VALU_DEP_3)
	v_cmpx_ne_u32_e64 v48, v49
	s_xor_b32 s14, exec_lo, s14
; %bb.3739:                             ;   in Loop: Header=BB6_3280 Depth=4
	s_delay_alu instid0(VALU_DEP_2) | instskip(SKIP_2) | instid1(VALU_DEP_2)
	v_cmp_lt_u32_e32 vcc_lo, 0xffffff, v15
	v_sub_nc_u32_e32 v11, v48, v49
	v_cndmask_b32_e64 v48, 0, 1, vcc_lo
	v_add_co_ci_u32_e32 v11, vcc_lo, 0, v11, vcc_lo
	s_delay_alu instid0(VALU_DEP_2)
	v_lshrrev_b32_e32 v15, v48, v15
; %bb.3740:                             ;   in Loop: Header=BB6_3280 Depth=4
	s_and_not1_saveexec_b32 s14, s14
	s_cbranch_execz .LBB6_3277
; %bb.3741:                             ;   in Loop: Header=BB6_3280 Depth=4
	s_delay_alu instid0(VALU_DEP_1)
	v_bfe_u32 v11, v15, 23, 1
	s_branch .LBB6_3277
.LBB6_3742:                             ;   in Loop: Header=BB6_3280 Depth=4
	s_mov_b32 s14, -1
	s_mov_b32 s40, exec_lo
                                        ; implicit-def: $sgpr38
	v_cmpx_eq_u16_e32 0x80, v32
; %bb.3743:                             ;   in Loop: Header=BB6_3280 Depth=4
	s_mov_b32 s38, 0x7f800001
	s_xor_b32 s14, exec_lo, -1
; %bb.3744:                             ;   in Loop: Header=BB6_3280 Depth=4
	s_or_b32 exec_lo, exec_lo, s40
	s_delay_alu instid0(SALU_CYCLE_1)
	s_and_b32 s14, s14, exec_lo
                                        ; implicit-def: $vgpr32
	s_or_saveexec_b32 s39, s39
	v_mov_b32_e32 v27, s38
	s_xor_b32 exec_lo, exec_lo, s39
	s_cbranch_execz .LBB6_3283
.LBB6_3745:                             ;   in Loop: Header=BB6_3280 Depth=4
	v_cmp_ne_u16_e32 vcc_lo, 0, v32
	v_mov_b32_e32 v27, 0
	s_and_not1_b32 s14, s14, exec_lo
	s_and_b32 vcc_lo, vcc_lo, exec_lo
	s_delay_alu instid0(SALU_CYCLE_1)
	s_or_b32 s14, s14, vcc_lo
	s_or_b32 exec_lo, exec_lo, s39
	s_and_saveexec_b32 s38, s14
	s_cbranch_execnz .LBB6_3284
	s_branch .LBB6_3285
.LBB6_3746:                             ;   in Loop: Header=BB6_3280 Depth=4
	s_mov_b32 s14, -1
	s_mov_b32 s40, exec_lo
                                        ; implicit-def: $sgpr38
	v_cmpx_eq_u16_e32 0x80, v33
; %bb.3747:                             ;   in Loop: Header=BB6_3280 Depth=4
	s_mov_b32 s38, 0x7f800001
	s_xor_b32 s14, exec_lo, -1
; %bb.3748:                             ;   in Loop: Header=BB6_3280 Depth=4
	s_or_b32 exec_lo, exec_lo, s40
	s_delay_alu instid0(SALU_CYCLE_1)
	s_and_b32 s14, s14, exec_lo
                                        ; implicit-def: $vgpr33
	s_or_saveexec_b32 s39, s39
	v_mov_b32_e32 v32, s38
	s_xor_b32 exec_lo, exec_lo, s39
	s_cbranch_execz .LBB6_3287
.LBB6_3749:                             ;   in Loop: Header=BB6_3280 Depth=4
	v_cmp_ne_u16_e32 vcc_lo, 0, v33
	v_mov_b32_e32 v32, 0
	s_and_not1_b32 s14, s14, exec_lo
	s_and_b32 vcc_lo, vcc_lo, exec_lo
	s_delay_alu instid0(SALU_CYCLE_1)
	s_or_b32 s14, s14, vcc_lo
	s_or_b32 exec_lo, exec_lo, s39
	s_and_saveexec_b32 s38, s14
	s_cbranch_execnz .LBB6_3288
	s_branch .LBB6_3289
.LBB6_3750:                             ;   in Loop: Header=BB6_3280 Depth=4
	s_mov_b32 s14, -1
	s_mov_b32 s40, exec_lo
                                        ; implicit-def: $sgpr38
	v_cmpx_eq_u16_e32 0x80, v32
; %bb.3751:                             ;   in Loop: Header=BB6_3280 Depth=4
	s_mov_b32 s38, 0x7f800001
	s_xor_b32 s14, exec_lo, -1
; %bb.3752:                             ;   in Loop: Header=BB6_3280 Depth=4
	s_or_b32 exec_lo, exec_lo, s40
	s_delay_alu instid0(SALU_CYCLE_1)
	s_and_b32 s14, s14, exec_lo
                                        ; implicit-def: $vgpr32
	s_or_saveexec_b32 s39, s39
	v_mov_b32_e32 v27, s38
	s_xor_b32 exec_lo, exec_lo, s39
	s_cbranch_execz .LBB6_3294
.LBB6_3753:                             ;   in Loop: Header=BB6_3280 Depth=4
	v_cmp_ne_u16_e32 vcc_lo, 0, v32
	v_mov_b32_e32 v27, 0
	s_and_not1_b32 s14, s14, exec_lo
	s_and_b32 vcc_lo, vcc_lo, exec_lo
	s_delay_alu instid0(SALU_CYCLE_1)
	s_or_b32 s14, s14, vcc_lo
	s_or_b32 exec_lo, exec_lo, s39
	s_and_saveexec_b32 s38, s14
	s_cbranch_execnz .LBB6_3295
	s_branch .LBB6_3296
.LBB6_3754:                             ;   in Loop: Header=BB6_3280 Depth=4
	s_mov_b32 s14, -1
	s_mov_b32 s40, exec_lo
                                        ; implicit-def: $sgpr38
	v_cmpx_eq_u16_e32 0x80, v33
; %bb.3755:                             ;   in Loop: Header=BB6_3280 Depth=4
	s_mov_b32 s38, 0x7f800001
	s_xor_b32 s14, exec_lo, -1
; %bb.3756:                             ;   in Loop: Header=BB6_3280 Depth=4
	s_or_b32 exec_lo, exec_lo, s40
	s_delay_alu instid0(SALU_CYCLE_1)
	s_and_b32 s14, s14, exec_lo
                                        ; implicit-def: $vgpr33
	s_or_saveexec_b32 s39, s39
	v_mov_b32_e32 v32, s38
	s_xor_b32 exec_lo, exec_lo, s39
	s_cbranch_execz .LBB6_3298
.LBB6_3757:                             ;   in Loop: Header=BB6_3280 Depth=4
	v_cmp_ne_u16_e32 vcc_lo, 0, v33
	v_mov_b32_e32 v32, 0
	s_and_not1_b32 s14, s14, exec_lo
	s_and_b32 vcc_lo, vcc_lo, exec_lo
	s_delay_alu instid0(SALU_CYCLE_1)
	s_or_b32 s14, s14, vcc_lo
	s_or_b32 exec_lo, exec_lo, s39
	s_and_saveexec_b32 s38, s14
	s_cbranch_execnz .LBB6_3299
	s_branch .LBB6_3300
.LBB6_3758:                             ;   in Loop: Header=BB6_3280 Depth=4
	s_mov_b32 s14, -1
	s_mov_b32 s40, exec_lo
                                        ; implicit-def: $sgpr38
	v_cmpx_eq_u16_e32 0x80, v33
; %bb.3759:                             ;   in Loop: Header=BB6_3280 Depth=4
	s_mov_b32 s38, 0x7f800001
	s_xor_b32 s14, exec_lo, -1
; %bb.3760:                             ;   in Loop: Header=BB6_3280 Depth=4
	s_or_b32 exec_lo, exec_lo, s40
	s_delay_alu instid0(SALU_CYCLE_1)
	s_and_b32 s14, s14, exec_lo
	s_or_saveexec_b32 s39, s39
	v_mov_b32_e32 v34, s38
	s_xor_b32 exec_lo, exec_lo, s39
	s_cbranch_execz .LBB6_3312
.LBB6_3761:                             ;   in Loop: Header=BB6_3280 Depth=4
	v_cmp_ne_u16_e32 vcc_lo, 0, v33
	v_mov_b32_e32 v34, 0
	s_and_not1_b32 s14, s14, exec_lo
	s_and_b32 vcc_lo, vcc_lo, exec_lo
	s_delay_alu instid0(SALU_CYCLE_1)
	s_or_b32 s14, s14, vcc_lo
	s_or_b32 exec_lo, exec_lo, s39
	s_and_saveexec_b32 s38, s14
	s_cbranch_execnz .LBB6_3313
	s_branch .LBB6_3314
.LBB6_3762:                             ;   in Loop: Header=BB6_3280 Depth=4
	s_mov_b32 s14, -1
	s_mov_b32 s40, exec_lo
                                        ; implicit-def: $sgpr38
	v_cmpx_eq_u16_e32 0x80, v32
; %bb.3763:                             ;   in Loop: Header=BB6_3280 Depth=4
	s_mov_b32 s38, 0x7f800001
	s_xor_b32 s14, exec_lo, -1
; %bb.3764:                             ;   in Loop: Header=BB6_3280 Depth=4
	s_or_b32 exec_lo, exec_lo, s40
	s_delay_alu instid0(SALU_CYCLE_1)
	s_and_b32 s14, s14, exec_lo
	s_or_saveexec_b32 s39, s39
	v_mov_b32_e32 v35, s38
	s_xor_b32 exec_lo, exec_lo, s39
	s_cbranch_execz .LBB6_3316
.LBB6_3765:                             ;   in Loop: Header=BB6_3280 Depth=4
	v_cmp_ne_u16_e32 vcc_lo, 0, v32
	v_mov_b32_e32 v35, 0
	s_and_not1_b32 s14, s14, exec_lo
	s_and_b32 vcc_lo, vcc_lo, exec_lo
	s_delay_alu instid0(SALU_CYCLE_1)
	s_or_b32 s14, s14, vcc_lo
	s_or_b32 exec_lo, exec_lo, s39
	s_and_saveexec_b32 s38, s14
	s_cbranch_execnz .LBB6_3317
	s_branch .LBB6_3318
.LBB6_3766:                             ;   in Loop: Header=BB6_3280 Depth=4
	s_mov_b32 s14, -1
	s_mov_b32 s40, exec_lo
                                        ; implicit-def: $sgpr38
	v_cmpx_eq_u16_e32 0x80, v33
; %bb.3767:                             ;   in Loop: Header=BB6_3280 Depth=4
	s_mov_b32 s38, 0x7f800001
	s_xor_b32 s14, exec_lo, -1
; %bb.3768:                             ;   in Loop: Header=BB6_3280 Depth=4
	s_or_b32 exec_lo, exec_lo, s40
	s_delay_alu instid0(SALU_CYCLE_1)
	s_and_b32 s14, s14, exec_lo
	s_or_saveexec_b32 s39, s39
	v_mov_b32_e32 v34, s38
	s_xor_b32 exec_lo, exec_lo, s39
	s_cbranch_execz .LBB6_3323
.LBB6_3769:                             ;   in Loop: Header=BB6_3280 Depth=4
	v_cmp_ne_u16_e32 vcc_lo, 0, v33
	v_mov_b32_e32 v34, 0
	s_and_not1_b32 s14, s14, exec_lo
	s_and_b32 vcc_lo, vcc_lo, exec_lo
	s_delay_alu instid0(SALU_CYCLE_1)
	s_or_b32 s14, s14, vcc_lo
	s_or_b32 exec_lo, exec_lo, s39
	s_and_saveexec_b32 s38, s14
	s_cbranch_execnz .LBB6_3324
	s_branch .LBB6_3325
.LBB6_3770:                             ;   in Loop: Header=BB6_3280 Depth=4
	s_mov_b32 s14, -1
	s_mov_b32 s40, exec_lo
                                        ; implicit-def: $sgpr38
	v_cmpx_eq_u16_e32 0x80, v32
; %bb.3771:                             ;   in Loop: Header=BB6_3280 Depth=4
	s_mov_b32 s38, 0x7f800001
	s_xor_b32 s14, exec_lo, -1
; %bb.3772:                             ;   in Loop: Header=BB6_3280 Depth=4
	s_or_b32 exec_lo, exec_lo, s40
	s_delay_alu instid0(SALU_CYCLE_1)
	s_and_b32 s14, s14, exec_lo
	s_or_saveexec_b32 s39, s39
	v_mov_b32_e32 v33, s38
	s_xor_b32 exec_lo, exec_lo, s39
	s_cbranch_execz .LBB6_3327
.LBB6_3773:                             ;   in Loop: Header=BB6_3280 Depth=4
	v_cmp_ne_u16_e32 vcc_lo, 0, v32
	v_mov_b32_e32 v33, 0
	s_and_not1_b32 s14, s14, exec_lo
	s_and_b32 vcc_lo, vcc_lo, exec_lo
	s_delay_alu instid0(SALU_CYCLE_1)
	s_or_b32 s14, s14, vcc_lo
	s_or_b32 exec_lo, exec_lo, s39
	s_and_saveexec_b32 s38, s14
	s_cbranch_execnz .LBB6_3328
	s_branch .LBB6_3329
.LBB6_3774:                             ;   in Loop: Header=BB6_3280 Depth=4
	s_mov_b32 s14, -1
	s_mov_b32 s40, exec_lo
                                        ; implicit-def: $sgpr38
	v_cmpx_eq_u16_e32 0x80, v36
; %bb.3775:                             ;   in Loop: Header=BB6_3280 Depth=4
	s_mov_b32 s38, 0x7f800001
	s_xor_b32 s14, exec_lo, -1
; %bb.3776:                             ;   in Loop: Header=BB6_3280 Depth=4
	s_or_b32 exec_lo, exec_lo, s40
	s_delay_alu instid0(SALU_CYCLE_1)
	s_and_b32 s14, s14, exec_lo
                                        ; implicit-def: $vgpr36
	s_or_saveexec_b32 s39, s39
	v_mov_b32_e32 v35, s38
	s_xor_b32 exec_lo, exec_lo, s39
	s_cbranch_execz .LBB6_3341
.LBB6_3777:                             ;   in Loop: Header=BB6_3280 Depth=4
	v_cmp_ne_u16_e32 vcc_lo, 0, v36
	v_mov_b32_e32 v35, 0
	s_and_not1_b32 s14, s14, exec_lo
	s_and_b32 vcc_lo, vcc_lo, exec_lo
	s_delay_alu instid0(SALU_CYCLE_1)
	s_or_b32 s14, s14, vcc_lo
	s_or_b32 exec_lo, exec_lo, s39
	s_and_saveexec_b32 s38, s14
	s_cbranch_execnz .LBB6_3342
	s_branch .LBB6_3343
.LBB6_3778:                             ;   in Loop: Header=BB6_3280 Depth=4
	s_mov_b32 s14, -1
	s_mov_b32 s40, exec_lo
                                        ; implicit-def: $sgpr38
	v_cmpx_eq_u16_e32 0x80, v37
; %bb.3779:                             ;   in Loop: Header=BB6_3280 Depth=4
	s_mov_b32 s38, 0x7f800001
	s_xor_b32 s14, exec_lo, -1
; %bb.3780:                             ;   in Loop: Header=BB6_3280 Depth=4
	s_or_b32 exec_lo, exec_lo, s40
	s_delay_alu instid0(SALU_CYCLE_1)
	s_and_b32 s14, s14, exec_lo
                                        ; implicit-def: $vgpr37
	s_or_saveexec_b32 s39, s39
	v_mov_b32_e32 v36, s38
	s_xor_b32 exec_lo, exec_lo, s39
	s_cbranch_execz .LBB6_3345
.LBB6_3781:                             ;   in Loop: Header=BB6_3280 Depth=4
	v_cmp_ne_u16_e32 vcc_lo, 0, v37
	v_mov_b32_e32 v36, 0
	s_and_not1_b32 s14, s14, exec_lo
	s_and_b32 vcc_lo, vcc_lo, exec_lo
	s_delay_alu instid0(SALU_CYCLE_1)
	s_or_b32 s14, s14, vcc_lo
	s_or_b32 exec_lo, exec_lo, s39
	s_and_saveexec_b32 s38, s14
	s_cbranch_execnz .LBB6_3346
	s_branch .LBB6_3347
.LBB6_3782:                             ;   in Loop: Header=BB6_3280 Depth=4
	s_mov_b32 s14, -1
	s_mov_b32 s40, exec_lo
                                        ; implicit-def: $sgpr38
	v_cmpx_eq_u16_e32 0x80, v36
; %bb.3783:                             ;   in Loop: Header=BB6_3280 Depth=4
	s_mov_b32 s38, 0x7f800001
	s_xor_b32 s14, exec_lo, -1
; %bb.3784:                             ;   in Loop: Header=BB6_3280 Depth=4
	s_or_b32 exec_lo, exec_lo, s40
	s_delay_alu instid0(SALU_CYCLE_1)
	s_and_b32 s14, s14, exec_lo
                                        ; implicit-def: $vgpr36
	s_or_saveexec_b32 s39, s39
	v_mov_b32_e32 v35, s38
	s_xor_b32 exec_lo, exec_lo, s39
	s_cbranch_execz .LBB6_3352
.LBB6_3785:                             ;   in Loop: Header=BB6_3280 Depth=4
	v_cmp_ne_u16_e32 vcc_lo, 0, v36
	v_mov_b32_e32 v35, 0
	s_and_not1_b32 s14, s14, exec_lo
	s_and_b32 vcc_lo, vcc_lo, exec_lo
	s_delay_alu instid0(SALU_CYCLE_1)
	s_or_b32 s14, s14, vcc_lo
	s_or_b32 exec_lo, exec_lo, s39
	s_and_saveexec_b32 s38, s14
	s_cbranch_execnz .LBB6_3353
	s_branch .LBB6_3354
.LBB6_3786:                             ;   in Loop: Header=BB6_3280 Depth=4
	s_mov_b32 s14, -1
	s_mov_b32 s40, exec_lo
                                        ; implicit-def: $sgpr38
	v_cmpx_eq_u16_e32 0x80, v36
; %bb.3787:                             ;   in Loop: Header=BB6_3280 Depth=4
	s_mov_b32 s38, 0x7f800001
	s_xor_b32 s14, exec_lo, -1
; %bb.3788:                             ;   in Loop: Header=BB6_3280 Depth=4
	s_or_b32 exec_lo, exec_lo, s40
	s_delay_alu instid0(SALU_CYCLE_1)
	s_and_b32 s14, s14, exec_lo
                                        ; implicit-def: $vgpr36
	s_or_saveexec_b32 s39, s39
	v_mov_b32_e32 v34, s38
	s_xor_b32 exec_lo, exec_lo, s39
	s_cbranch_execz .LBB6_3356
.LBB6_3789:                             ;   in Loop: Header=BB6_3280 Depth=4
	v_cmp_ne_u16_e32 vcc_lo, 0, v36
	v_mov_b32_e32 v34, 0
	s_and_not1_b32 s14, s14, exec_lo
	s_and_b32 vcc_lo, vcc_lo, exec_lo
	s_delay_alu instid0(SALU_CYCLE_1)
	s_or_b32 s14, s14, vcc_lo
	s_or_b32 exec_lo, exec_lo, s39
	s_and_saveexec_b32 s38, s14
	s_cbranch_execnz .LBB6_3357
	s_branch .LBB6_3358
.LBB6_3790:                             ;   in Loop: Header=BB6_3280 Depth=4
	s_mov_b32 s14, -1
	s_mov_b32 s40, exec_lo
                                        ; implicit-def: $sgpr38
	v_cmpx_eq_u16_e32 0x80, v35
; %bb.3791:                             ;   in Loop: Header=BB6_3280 Depth=4
	s_mov_b32 s38, 0x7f800001
	s_xor_b32 s14, exec_lo, -1
; %bb.3792:                             ;   in Loop: Header=BB6_3280 Depth=4
	s_or_b32 exec_lo, exec_lo, s40
	s_delay_alu instid0(SALU_CYCLE_1)
	s_and_b32 s14, s14, exec_lo
	s_or_saveexec_b32 s39, s39
	v_mov_b32_e32 v36, s38
	s_xor_b32 exec_lo, exec_lo, s39
	s_cbranch_execz .LBB6_3370
.LBB6_3793:                             ;   in Loop: Header=BB6_3280 Depth=4
	v_cmp_ne_u16_e32 vcc_lo, 0, v35
	v_mov_b32_e32 v36, 0
	s_and_not1_b32 s14, s14, exec_lo
	s_and_b32 vcc_lo, vcc_lo, exec_lo
	s_delay_alu instid0(SALU_CYCLE_1)
	s_or_b32 s14, s14, vcc_lo
	s_or_b32 exec_lo, exec_lo, s39
	s_and_saveexec_b32 s38, s14
	s_cbranch_execnz .LBB6_3371
	s_branch .LBB6_3372
.LBB6_3794:                             ;   in Loop: Header=BB6_3280 Depth=4
	s_mov_b32 s14, -1
	s_mov_b32 s40, exec_lo
                                        ; implicit-def: $sgpr38
	v_cmpx_eq_u16_e32 0x80, v34
; %bb.3795:                             ;   in Loop: Header=BB6_3280 Depth=4
	s_mov_b32 s38, 0x7f800001
	s_xor_b32 s14, exec_lo, -1
; %bb.3796:                             ;   in Loop: Header=BB6_3280 Depth=4
	s_or_b32 exec_lo, exec_lo, s40
	s_delay_alu instid0(SALU_CYCLE_1)
	s_and_b32 s14, s14, exec_lo
	s_or_saveexec_b32 s39, s39
	v_mov_b32_e32 v37, s38
	s_xor_b32 exec_lo, exec_lo, s39
	s_cbranch_execz .LBB6_3374
.LBB6_3797:                             ;   in Loop: Header=BB6_3280 Depth=4
	v_cmp_ne_u16_e32 vcc_lo, 0, v34
	v_mov_b32_e32 v37, 0
	s_and_not1_b32 s14, s14, exec_lo
	s_and_b32 vcc_lo, vcc_lo, exec_lo
	s_delay_alu instid0(SALU_CYCLE_1)
	s_or_b32 s14, s14, vcc_lo
	s_or_b32 exec_lo, exec_lo, s39
	s_and_saveexec_b32 s38, s14
	s_cbranch_execnz .LBB6_3375
	s_branch .LBB6_3376
.LBB6_3798:                             ;   in Loop: Header=BB6_3280 Depth=4
	s_mov_b32 s14, -1
	s_mov_b32 s40, exec_lo
                                        ; implicit-def: $sgpr38
	v_cmpx_eq_u16_e32 0x80, v35
; %bb.3799:                             ;   in Loop: Header=BB6_3280 Depth=4
	s_mov_b32 s38, 0x7f800001
	s_xor_b32 s14, exec_lo, -1
; %bb.3800:                             ;   in Loop: Header=BB6_3280 Depth=4
	s_or_b32 exec_lo, exec_lo, s40
	s_delay_alu instid0(SALU_CYCLE_1)
	s_and_b32 s14, s14, exec_lo
	s_or_saveexec_b32 s39, s39
	v_mov_b32_e32 v36, s38
	s_xor_b32 exec_lo, exec_lo, s39
	s_cbranch_execz .LBB6_3381
.LBB6_3801:                             ;   in Loop: Header=BB6_3280 Depth=4
	v_cmp_ne_u16_e32 vcc_lo, 0, v35
	v_mov_b32_e32 v36, 0
	s_and_not1_b32 s14, s14, exec_lo
	s_and_b32 vcc_lo, vcc_lo, exec_lo
	s_delay_alu instid0(SALU_CYCLE_1)
	s_or_b32 s14, s14, vcc_lo
	s_or_b32 exec_lo, exec_lo, s39
	s_and_saveexec_b32 s38, s14
	s_cbranch_execnz .LBB6_3382
	s_branch .LBB6_3383
.LBB6_3802:                             ;   in Loop: Header=BB6_3280 Depth=4
	s_mov_b32 s14, -1
	s_mov_b32 s40, exec_lo
                                        ; implicit-def: $sgpr38
	v_cmpx_eq_u16_e32 0x80, v34
; %bb.3803:                             ;   in Loop: Header=BB6_3280 Depth=4
	s_mov_b32 s38, 0x7f800001
	s_xor_b32 s14, exec_lo, -1
; %bb.3804:                             ;   in Loop: Header=BB6_3280 Depth=4
	s_or_b32 exec_lo, exec_lo, s40
	s_delay_alu instid0(SALU_CYCLE_1)
	s_and_b32 s14, s14, exec_lo
	s_or_saveexec_b32 s39, s39
	v_mov_b32_e32 v12, s38
	s_xor_b32 exec_lo, exec_lo, s39
	s_cbranch_execz .LBB6_3385
.LBB6_3805:                             ;   in Loop: Header=BB6_3280 Depth=4
	v_cmp_ne_u16_e32 vcc_lo, 0, v34
	v_mov_b32_e32 v12, 0
	s_and_not1_b32 s14, s14, exec_lo
	s_and_b32 vcc_lo, vcc_lo, exec_lo
	s_delay_alu instid0(SALU_CYCLE_1)
	s_or_b32 s14, s14, vcc_lo
	s_or_b32 exec_lo, exec_lo, s39
	s_and_saveexec_b32 s38, s14
	s_cbranch_execnz .LBB6_3386
	s_branch .LBB6_3387
.LBB6_3806:                             ;   in Loop: Header=BB6_3280 Depth=4
	s_mov_b32 s14, -1
	s_mov_b32 s40, exec_lo
                                        ; implicit-def: $sgpr38
	v_cmpx_eq_u16_e32 0x80, v34
; %bb.3807:                             ;   in Loop: Header=BB6_3280 Depth=4
	s_mov_b32 s38, 0x7f800001
	s_xor_b32 s14, exec_lo, -1
; %bb.3808:                             ;   in Loop: Header=BB6_3280 Depth=4
	s_or_b32 exec_lo, exec_lo, s40
	s_delay_alu instid0(SALU_CYCLE_1)
	s_and_b32 s14, s14, exec_lo
                                        ; implicit-def: $vgpr34
	s_or_saveexec_b32 s39, s39
	v_mov_b32_e32 v12, s38
	s_xor_b32 exec_lo, exec_lo, s39
	s_cbranch_execz .LBB6_3399
.LBB6_3809:                             ;   in Loop: Header=BB6_3280 Depth=4
	v_cmp_ne_u16_e32 vcc_lo, 0, v34
	v_mov_b32_e32 v12, 0
	s_and_not1_b32 s14, s14, exec_lo
	s_and_b32 vcc_lo, vcc_lo, exec_lo
	s_delay_alu instid0(SALU_CYCLE_1)
	s_or_b32 s14, s14, vcc_lo
	s_or_b32 exec_lo, exec_lo, s39
	s_and_saveexec_b32 s38, s14
	s_cbranch_execnz .LBB6_3400
	s_branch .LBB6_3401
.LBB6_3810:                             ;   in Loop: Header=BB6_3280 Depth=4
	s_mov_b32 s14, -1
	s_mov_b32 s40, exec_lo
                                        ; implicit-def: $sgpr38
	v_cmpx_eq_u16_e32 0x80, v35
; %bb.3811:                             ;   in Loop: Header=BB6_3280 Depth=4
	s_mov_b32 s38, 0x7f800001
	s_xor_b32 s14, exec_lo, -1
; %bb.3812:                             ;   in Loop: Header=BB6_3280 Depth=4
	s_or_b32 exec_lo, exec_lo, s40
	s_delay_alu instid0(SALU_CYCLE_1)
	s_and_b32 s14, s14, exec_lo
                                        ; implicit-def: $vgpr35
	s_or_saveexec_b32 s39, s39
	v_mov_b32_e32 v34, s38
	s_xor_b32 exec_lo, exec_lo, s39
	s_cbranch_execz .LBB6_3403
.LBB6_3813:                             ;   in Loop: Header=BB6_3280 Depth=4
	v_cmp_ne_u16_e32 vcc_lo, 0, v35
	v_mov_b32_e32 v34, 0
	s_and_not1_b32 s14, s14, exec_lo
	s_and_b32 vcc_lo, vcc_lo, exec_lo
	s_delay_alu instid0(SALU_CYCLE_1)
	s_or_b32 s14, s14, vcc_lo
	s_or_b32 exec_lo, exec_lo, s39
	s_and_saveexec_b32 s38, s14
	s_cbranch_execnz .LBB6_3404
	s_branch .LBB6_3405
.LBB6_3814:                             ;   in Loop: Header=BB6_3280 Depth=4
	s_mov_b32 s14, -1
	s_mov_b32 s40, exec_lo
                                        ; implicit-def: $sgpr38
	v_cmpx_eq_u16_e32 0x80, v34
; %bb.3815:                             ;   in Loop: Header=BB6_3280 Depth=4
	s_mov_b32 s38, 0x7f800001
	s_xor_b32 s14, exec_lo, -1
; %bb.3816:                             ;   in Loop: Header=BB6_3280 Depth=4
	s_or_b32 exec_lo, exec_lo, s40
	s_delay_alu instid0(SALU_CYCLE_1)
	s_and_b32 s14, s14, exec_lo
                                        ; implicit-def: $vgpr34
	s_or_saveexec_b32 s39, s39
	v_mov_b32_e32 v12, s38
	s_xor_b32 exec_lo, exec_lo, s39
	s_cbranch_execz .LBB6_3410
.LBB6_3817:                             ;   in Loop: Header=BB6_3280 Depth=4
	v_cmp_ne_u16_e32 vcc_lo, 0, v34
	v_mov_b32_e32 v12, 0
	s_and_not1_b32 s14, s14, exec_lo
	s_and_b32 vcc_lo, vcc_lo, exec_lo
	s_delay_alu instid0(SALU_CYCLE_1)
	s_or_b32 s14, s14, vcc_lo
	s_or_b32 exec_lo, exec_lo, s39
	s_and_saveexec_b32 s38, s14
	s_cbranch_execnz .LBB6_3411
	s_branch .LBB6_3412
.LBB6_3818:                             ;   in Loop: Header=BB6_3280 Depth=4
	s_mov_b32 s14, -1
	s_mov_b32 s40, exec_lo
                                        ; implicit-def: $sgpr38
	v_cmpx_eq_u16_e32 0x80, v35
; %bb.3819:                             ;   in Loop: Header=BB6_3280 Depth=4
	s_mov_b32 s38, 0x7f800001
	s_xor_b32 s14, exec_lo, -1
; %bb.3820:                             ;   in Loop: Header=BB6_3280 Depth=4
	s_or_b32 exec_lo, exec_lo, s40
	s_delay_alu instid0(SALU_CYCLE_1)
	s_and_b32 s14, s14, exec_lo
                                        ; implicit-def: $vgpr35
	s_or_saveexec_b32 s39, s39
	v_mov_b32_e32 v34, s38
	s_xor_b32 exec_lo, exec_lo, s39
	s_cbranch_execz .LBB6_3414
.LBB6_3821:                             ;   in Loop: Header=BB6_3280 Depth=4
	v_cmp_ne_u16_e32 vcc_lo, 0, v35
	v_mov_b32_e32 v34, 0
	s_and_not1_b32 s14, s14, exec_lo
	s_and_b32 vcc_lo, vcc_lo, exec_lo
	s_delay_alu instid0(SALU_CYCLE_1)
	s_or_b32 s14, s14, vcc_lo
	s_or_b32 exec_lo, exec_lo, s39
	s_and_saveexec_b32 s38, s14
	s_cbranch_execnz .LBB6_3415
	s_branch .LBB6_3416
.LBB6_3822:                             ;   in Loop: Header=BB6_3280 Depth=4
	s_mov_b32 s14, -1
	s_mov_b32 s40, exec_lo
                                        ; implicit-def: $sgpr38
	v_cmpx_eq_u16_e32 0x80, v35
; %bb.3823:                             ;   in Loop: Header=BB6_3280 Depth=4
	s_mov_b32 s38, 0x7f800001
	s_xor_b32 s14, exec_lo, -1
; %bb.3824:                             ;   in Loop: Header=BB6_3280 Depth=4
	s_or_b32 exec_lo, exec_lo, s40
	s_delay_alu instid0(SALU_CYCLE_1)
	s_and_b32 s14, s14, exec_lo
	s_or_saveexec_b32 s39, s39
	v_mov_b32_e32 v36, s38
	s_xor_b32 exec_lo, exec_lo, s39
	s_cbranch_execz .LBB6_3428
.LBB6_3825:                             ;   in Loop: Header=BB6_3280 Depth=4
	v_cmp_ne_u16_e32 vcc_lo, 0, v35
	v_mov_b32_e32 v36, 0
	s_and_not1_b32 s14, s14, exec_lo
	s_and_b32 vcc_lo, vcc_lo, exec_lo
	s_delay_alu instid0(SALU_CYCLE_1)
	s_or_b32 s14, s14, vcc_lo
	s_or_b32 exec_lo, exec_lo, s39
	s_and_saveexec_b32 s38, s14
	s_cbranch_execnz .LBB6_3429
	s_branch .LBB6_3430
.LBB6_3826:                             ;   in Loop: Header=BB6_3280 Depth=4
	s_mov_b32 s14, -1
	s_mov_b32 s40, exec_lo
                                        ; implicit-def: $sgpr38
	v_cmpx_eq_u16_e32 0x80, v34
; %bb.3827:                             ;   in Loop: Header=BB6_3280 Depth=4
	s_mov_b32 s38, 0x7f800001
	s_xor_b32 s14, exec_lo, -1
; %bb.3828:                             ;   in Loop: Header=BB6_3280 Depth=4
	s_or_b32 exec_lo, exec_lo, s40
	s_delay_alu instid0(SALU_CYCLE_1)
	s_and_b32 s14, s14, exec_lo
	s_or_saveexec_b32 s39, s39
	v_mov_b32_e32 v37, s38
	s_xor_b32 exec_lo, exec_lo, s39
	s_cbranch_execz .LBB6_3432
.LBB6_3829:                             ;   in Loop: Header=BB6_3280 Depth=4
	v_cmp_ne_u16_e32 vcc_lo, 0, v34
	v_mov_b32_e32 v37, 0
	s_and_not1_b32 s14, s14, exec_lo
	s_and_b32 vcc_lo, vcc_lo, exec_lo
	s_delay_alu instid0(SALU_CYCLE_1)
	s_or_b32 s14, s14, vcc_lo
	s_or_b32 exec_lo, exec_lo, s39
	s_and_saveexec_b32 s38, s14
	s_cbranch_execnz .LBB6_3433
	s_branch .LBB6_3434
.LBB6_3830:                             ;   in Loop: Header=BB6_3280 Depth=4
	s_mov_b32 s14, -1
	s_mov_b32 s40, exec_lo
                                        ; implicit-def: $sgpr38
	v_cmpx_eq_u16_e32 0x80, v35
; %bb.3831:                             ;   in Loop: Header=BB6_3280 Depth=4
	s_mov_b32 s38, 0x7f800001
	s_xor_b32 s14, exec_lo, -1
; %bb.3832:                             ;   in Loop: Header=BB6_3280 Depth=4
	s_or_b32 exec_lo, exec_lo, s40
	s_delay_alu instid0(SALU_CYCLE_1)
	s_and_b32 s14, s14, exec_lo
	s_or_saveexec_b32 s39, s39
	v_mov_b32_e32 v36, s38
	s_xor_b32 exec_lo, exec_lo, s39
	s_cbranch_execz .LBB6_3439
.LBB6_3833:                             ;   in Loop: Header=BB6_3280 Depth=4
	v_cmp_ne_u16_e32 vcc_lo, 0, v35
	v_mov_b32_e32 v36, 0
	s_and_not1_b32 s14, s14, exec_lo
	s_and_b32 vcc_lo, vcc_lo, exec_lo
	s_delay_alu instid0(SALU_CYCLE_1)
	s_or_b32 s14, s14, vcc_lo
	s_or_b32 exec_lo, exec_lo, s39
	s_and_saveexec_b32 s38, s14
	s_cbranch_execnz .LBB6_3440
	s_branch .LBB6_3441
.LBB6_3834:                             ;   in Loop: Header=BB6_3280 Depth=4
	s_mov_b32 s14, -1
	s_mov_b32 s40, exec_lo
                                        ; implicit-def: $sgpr38
	v_cmpx_eq_u16_e32 0x80, v34
; %bb.3835:                             ;   in Loop: Header=BB6_3280 Depth=4
	s_mov_b32 s38, 0x7f800001
	s_xor_b32 s14, exec_lo, -1
; %bb.3836:                             ;   in Loop: Header=BB6_3280 Depth=4
	s_or_b32 exec_lo, exec_lo, s40
	s_delay_alu instid0(SALU_CYCLE_1)
	s_and_b32 s14, s14, exec_lo
	s_or_saveexec_b32 s39, s39
	v_mov_b32_e32 v35, s38
	s_xor_b32 exec_lo, exec_lo, s39
	s_cbranch_execz .LBB6_3443
.LBB6_3837:                             ;   in Loop: Header=BB6_3280 Depth=4
	v_cmp_ne_u16_e32 vcc_lo, 0, v34
	v_mov_b32_e32 v35, 0
	s_and_not1_b32 s14, s14, exec_lo
	s_and_b32 vcc_lo, vcc_lo, exec_lo
	s_delay_alu instid0(SALU_CYCLE_1)
	s_or_b32 s14, s14, vcc_lo
	s_or_b32 exec_lo, exec_lo, s39
	s_and_saveexec_b32 s38, s14
	s_cbranch_execnz .LBB6_3444
	s_branch .LBB6_3445
.LBB6_3838:                             ;   in Loop: Header=BB6_3280 Depth=4
	s_mov_b32 s14, -1
	s_mov_b32 s40, exec_lo
                                        ; implicit-def: $sgpr38
	v_cmpx_eq_u16_e32 0x80, v38
; %bb.3839:                             ;   in Loop: Header=BB6_3280 Depth=4
	s_mov_b32 s38, 0x7f800001
	s_xor_b32 s14, exec_lo, -1
; %bb.3840:                             ;   in Loop: Header=BB6_3280 Depth=4
	s_or_b32 exec_lo, exec_lo, s40
	s_delay_alu instid0(SALU_CYCLE_1)
	s_and_b32 s14, s14, exec_lo
                                        ; implicit-def: $vgpr38
	s_or_saveexec_b32 s39, s39
	v_mov_b32_e32 v37, s38
	s_xor_b32 exec_lo, exec_lo, s39
	s_cbranch_execz .LBB6_3457
.LBB6_3841:                             ;   in Loop: Header=BB6_3280 Depth=4
	v_cmp_ne_u16_e32 vcc_lo, 0, v38
	v_mov_b32_e32 v37, 0
	s_and_not1_b32 s14, s14, exec_lo
	s_and_b32 vcc_lo, vcc_lo, exec_lo
	s_delay_alu instid0(SALU_CYCLE_1)
	s_or_b32 s14, s14, vcc_lo
	s_or_b32 exec_lo, exec_lo, s39
	s_and_saveexec_b32 s38, s14
	s_cbranch_execnz .LBB6_3458
	s_branch .LBB6_3459
.LBB6_3842:                             ;   in Loop: Header=BB6_3280 Depth=4
	s_mov_b32 s14, -1
	s_mov_b32 s40, exec_lo
                                        ; implicit-def: $sgpr38
	v_cmpx_eq_u16_e32 0x80, v39
; %bb.3843:                             ;   in Loop: Header=BB6_3280 Depth=4
	s_mov_b32 s38, 0x7f800001
	s_xor_b32 s14, exec_lo, -1
; %bb.3844:                             ;   in Loop: Header=BB6_3280 Depth=4
	s_or_b32 exec_lo, exec_lo, s40
	s_delay_alu instid0(SALU_CYCLE_1)
	s_and_b32 s14, s14, exec_lo
                                        ; implicit-def: $vgpr39
	s_or_saveexec_b32 s39, s39
	v_mov_b32_e32 v38, s38
	s_xor_b32 exec_lo, exec_lo, s39
	s_cbranch_execz .LBB6_3461
.LBB6_3845:                             ;   in Loop: Header=BB6_3280 Depth=4
	v_cmp_ne_u16_e32 vcc_lo, 0, v39
	v_mov_b32_e32 v38, 0
	s_and_not1_b32 s14, s14, exec_lo
	s_and_b32 vcc_lo, vcc_lo, exec_lo
	s_delay_alu instid0(SALU_CYCLE_1)
	s_or_b32 s14, s14, vcc_lo
	s_or_b32 exec_lo, exec_lo, s39
	s_and_saveexec_b32 s38, s14
	s_cbranch_execnz .LBB6_3462
	s_branch .LBB6_3463
.LBB6_3846:                             ;   in Loop: Header=BB6_3280 Depth=4
	s_mov_b32 s14, -1
	s_mov_b32 s40, exec_lo
                                        ; implicit-def: $sgpr38
	v_cmpx_eq_u16_e32 0x80, v38
; %bb.3847:                             ;   in Loop: Header=BB6_3280 Depth=4
	s_mov_b32 s38, 0x7f800001
	s_xor_b32 s14, exec_lo, -1
; %bb.3848:                             ;   in Loop: Header=BB6_3280 Depth=4
	s_or_b32 exec_lo, exec_lo, s40
	s_delay_alu instid0(SALU_CYCLE_1)
	s_and_b32 s14, s14, exec_lo
                                        ; implicit-def: $vgpr38
	s_or_saveexec_b32 s39, s39
	v_mov_b32_e32 v37, s38
	s_xor_b32 exec_lo, exec_lo, s39
	s_cbranch_execz .LBB6_3468
.LBB6_3849:                             ;   in Loop: Header=BB6_3280 Depth=4
	v_cmp_ne_u16_e32 vcc_lo, 0, v38
	v_mov_b32_e32 v37, 0
	s_and_not1_b32 s14, s14, exec_lo
	s_and_b32 vcc_lo, vcc_lo, exec_lo
	s_delay_alu instid0(SALU_CYCLE_1)
	s_or_b32 s14, s14, vcc_lo
	s_or_b32 exec_lo, exec_lo, s39
	s_and_saveexec_b32 s38, s14
	s_cbranch_execnz .LBB6_3469
	s_branch .LBB6_3470
.LBB6_3850:                             ;   in Loop: Header=BB6_3280 Depth=4
	s_mov_b32 s14, -1
	s_mov_b32 s40, exec_lo
                                        ; implicit-def: $sgpr38
	v_cmpx_eq_u16_e32 0x80, v38
; %bb.3851:                             ;   in Loop: Header=BB6_3280 Depth=4
	s_mov_b32 s38, 0x7f800001
	s_xor_b32 s14, exec_lo, -1
; %bb.3852:                             ;   in Loop: Header=BB6_3280 Depth=4
	s_or_b32 exec_lo, exec_lo, s40
	s_delay_alu instid0(SALU_CYCLE_1)
	s_and_b32 s14, s14, exec_lo
                                        ; implicit-def: $vgpr38
	s_or_saveexec_b32 s39, s39
	v_mov_b32_e32 v36, s38
	s_xor_b32 exec_lo, exec_lo, s39
	s_cbranch_execz .LBB6_3472
.LBB6_3853:                             ;   in Loop: Header=BB6_3280 Depth=4
	v_cmp_ne_u16_e32 vcc_lo, 0, v38
	v_mov_b32_e32 v36, 0
	s_and_not1_b32 s14, s14, exec_lo
	s_and_b32 vcc_lo, vcc_lo, exec_lo
	s_delay_alu instid0(SALU_CYCLE_1)
	s_or_b32 s14, s14, vcc_lo
	s_or_b32 exec_lo, exec_lo, s39
	s_and_saveexec_b32 s38, s14
	s_cbranch_execnz .LBB6_3473
	s_branch .LBB6_3474
.LBB6_3854:                             ;   in Loop: Header=BB6_3280 Depth=4
	s_mov_b32 s14, -1
	s_mov_b32 s40, exec_lo
                                        ; implicit-def: $sgpr38
	v_cmpx_eq_u16_e32 0x80, v37
; %bb.3855:                             ;   in Loop: Header=BB6_3280 Depth=4
	s_mov_b32 s38, 0x7f800001
	s_xor_b32 s14, exec_lo, -1
; %bb.3856:                             ;   in Loop: Header=BB6_3280 Depth=4
	s_or_b32 exec_lo, exec_lo, s40
	s_delay_alu instid0(SALU_CYCLE_1)
	s_and_b32 s14, s14, exec_lo
	s_or_saveexec_b32 s39, s39
	v_mov_b32_e32 v38, s38
	s_xor_b32 exec_lo, exec_lo, s39
	s_cbranch_execz .LBB6_3486
.LBB6_3857:                             ;   in Loop: Header=BB6_3280 Depth=4
	v_cmp_ne_u16_e32 vcc_lo, 0, v37
	v_mov_b32_e32 v38, 0
	s_and_not1_b32 s14, s14, exec_lo
	s_and_b32 vcc_lo, vcc_lo, exec_lo
	s_delay_alu instid0(SALU_CYCLE_1)
	s_or_b32 s14, s14, vcc_lo
	s_or_b32 exec_lo, exec_lo, s39
	s_and_saveexec_b32 s38, s14
	s_cbranch_execnz .LBB6_3487
	s_branch .LBB6_3488
.LBB6_3858:                             ;   in Loop: Header=BB6_3280 Depth=4
	s_mov_b32 s14, -1
	s_mov_b32 s40, exec_lo
                                        ; implicit-def: $sgpr38
	v_cmpx_eq_u16_e32 0x80, v36
; %bb.3859:                             ;   in Loop: Header=BB6_3280 Depth=4
	s_mov_b32 s38, 0x7f800001
	s_xor_b32 s14, exec_lo, -1
; %bb.3860:                             ;   in Loop: Header=BB6_3280 Depth=4
	s_or_b32 exec_lo, exec_lo, s40
	s_delay_alu instid0(SALU_CYCLE_1)
	s_and_b32 s14, s14, exec_lo
	s_or_saveexec_b32 s39, s39
	v_mov_b32_e32 v39, s38
	s_xor_b32 exec_lo, exec_lo, s39
	s_cbranch_execz .LBB6_3490
.LBB6_3861:                             ;   in Loop: Header=BB6_3280 Depth=4
	v_cmp_ne_u16_e32 vcc_lo, 0, v36
	v_mov_b32_e32 v39, 0
	s_and_not1_b32 s14, s14, exec_lo
	s_and_b32 vcc_lo, vcc_lo, exec_lo
	s_delay_alu instid0(SALU_CYCLE_1)
	s_or_b32 s14, s14, vcc_lo
	s_or_b32 exec_lo, exec_lo, s39
	s_and_saveexec_b32 s38, s14
	s_cbranch_execnz .LBB6_3491
	s_branch .LBB6_3492
.LBB6_3862:                             ;   in Loop: Header=BB6_3280 Depth=4
	s_mov_b32 s14, -1
	s_mov_b32 s40, exec_lo
                                        ; implicit-def: $sgpr38
	v_cmpx_eq_u16_e32 0x80, v37
; %bb.3863:                             ;   in Loop: Header=BB6_3280 Depth=4
	s_mov_b32 s38, 0x7f800001
	s_xor_b32 s14, exec_lo, -1
; %bb.3864:                             ;   in Loop: Header=BB6_3280 Depth=4
	s_or_b32 exec_lo, exec_lo, s40
	s_delay_alu instid0(SALU_CYCLE_1)
	s_and_b32 s14, s14, exec_lo
	s_or_saveexec_b32 s39, s39
	v_mov_b32_e32 v38, s38
	s_xor_b32 exec_lo, exec_lo, s39
	s_cbranch_execz .LBB6_3497
.LBB6_3865:                             ;   in Loop: Header=BB6_3280 Depth=4
	v_cmp_ne_u16_e32 vcc_lo, 0, v37
	v_mov_b32_e32 v38, 0
	s_and_not1_b32 s14, s14, exec_lo
	s_and_b32 vcc_lo, vcc_lo, exec_lo
	s_delay_alu instid0(SALU_CYCLE_1)
	s_or_b32 s14, s14, vcc_lo
	s_or_b32 exec_lo, exec_lo, s39
	s_and_saveexec_b32 s38, s14
	s_cbranch_execnz .LBB6_3498
	s_branch .LBB6_3499
.LBB6_3866:                             ;   in Loop: Header=BB6_3280 Depth=4
	s_mov_b32 s14, -1
	s_mov_b32 s40, exec_lo
                                        ; implicit-def: $sgpr38
	v_cmpx_eq_u16_e32 0x80, v36
; %bb.3867:                             ;   in Loop: Header=BB6_3280 Depth=4
	s_mov_b32 s38, 0x7f800001
	s_xor_b32 s14, exec_lo, -1
; %bb.3868:                             ;   in Loop: Header=BB6_3280 Depth=4
	s_or_b32 exec_lo, exec_lo, s40
	s_delay_alu instid0(SALU_CYCLE_1)
	s_and_b32 s14, s14, exec_lo
	s_or_saveexec_b32 s39, s39
	v_mov_b32_e32 v13, s38
	s_xor_b32 exec_lo, exec_lo, s39
	s_cbranch_execz .LBB6_3501
.LBB6_3869:                             ;   in Loop: Header=BB6_3280 Depth=4
	v_cmp_ne_u16_e32 vcc_lo, 0, v36
	v_mov_b32_e32 v13, 0
	s_and_not1_b32 s14, s14, exec_lo
	s_and_b32 vcc_lo, vcc_lo, exec_lo
	s_delay_alu instid0(SALU_CYCLE_1)
	s_or_b32 s14, s14, vcc_lo
	s_or_b32 exec_lo, exec_lo, s39
	s_and_saveexec_b32 s38, s14
	s_cbranch_execnz .LBB6_3502
	s_branch .LBB6_3503
.LBB6_3870:                             ;   in Loop: Header=BB6_3280 Depth=4
	s_mov_b32 s14, -1
	s_mov_b32 s40, exec_lo
                                        ; implicit-def: $sgpr38
	v_cmpx_eq_u16_e32 0x80, v36
; %bb.3871:                             ;   in Loop: Header=BB6_3280 Depth=4
	s_mov_b32 s38, 0x7f800001
	s_xor_b32 s14, exec_lo, -1
; %bb.3872:                             ;   in Loop: Header=BB6_3280 Depth=4
	s_or_b32 exec_lo, exec_lo, s40
	s_delay_alu instid0(SALU_CYCLE_1)
	s_and_b32 s14, s14, exec_lo
                                        ; implicit-def: $vgpr36
	s_or_saveexec_b32 s39, s39
	v_mov_b32_e32 v13, s38
	s_xor_b32 exec_lo, exec_lo, s39
	s_cbranch_execz .LBB6_3515
.LBB6_3873:                             ;   in Loop: Header=BB6_3280 Depth=4
	v_cmp_ne_u16_e32 vcc_lo, 0, v36
	v_mov_b32_e32 v13, 0
	s_and_not1_b32 s14, s14, exec_lo
	s_and_b32 vcc_lo, vcc_lo, exec_lo
	s_delay_alu instid0(SALU_CYCLE_1)
	s_or_b32 s14, s14, vcc_lo
	s_or_b32 exec_lo, exec_lo, s39
	s_and_saveexec_b32 s38, s14
	s_cbranch_execnz .LBB6_3516
	s_branch .LBB6_3517
.LBB6_3874:                             ;   in Loop: Header=BB6_3280 Depth=4
	s_mov_b32 s14, -1
	s_mov_b32 s40, exec_lo
                                        ; implicit-def: $sgpr38
	v_cmpx_eq_u16_e32 0x80, v37
; %bb.3875:                             ;   in Loop: Header=BB6_3280 Depth=4
	s_mov_b32 s38, 0x7f800001
	s_xor_b32 s14, exec_lo, -1
; %bb.3876:                             ;   in Loop: Header=BB6_3280 Depth=4
	s_or_b32 exec_lo, exec_lo, s40
	s_delay_alu instid0(SALU_CYCLE_1)
	s_and_b32 s14, s14, exec_lo
                                        ; implicit-def: $vgpr37
	s_or_saveexec_b32 s39, s39
	v_mov_b32_e32 v36, s38
	s_xor_b32 exec_lo, exec_lo, s39
	s_cbranch_execz .LBB6_3519
.LBB6_3877:                             ;   in Loop: Header=BB6_3280 Depth=4
	v_cmp_ne_u16_e32 vcc_lo, 0, v37
	v_mov_b32_e32 v36, 0
	s_and_not1_b32 s14, s14, exec_lo
	s_and_b32 vcc_lo, vcc_lo, exec_lo
	s_delay_alu instid0(SALU_CYCLE_1)
	s_or_b32 s14, s14, vcc_lo
	s_or_b32 exec_lo, exec_lo, s39
	s_and_saveexec_b32 s38, s14
	s_cbranch_execnz .LBB6_3520
	s_branch .LBB6_3521
.LBB6_3878:                             ;   in Loop: Header=BB6_3280 Depth=4
	s_mov_b32 s14, -1
	s_mov_b32 s40, exec_lo
                                        ; implicit-def: $sgpr38
	v_cmpx_eq_u16_e32 0x80, v36
; %bb.3879:                             ;   in Loop: Header=BB6_3280 Depth=4
	s_mov_b32 s38, 0x7f800001
	s_xor_b32 s14, exec_lo, -1
; %bb.3880:                             ;   in Loop: Header=BB6_3280 Depth=4
	s_or_b32 exec_lo, exec_lo, s40
	s_delay_alu instid0(SALU_CYCLE_1)
	s_and_b32 s14, s14, exec_lo
                                        ; implicit-def: $vgpr36
	s_or_saveexec_b32 s39, s39
	v_mov_b32_e32 v13, s38
	s_xor_b32 exec_lo, exec_lo, s39
	s_cbranch_execz .LBB6_3526
.LBB6_3881:                             ;   in Loop: Header=BB6_3280 Depth=4
	v_cmp_ne_u16_e32 vcc_lo, 0, v36
	v_mov_b32_e32 v13, 0
	s_and_not1_b32 s14, s14, exec_lo
	s_and_b32 vcc_lo, vcc_lo, exec_lo
	s_delay_alu instid0(SALU_CYCLE_1)
	s_or_b32 s14, s14, vcc_lo
	s_or_b32 exec_lo, exec_lo, s39
	s_and_saveexec_b32 s38, s14
	s_cbranch_execnz .LBB6_3527
	s_branch .LBB6_3528
.LBB6_3882:                             ;   in Loop: Header=BB6_3280 Depth=4
	s_mov_b32 s14, -1
	s_mov_b32 s40, exec_lo
                                        ; implicit-def: $sgpr38
	v_cmpx_eq_u16_e32 0x80, v37
; %bb.3883:                             ;   in Loop: Header=BB6_3280 Depth=4
	s_mov_b32 s38, 0x7f800001
	s_xor_b32 s14, exec_lo, -1
; %bb.3884:                             ;   in Loop: Header=BB6_3280 Depth=4
	s_or_b32 exec_lo, exec_lo, s40
	s_delay_alu instid0(SALU_CYCLE_1)
	s_and_b32 s14, s14, exec_lo
                                        ; implicit-def: $vgpr37
	s_or_saveexec_b32 s39, s39
	v_mov_b32_e32 v36, s38
	s_xor_b32 exec_lo, exec_lo, s39
	s_cbranch_execz .LBB6_3530
.LBB6_3885:                             ;   in Loop: Header=BB6_3280 Depth=4
	v_cmp_ne_u16_e32 vcc_lo, 0, v37
	v_mov_b32_e32 v36, 0
	s_and_not1_b32 s14, s14, exec_lo
	s_and_b32 vcc_lo, vcc_lo, exec_lo
	s_delay_alu instid0(SALU_CYCLE_1)
	s_or_b32 s14, s14, vcc_lo
	s_or_b32 exec_lo, exec_lo, s39
	s_and_saveexec_b32 s38, s14
	s_cbranch_execnz .LBB6_3531
	s_branch .LBB6_3532
.LBB6_3886:                             ;   in Loop: Header=BB6_3280 Depth=4
	s_mov_b32 s14, -1
	s_mov_b32 s40, exec_lo
                                        ; implicit-def: $sgpr38
	v_cmpx_eq_u16_e32 0x80, v37
; %bb.3887:                             ;   in Loop: Header=BB6_3280 Depth=4
	s_mov_b32 s38, 0x7f800001
	s_xor_b32 s14, exec_lo, -1
; %bb.3888:                             ;   in Loop: Header=BB6_3280 Depth=4
	s_or_b32 exec_lo, exec_lo, s40
	s_delay_alu instid0(SALU_CYCLE_1)
	s_and_b32 s14, s14, exec_lo
	s_or_saveexec_b32 s39, s39
	v_mov_b32_e32 v38, s38
	s_xor_b32 exec_lo, exec_lo, s39
	s_cbranch_execz .LBB6_3544
.LBB6_3889:                             ;   in Loop: Header=BB6_3280 Depth=4
	v_cmp_ne_u16_e32 vcc_lo, 0, v37
	v_mov_b32_e32 v38, 0
	s_and_not1_b32 s14, s14, exec_lo
	s_and_b32 vcc_lo, vcc_lo, exec_lo
	s_delay_alu instid0(SALU_CYCLE_1)
	s_or_b32 s14, s14, vcc_lo
	s_or_b32 exec_lo, exec_lo, s39
	s_and_saveexec_b32 s38, s14
	s_cbranch_execnz .LBB6_3545
	s_branch .LBB6_3546
.LBB6_3890:                             ;   in Loop: Header=BB6_3280 Depth=4
	s_mov_b32 s14, -1
	s_mov_b32 s40, exec_lo
                                        ; implicit-def: $sgpr38
	v_cmpx_eq_u16_e32 0x80, v36
; %bb.3891:                             ;   in Loop: Header=BB6_3280 Depth=4
	s_mov_b32 s38, 0x7f800001
	s_xor_b32 s14, exec_lo, -1
; %bb.3892:                             ;   in Loop: Header=BB6_3280 Depth=4
	s_or_b32 exec_lo, exec_lo, s40
	s_delay_alu instid0(SALU_CYCLE_1)
	s_and_b32 s14, s14, exec_lo
	s_or_saveexec_b32 s39, s39
	v_mov_b32_e32 v39, s38
	s_xor_b32 exec_lo, exec_lo, s39
	s_cbranch_execz .LBB6_3548
.LBB6_3893:                             ;   in Loop: Header=BB6_3280 Depth=4
	v_cmp_ne_u16_e32 vcc_lo, 0, v36
	v_mov_b32_e32 v39, 0
	s_and_not1_b32 s14, s14, exec_lo
	s_and_b32 vcc_lo, vcc_lo, exec_lo
	s_delay_alu instid0(SALU_CYCLE_1)
	s_or_b32 s14, s14, vcc_lo
	s_or_b32 exec_lo, exec_lo, s39
	s_and_saveexec_b32 s38, s14
	s_cbranch_execnz .LBB6_3549
	s_branch .LBB6_3550
.LBB6_3894:                             ;   in Loop: Header=BB6_3280 Depth=4
	s_mov_b32 s14, -1
	s_mov_b32 s40, exec_lo
                                        ; implicit-def: $sgpr38
	v_cmpx_eq_u16_e32 0x80, v37
; %bb.3895:                             ;   in Loop: Header=BB6_3280 Depth=4
	s_mov_b32 s38, 0x7f800001
	s_xor_b32 s14, exec_lo, -1
; %bb.3896:                             ;   in Loop: Header=BB6_3280 Depth=4
	s_or_b32 exec_lo, exec_lo, s40
	s_delay_alu instid0(SALU_CYCLE_1)
	s_and_b32 s14, s14, exec_lo
	s_or_saveexec_b32 s39, s39
	v_mov_b32_e32 v38, s38
	s_xor_b32 exec_lo, exec_lo, s39
	s_cbranch_execz .LBB6_3555
.LBB6_3897:                             ;   in Loop: Header=BB6_3280 Depth=4
	v_cmp_ne_u16_e32 vcc_lo, 0, v37
	v_mov_b32_e32 v38, 0
	s_and_not1_b32 s14, s14, exec_lo
	s_and_b32 vcc_lo, vcc_lo, exec_lo
	s_delay_alu instid0(SALU_CYCLE_1)
	s_or_b32 s14, s14, vcc_lo
	s_or_b32 exec_lo, exec_lo, s39
	s_and_saveexec_b32 s38, s14
	s_cbranch_execnz .LBB6_3556
	s_branch .LBB6_3557
.LBB6_3898:                             ;   in Loop: Header=BB6_3280 Depth=4
	s_mov_b32 s14, -1
	s_mov_b32 s40, exec_lo
                                        ; implicit-def: $sgpr38
	v_cmpx_eq_u16_e32 0x80, v36
; %bb.3899:                             ;   in Loop: Header=BB6_3280 Depth=4
	s_mov_b32 s38, 0x7f800001
	s_xor_b32 s14, exec_lo, -1
; %bb.3900:                             ;   in Loop: Header=BB6_3280 Depth=4
	s_or_b32 exec_lo, exec_lo, s40
	s_delay_alu instid0(SALU_CYCLE_1)
	s_and_b32 s14, s14, exec_lo
	s_or_saveexec_b32 s39, s39
	v_mov_b32_e32 v37, s38
	s_xor_b32 exec_lo, exec_lo, s39
	s_cbranch_execz .LBB6_3559
.LBB6_3901:                             ;   in Loop: Header=BB6_3280 Depth=4
	v_cmp_ne_u16_e32 vcc_lo, 0, v36
	v_mov_b32_e32 v37, 0
	s_and_not1_b32 s14, s14, exec_lo
	s_and_b32 vcc_lo, vcc_lo, exec_lo
	s_delay_alu instid0(SALU_CYCLE_1)
	s_or_b32 s14, s14, vcc_lo
	s_or_b32 exec_lo, exec_lo, s39
	s_and_saveexec_b32 s38, s14
	s_cbranch_execnz .LBB6_3560
	s_branch .LBB6_3561
.LBB6_3902:                             ;   in Loop: Header=BB6_3280 Depth=4
	s_mov_b32 s14, -1
	s_mov_b32 s40, exec_lo
                                        ; implicit-def: $sgpr38
	v_cmpx_eq_u16_e32 0x80, v48
; %bb.3903:                             ;   in Loop: Header=BB6_3280 Depth=4
	s_mov_b32 s38, 0x7f800001
	s_xor_b32 s14, exec_lo, -1
; %bb.3904:                             ;   in Loop: Header=BB6_3280 Depth=4
	s_or_b32 exec_lo, exec_lo, s40
	s_delay_alu instid0(SALU_CYCLE_1)
	s_and_b32 s14, s14, exec_lo
                                        ; implicit-def: $vgpr48
	s_or_saveexec_b32 s39, s39
	v_mov_b32_e32 v39, s38
	s_xor_b32 exec_lo, exec_lo, s39
	s_cbranch_execz .LBB6_3573
.LBB6_3905:                             ;   in Loop: Header=BB6_3280 Depth=4
	v_cmp_ne_u16_e32 vcc_lo, 0, v48
	v_mov_b32_e32 v39, 0
	s_and_not1_b32 s14, s14, exec_lo
	s_and_b32 vcc_lo, vcc_lo, exec_lo
	s_delay_alu instid0(SALU_CYCLE_1)
	s_or_b32 s14, s14, vcc_lo
	s_or_b32 exec_lo, exec_lo, s39
	s_and_saveexec_b32 s38, s14
	s_cbranch_execnz .LBB6_3574
	s_branch .LBB6_3575
.LBB6_3906:                             ;   in Loop: Header=BB6_3280 Depth=4
	s_mov_b32 s14, -1
	s_mov_b32 s40, exec_lo
                                        ; implicit-def: $sgpr38
	v_cmpx_eq_u16_e32 0x80, v49
; %bb.3907:                             ;   in Loop: Header=BB6_3280 Depth=4
	s_mov_b32 s38, 0x7f800001
	s_xor_b32 s14, exec_lo, -1
; %bb.3908:                             ;   in Loop: Header=BB6_3280 Depth=4
	s_or_b32 exec_lo, exec_lo, s40
	s_delay_alu instid0(SALU_CYCLE_1)
	s_and_b32 s14, s14, exec_lo
                                        ; implicit-def: $vgpr49
	s_or_saveexec_b32 s39, s39
	v_mov_b32_e32 v48, s38
	s_xor_b32 exec_lo, exec_lo, s39
	s_cbranch_execz .LBB6_3577
.LBB6_3909:                             ;   in Loop: Header=BB6_3280 Depth=4
	v_cmp_ne_u16_e32 vcc_lo, 0, v49
	v_mov_b32_e32 v48, 0
	s_and_not1_b32 s14, s14, exec_lo
	s_and_b32 vcc_lo, vcc_lo, exec_lo
	s_delay_alu instid0(SALU_CYCLE_1)
	s_or_b32 s14, s14, vcc_lo
	s_or_b32 exec_lo, exec_lo, s39
	s_and_saveexec_b32 s38, s14
	s_cbranch_execnz .LBB6_3578
	s_branch .LBB6_3579
.LBB6_3910:                             ;   in Loop: Header=BB6_3280 Depth=4
	s_mov_b32 s14, -1
	s_mov_b32 s40, exec_lo
                                        ; implicit-def: $sgpr38
	v_cmpx_eq_u16_e32 0x80, v48
; %bb.3911:                             ;   in Loop: Header=BB6_3280 Depth=4
	s_mov_b32 s38, 0x7f800001
	s_xor_b32 s14, exec_lo, -1
; %bb.3912:                             ;   in Loop: Header=BB6_3280 Depth=4
	s_or_b32 exec_lo, exec_lo, s40
	s_delay_alu instid0(SALU_CYCLE_1)
	s_and_b32 s14, s14, exec_lo
                                        ; implicit-def: $vgpr48
	s_or_saveexec_b32 s39, s39
	v_mov_b32_e32 v39, s38
	s_xor_b32 exec_lo, exec_lo, s39
	s_cbranch_execz .LBB6_3584
.LBB6_3913:                             ;   in Loop: Header=BB6_3280 Depth=4
	v_cmp_ne_u16_e32 vcc_lo, 0, v48
	v_mov_b32_e32 v39, 0
	s_and_not1_b32 s14, s14, exec_lo
	s_and_b32 vcc_lo, vcc_lo, exec_lo
	s_delay_alu instid0(SALU_CYCLE_1)
	s_or_b32 s14, s14, vcc_lo
	s_or_b32 exec_lo, exec_lo, s39
	s_and_saveexec_b32 s38, s14
	s_cbranch_execnz .LBB6_3585
	s_branch .LBB6_3586
.LBB6_3914:                             ;   in Loop: Header=BB6_3280 Depth=4
	s_mov_b32 s14, -1
	s_mov_b32 s40, exec_lo
                                        ; implicit-def: $sgpr38
	v_cmpx_eq_u16_e32 0x80, v48
; %bb.3915:                             ;   in Loop: Header=BB6_3280 Depth=4
	s_mov_b32 s38, 0x7f800001
	s_xor_b32 s14, exec_lo, -1
; %bb.3916:                             ;   in Loop: Header=BB6_3280 Depth=4
	s_or_b32 exec_lo, exec_lo, s40
	s_delay_alu instid0(SALU_CYCLE_1)
	s_and_b32 s14, s14, exec_lo
                                        ; implicit-def: $vgpr48
	s_or_saveexec_b32 s39, s39
	v_mov_b32_e32 v38, s38
	s_xor_b32 exec_lo, exec_lo, s39
	s_cbranch_execz .LBB6_3588
.LBB6_3917:                             ;   in Loop: Header=BB6_3280 Depth=4
	v_cmp_ne_u16_e32 vcc_lo, 0, v48
	v_mov_b32_e32 v38, 0
	s_and_not1_b32 s14, s14, exec_lo
	s_and_b32 vcc_lo, vcc_lo, exec_lo
	s_delay_alu instid0(SALU_CYCLE_1)
	s_or_b32 s14, s14, vcc_lo
	s_or_b32 exec_lo, exec_lo, s39
	s_and_saveexec_b32 s38, s14
	s_cbranch_execnz .LBB6_3589
	s_branch .LBB6_3590
.LBB6_3918:                             ;   in Loop: Header=BB6_3280 Depth=4
	s_mov_b32 s14, -1
	s_mov_b32 s40, exec_lo
                                        ; implicit-def: $sgpr38
	v_cmpx_eq_u16_e32 0x80, v39
; %bb.3919:                             ;   in Loop: Header=BB6_3280 Depth=4
	s_mov_b32 s38, 0x7f800001
	s_xor_b32 s14, exec_lo, -1
; %bb.3920:                             ;   in Loop: Header=BB6_3280 Depth=4
	s_or_b32 exec_lo, exec_lo, s40
	s_delay_alu instid0(SALU_CYCLE_1)
	s_and_b32 s14, s14, exec_lo
	s_or_saveexec_b32 s39, s39
	v_mov_b32_e32 v48, s38
	s_xor_b32 exec_lo, exec_lo, s39
	s_cbranch_execz .LBB6_3602
.LBB6_3921:                             ;   in Loop: Header=BB6_3280 Depth=4
	v_cmp_ne_u16_e32 vcc_lo, 0, v39
	v_mov_b32_e32 v48, 0
	s_and_not1_b32 s14, s14, exec_lo
	s_and_b32 vcc_lo, vcc_lo, exec_lo
	s_delay_alu instid0(SALU_CYCLE_1)
	s_or_b32 s14, s14, vcc_lo
	s_or_b32 exec_lo, exec_lo, s39
	s_and_saveexec_b32 s38, s14
	s_cbranch_execnz .LBB6_3603
	s_branch .LBB6_3604
.LBB6_3922:                             ;   in Loop: Header=BB6_3280 Depth=4
	s_mov_b32 s14, -1
	s_mov_b32 s40, exec_lo
                                        ; implicit-def: $sgpr38
	v_cmpx_eq_u16_e32 0x80, v38
; %bb.3923:                             ;   in Loop: Header=BB6_3280 Depth=4
	s_mov_b32 s38, 0x7f800001
	s_xor_b32 s14, exec_lo, -1
; %bb.3924:                             ;   in Loop: Header=BB6_3280 Depth=4
	s_or_b32 exec_lo, exec_lo, s40
	s_delay_alu instid0(SALU_CYCLE_1)
	s_and_b32 s14, s14, exec_lo
	s_or_saveexec_b32 s39, s39
	v_mov_b32_e32 v49, s38
	s_xor_b32 exec_lo, exec_lo, s39
	s_cbranch_execz .LBB6_3606
.LBB6_3925:                             ;   in Loop: Header=BB6_3280 Depth=4
	v_cmp_ne_u16_e32 vcc_lo, 0, v38
	v_mov_b32_e32 v49, 0
	s_and_not1_b32 s14, s14, exec_lo
	s_and_b32 vcc_lo, vcc_lo, exec_lo
	s_delay_alu instid0(SALU_CYCLE_1)
	s_or_b32 s14, s14, vcc_lo
	s_or_b32 exec_lo, exec_lo, s39
	s_and_saveexec_b32 s38, s14
	s_cbranch_execnz .LBB6_3607
	s_branch .LBB6_3608
.LBB6_3926:                             ;   in Loop: Header=BB6_3280 Depth=4
	s_mov_b32 s14, -1
	s_mov_b32 s40, exec_lo
                                        ; implicit-def: $sgpr38
	v_cmpx_eq_u16_e32 0x80, v39
; %bb.3927:                             ;   in Loop: Header=BB6_3280 Depth=4
	s_mov_b32 s38, 0x7f800001
	s_xor_b32 s14, exec_lo, -1
; %bb.3928:                             ;   in Loop: Header=BB6_3280 Depth=4
	s_or_b32 exec_lo, exec_lo, s40
	s_delay_alu instid0(SALU_CYCLE_1)
	s_and_b32 s14, s14, exec_lo
	s_or_saveexec_b32 s39, s39
	v_mov_b32_e32 v48, s38
	s_xor_b32 exec_lo, exec_lo, s39
	s_cbranch_execz .LBB6_3613
.LBB6_3929:                             ;   in Loop: Header=BB6_3280 Depth=4
	v_cmp_ne_u16_e32 vcc_lo, 0, v39
	v_mov_b32_e32 v48, 0
	s_and_not1_b32 s14, s14, exec_lo
	s_and_b32 vcc_lo, vcc_lo, exec_lo
	s_delay_alu instid0(SALU_CYCLE_1)
	s_or_b32 s14, s14, vcc_lo
	s_or_b32 exec_lo, exec_lo, s39
	s_and_saveexec_b32 s38, s14
	s_cbranch_execnz .LBB6_3614
	s_branch .LBB6_3615
.LBB6_3930:                             ;   in Loop: Header=BB6_3280 Depth=4
	s_mov_b32 s14, -1
	s_mov_b32 s40, exec_lo
                                        ; implicit-def: $sgpr38
	v_cmpx_eq_u16_e32 0x80, v38
; %bb.3931:                             ;   in Loop: Header=BB6_3280 Depth=4
	s_mov_b32 s38, 0x7f800001
	s_xor_b32 s14, exec_lo, -1
; %bb.3932:                             ;   in Loop: Header=BB6_3280 Depth=4
	s_or_b32 exec_lo, exec_lo, s40
	s_delay_alu instid0(SALU_CYCLE_1)
	s_and_b32 s14, s14, exec_lo
	s_or_saveexec_b32 s39, s39
	v_mov_b32_e32 v14, s38
	s_xor_b32 exec_lo, exec_lo, s39
	s_cbranch_execz .LBB6_3617
.LBB6_3933:                             ;   in Loop: Header=BB6_3280 Depth=4
	v_cmp_ne_u16_e32 vcc_lo, 0, v38
	v_mov_b32_e32 v14, 0
	s_and_not1_b32 s14, s14, exec_lo
	s_and_b32 vcc_lo, vcc_lo, exec_lo
	s_delay_alu instid0(SALU_CYCLE_1)
	s_or_b32 s14, s14, vcc_lo
	s_or_b32 exec_lo, exec_lo, s39
	s_and_saveexec_b32 s38, s14
	s_cbranch_execnz .LBB6_3618
	s_branch .LBB6_3619
.LBB6_3934:                             ;   in Loop: Header=BB6_3280 Depth=4
	s_mov_b32 s14, -1
	s_mov_b32 s40, exec_lo
                                        ; implicit-def: $sgpr38
	v_cmpx_eq_u16_e32 0x80, v38
; %bb.3935:                             ;   in Loop: Header=BB6_3280 Depth=4
	s_mov_b32 s38, 0x7f800001
	s_xor_b32 s14, exec_lo, -1
; %bb.3936:                             ;   in Loop: Header=BB6_3280 Depth=4
	s_or_b32 exec_lo, exec_lo, s40
	s_delay_alu instid0(SALU_CYCLE_1)
	s_and_b32 s14, s14, exec_lo
                                        ; implicit-def: $vgpr38
	s_or_saveexec_b32 s39, s39
	v_mov_b32_e32 v14, s38
	s_xor_b32 exec_lo, exec_lo, s39
	s_cbranch_execz .LBB6_3631
.LBB6_3937:                             ;   in Loop: Header=BB6_3280 Depth=4
	v_cmp_ne_u16_e32 vcc_lo, 0, v38
	v_mov_b32_e32 v14, 0
	s_and_not1_b32 s14, s14, exec_lo
	s_and_b32 vcc_lo, vcc_lo, exec_lo
	s_delay_alu instid0(SALU_CYCLE_1)
	s_or_b32 s14, s14, vcc_lo
	s_or_b32 exec_lo, exec_lo, s39
	s_and_saveexec_b32 s38, s14
	s_cbranch_execnz .LBB6_3632
	s_branch .LBB6_3633
.LBB6_3938:                             ;   in Loop: Header=BB6_3280 Depth=4
	s_mov_b32 s14, -1
	s_mov_b32 s40, exec_lo
                                        ; implicit-def: $sgpr38
	v_cmpx_eq_u16_e32 0x80, v39
; %bb.3939:                             ;   in Loop: Header=BB6_3280 Depth=4
	s_mov_b32 s38, 0x7f800001
	s_xor_b32 s14, exec_lo, -1
; %bb.3940:                             ;   in Loop: Header=BB6_3280 Depth=4
	s_or_b32 exec_lo, exec_lo, s40
	s_delay_alu instid0(SALU_CYCLE_1)
	s_and_b32 s14, s14, exec_lo
                                        ; implicit-def: $vgpr39
	s_or_saveexec_b32 s39, s39
	v_mov_b32_e32 v38, s38
	s_xor_b32 exec_lo, exec_lo, s39
	s_cbranch_execz .LBB6_3635
.LBB6_3941:                             ;   in Loop: Header=BB6_3280 Depth=4
	v_cmp_ne_u16_e32 vcc_lo, 0, v39
	v_mov_b32_e32 v38, 0
	s_and_not1_b32 s14, s14, exec_lo
	s_and_b32 vcc_lo, vcc_lo, exec_lo
	s_delay_alu instid0(SALU_CYCLE_1)
	s_or_b32 s14, s14, vcc_lo
	s_or_b32 exec_lo, exec_lo, s39
	s_and_saveexec_b32 s38, s14
	s_cbranch_execnz .LBB6_3636
	s_branch .LBB6_3637
.LBB6_3942:                             ;   in Loop: Header=BB6_3280 Depth=4
	s_mov_b32 s14, -1
	s_mov_b32 s40, exec_lo
                                        ; implicit-def: $sgpr38
	v_cmpx_eq_u16_e32 0x80, v38
; %bb.3943:                             ;   in Loop: Header=BB6_3280 Depth=4
	s_mov_b32 s38, 0x7f800001
	s_xor_b32 s14, exec_lo, -1
; %bb.3944:                             ;   in Loop: Header=BB6_3280 Depth=4
	s_or_b32 exec_lo, exec_lo, s40
	s_delay_alu instid0(SALU_CYCLE_1)
	s_and_b32 s14, s14, exec_lo
                                        ; implicit-def: $vgpr38
	s_or_saveexec_b32 s39, s39
	v_mov_b32_e32 v14, s38
	s_xor_b32 exec_lo, exec_lo, s39
	s_cbranch_execz .LBB6_3642
.LBB6_3945:                             ;   in Loop: Header=BB6_3280 Depth=4
	v_cmp_ne_u16_e32 vcc_lo, 0, v38
	v_mov_b32_e32 v14, 0
	s_and_not1_b32 s14, s14, exec_lo
	s_and_b32 vcc_lo, vcc_lo, exec_lo
	s_delay_alu instid0(SALU_CYCLE_1)
	s_or_b32 s14, s14, vcc_lo
	s_or_b32 exec_lo, exec_lo, s39
	s_and_saveexec_b32 s38, s14
	s_cbranch_execnz .LBB6_3643
	s_branch .LBB6_3644
.LBB6_3946:                             ;   in Loop: Header=BB6_3280 Depth=4
	s_mov_b32 s14, -1
	s_mov_b32 s40, exec_lo
                                        ; implicit-def: $sgpr38
	v_cmpx_eq_u16_e32 0x80, v39
; %bb.3947:                             ;   in Loop: Header=BB6_3280 Depth=4
	s_mov_b32 s38, 0x7f800001
	s_xor_b32 s14, exec_lo, -1
; %bb.3948:                             ;   in Loop: Header=BB6_3280 Depth=4
	s_or_b32 exec_lo, exec_lo, s40
	s_delay_alu instid0(SALU_CYCLE_1)
	s_and_b32 s14, s14, exec_lo
                                        ; implicit-def: $vgpr39
	s_or_saveexec_b32 s39, s39
	v_mov_b32_e32 v38, s38
	s_xor_b32 exec_lo, exec_lo, s39
	s_cbranch_execz .LBB6_3646
.LBB6_3949:                             ;   in Loop: Header=BB6_3280 Depth=4
	v_cmp_ne_u16_e32 vcc_lo, 0, v39
	v_mov_b32_e32 v38, 0
	s_and_not1_b32 s14, s14, exec_lo
	s_and_b32 vcc_lo, vcc_lo, exec_lo
	s_delay_alu instid0(SALU_CYCLE_1)
	s_or_b32 s14, s14, vcc_lo
	s_or_b32 exec_lo, exec_lo, s39
	s_and_saveexec_b32 s38, s14
	s_cbranch_execnz .LBB6_3647
	s_branch .LBB6_3648
.LBB6_3950:                             ;   in Loop: Header=BB6_3280 Depth=4
	s_mov_b32 s14, -1
	s_mov_b32 s40, exec_lo
                                        ; implicit-def: $sgpr38
	v_cmpx_eq_u16_e32 0x80, v39
; %bb.3951:                             ;   in Loop: Header=BB6_3280 Depth=4
	s_mov_b32 s38, 0x7f800001
	s_xor_b32 s14, exec_lo, -1
; %bb.3952:                             ;   in Loop: Header=BB6_3280 Depth=4
	s_or_b32 exec_lo, exec_lo, s40
	s_delay_alu instid0(SALU_CYCLE_1)
	s_and_b32 s14, s14, exec_lo
	s_or_saveexec_b32 s39, s39
	v_mov_b32_e32 v48, s38
	s_xor_b32 exec_lo, exec_lo, s39
	s_cbranch_execz .LBB6_3660
.LBB6_3953:                             ;   in Loop: Header=BB6_3280 Depth=4
	v_cmp_ne_u16_e32 vcc_lo, 0, v39
	v_mov_b32_e32 v48, 0
	s_and_not1_b32 s14, s14, exec_lo
	s_and_b32 vcc_lo, vcc_lo, exec_lo
	s_delay_alu instid0(SALU_CYCLE_1)
	s_or_b32 s14, s14, vcc_lo
	s_or_b32 exec_lo, exec_lo, s39
	s_and_saveexec_b32 s38, s14
	s_cbranch_execnz .LBB6_3661
	s_branch .LBB6_3662
.LBB6_3954:                             ;   in Loop: Header=BB6_3280 Depth=4
	s_mov_b32 s14, -1
	s_mov_b32 s40, exec_lo
                                        ; implicit-def: $sgpr38
	v_cmpx_eq_u16_e32 0x80, v38
; %bb.3955:                             ;   in Loop: Header=BB6_3280 Depth=4
	s_mov_b32 s38, 0x7f800001
	s_xor_b32 s14, exec_lo, -1
; %bb.3956:                             ;   in Loop: Header=BB6_3280 Depth=4
	s_or_b32 exec_lo, exec_lo, s40
	s_delay_alu instid0(SALU_CYCLE_1)
	s_and_b32 s14, s14, exec_lo
	s_or_saveexec_b32 s39, s39
	v_mov_b32_e32 v49, s38
	s_xor_b32 exec_lo, exec_lo, s39
	s_cbranch_execz .LBB6_3664
.LBB6_3957:                             ;   in Loop: Header=BB6_3280 Depth=4
	v_cmp_ne_u16_e32 vcc_lo, 0, v38
	v_mov_b32_e32 v49, 0
	s_and_not1_b32 s14, s14, exec_lo
	s_and_b32 vcc_lo, vcc_lo, exec_lo
	s_delay_alu instid0(SALU_CYCLE_1)
	s_or_b32 s14, s14, vcc_lo
	s_or_b32 exec_lo, exec_lo, s39
	s_and_saveexec_b32 s38, s14
	s_cbranch_execnz .LBB6_3665
	s_branch .LBB6_3666
.LBB6_3958:                             ;   in Loop: Header=BB6_3280 Depth=4
	s_mov_b32 s14, -1
	s_mov_b32 s40, exec_lo
                                        ; implicit-def: $sgpr38
	v_cmpx_eq_u16_e32 0x80, v39
; %bb.3959:                             ;   in Loop: Header=BB6_3280 Depth=4
	s_mov_b32 s38, 0x7f800001
	s_xor_b32 s14, exec_lo, -1
; %bb.3960:                             ;   in Loop: Header=BB6_3280 Depth=4
	s_or_b32 exec_lo, exec_lo, s40
	s_delay_alu instid0(SALU_CYCLE_1)
	s_and_b32 s14, s14, exec_lo
	s_or_saveexec_b32 s39, s39
	v_mov_b32_e32 v48, s38
	s_xor_b32 exec_lo, exec_lo, s39
	s_cbranch_execz .LBB6_3671
.LBB6_3961:                             ;   in Loop: Header=BB6_3280 Depth=4
	v_cmp_ne_u16_e32 vcc_lo, 0, v39
	v_mov_b32_e32 v48, 0
	s_and_not1_b32 s14, s14, exec_lo
	s_and_b32 vcc_lo, vcc_lo, exec_lo
	s_delay_alu instid0(SALU_CYCLE_1)
	s_or_b32 s14, s14, vcc_lo
	s_or_b32 exec_lo, exec_lo, s39
	s_and_saveexec_b32 s38, s14
	s_cbranch_execnz .LBB6_3672
	s_branch .LBB6_3673
.LBB6_3962:                             ;   in Loop: Header=BB6_3280 Depth=4
	s_mov_b32 s14, -1
	s_mov_b32 s40, exec_lo
                                        ; implicit-def: $sgpr38
	v_cmpx_eq_u16_e32 0x80, v38
; %bb.3963:                             ;   in Loop: Header=BB6_3280 Depth=4
	s_mov_b32 s38, 0x7f800001
	s_xor_b32 s14, exec_lo, -1
; %bb.3964:                             ;   in Loop: Header=BB6_3280 Depth=4
	s_or_b32 exec_lo, exec_lo, s40
	s_delay_alu instid0(SALU_CYCLE_1)
	s_and_b32 s14, s14, exec_lo
	s_or_saveexec_b32 s39, s39
	v_mov_b32_e32 v39, s38
	s_xor_b32 exec_lo, exec_lo, s39
	s_cbranch_execz .LBB6_3675
.LBB6_3965:                             ;   in Loop: Header=BB6_3280 Depth=4
	v_cmp_ne_u16_e32 vcc_lo, 0, v38
	v_mov_b32_e32 v39, 0
	s_and_not1_b32 s14, s14, exec_lo
	s_and_b32 vcc_lo, vcc_lo, exec_lo
	s_delay_alu instid0(SALU_CYCLE_1)
	s_or_b32 s14, s14, vcc_lo
	s_or_b32 exec_lo, exec_lo, s39
	s_and_saveexec_b32 s38, s14
	s_cbranch_execnz .LBB6_3676
	s_branch .LBB6_3677
.LBB6_3966:                             ;   in Loop: Header=BB6_3280 Depth=4
	s_mov_b32 s14, -1
	s_mov_b32 s40, exec_lo
                                        ; implicit-def: $sgpr38
	v_cmpx_eq_u16_e32 0x80, v50
; %bb.3967:                             ;   in Loop: Header=BB6_3280 Depth=4
	s_mov_b32 s38, 0x7f800001
	s_xor_b32 s14, exec_lo, -1
; %bb.3968:                             ;   in Loop: Header=BB6_3280 Depth=4
	s_or_b32 exec_lo, exec_lo, s40
	s_delay_alu instid0(SALU_CYCLE_1)
	s_and_b32 s14, s14, exec_lo
                                        ; implicit-def: $vgpr50
	s_or_saveexec_b32 s39, s39
	v_mov_b32_e32 v49, s38
	s_xor_b32 exec_lo, exec_lo, s39
	s_cbranch_execz .LBB6_3689
.LBB6_3969:                             ;   in Loop: Header=BB6_3280 Depth=4
	v_cmp_ne_u16_e32 vcc_lo, 0, v50
	v_mov_b32_e32 v49, 0
	s_and_not1_b32 s14, s14, exec_lo
	s_and_b32 vcc_lo, vcc_lo, exec_lo
	s_delay_alu instid0(SALU_CYCLE_1)
	s_or_b32 s14, s14, vcc_lo
	s_or_b32 exec_lo, exec_lo, s39
	s_and_saveexec_b32 s38, s14
	s_cbranch_execnz .LBB6_3690
	s_branch .LBB6_3691
.LBB6_3970:                             ;   in Loop: Header=BB6_3280 Depth=4
	s_mov_b32 s14, -1
	s_mov_b32 s40, exec_lo
                                        ; implicit-def: $sgpr38
	v_cmpx_eq_u16_e32 0x80, v51
; %bb.3971:                             ;   in Loop: Header=BB6_3280 Depth=4
	s_mov_b32 s38, 0x7f800001
	s_xor_b32 s14, exec_lo, -1
; %bb.3972:                             ;   in Loop: Header=BB6_3280 Depth=4
	s_or_b32 exec_lo, exec_lo, s40
	s_delay_alu instid0(SALU_CYCLE_1)
	s_and_b32 s14, s14, exec_lo
                                        ; implicit-def: $vgpr51
	s_or_saveexec_b32 s39, s39
	v_mov_b32_e32 v50, s38
	s_xor_b32 exec_lo, exec_lo, s39
	s_cbranch_execz .LBB6_3693
.LBB6_3973:                             ;   in Loop: Header=BB6_3280 Depth=4
	v_cmp_ne_u16_e32 vcc_lo, 0, v51
	v_mov_b32_e32 v50, 0
	s_and_not1_b32 s14, s14, exec_lo
	s_and_b32 vcc_lo, vcc_lo, exec_lo
	s_delay_alu instid0(SALU_CYCLE_1)
	s_or_b32 s14, s14, vcc_lo
	s_or_b32 exec_lo, exec_lo, s39
	s_and_saveexec_b32 s38, s14
	s_cbranch_execnz .LBB6_3694
	s_branch .LBB6_3695
.LBB6_3974:                             ;   in Loop: Header=BB6_3280 Depth=4
	s_mov_b32 s14, -1
	s_mov_b32 s40, exec_lo
                                        ; implicit-def: $sgpr38
	v_cmpx_eq_u16_e32 0x80, v50
; %bb.3975:                             ;   in Loop: Header=BB6_3280 Depth=4
	s_mov_b32 s38, 0x7f800001
	s_xor_b32 s14, exec_lo, -1
; %bb.3976:                             ;   in Loop: Header=BB6_3280 Depth=4
	s_or_b32 exec_lo, exec_lo, s40
	s_delay_alu instid0(SALU_CYCLE_1)
	s_and_b32 s14, s14, exec_lo
                                        ; implicit-def: $vgpr50
	s_or_saveexec_b32 s39, s39
	v_mov_b32_e32 v49, s38
	s_xor_b32 exec_lo, exec_lo, s39
	s_cbranch_execz .LBB6_3700
.LBB6_3977:                             ;   in Loop: Header=BB6_3280 Depth=4
	v_cmp_ne_u16_e32 vcc_lo, 0, v50
	v_mov_b32_e32 v49, 0
	s_and_not1_b32 s14, s14, exec_lo
	s_and_b32 vcc_lo, vcc_lo, exec_lo
	s_delay_alu instid0(SALU_CYCLE_1)
	s_or_b32 s14, s14, vcc_lo
	s_or_b32 exec_lo, exec_lo, s39
	s_and_saveexec_b32 s38, s14
	s_cbranch_execnz .LBB6_3701
	s_branch .LBB6_3702
.LBB6_3978:                             ;   in Loop: Header=BB6_3280 Depth=4
	s_mov_b32 s14, -1
	s_mov_b32 s40, exec_lo
                                        ; implicit-def: $sgpr38
	v_cmpx_eq_u16_e32 0x80, v50
; %bb.3979:                             ;   in Loop: Header=BB6_3280 Depth=4
	s_mov_b32 s38, 0x7f800001
	s_xor_b32 s14, exec_lo, -1
; %bb.3980:                             ;   in Loop: Header=BB6_3280 Depth=4
	s_or_b32 exec_lo, exec_lo, s40
	s_delay_alu instid0(SALU_CYCLE_1)
	s_and_b32 s14, s14, exec_lo
                                        ; implicit-def: $vgpr50
	s_or_saveexec_b32 s39, s39
	v_mov_b32_e32 v48, s38
	s_xor_b32 exec_lo, exec_lo, s39
	s_cbranch_execz .LBB6_3704
.LBB6_3981:                             ;   in Loop: Header=BB6_3280 Depth=4
	v_cmp_ne_u16_e32 vcc_lo, 0, v50
	v_mov_b32_e32 v48, 0
	s_and_not1_b32 s14, s14, exec_lo
	s_and_b32 vcc_lo, vcc_lo, exec_lo
	s_delay_alu instid0(SALU_CYCLE_1)
	s_or_b32 s14, s14, vcc_lo
	s_or_b32 exec_lo, exec_lo, s39
	s_and_saveexec_b32 s38, s14
	s_cbranch_execnz .LBB6_3705
	s_branch .LBB6_3706
.LBB6_3982:                             ;   in Loop: Header=BB6_3280 Depth=4
	s_mov_b32 s14, -1
	s_mov_b32 s40, exec_lo
                                        ; implicit-def: $sgpr38
	v_cmpx_eq_u16_e32 0x80, v49
; %bb.3983:                             ;   in Loop: Header=BB6_3280 Depth=4
	s_mov_b32 s38, 0x7f800001
	s_xor_b32 s14, exec_lo, -1
; %bb.3984:                             ;   in Loop: Header=BB6_3280 Depth=4
	s_or_b32 exec_lo, exec_lo, s40
	s_delay_alu instid0(SALU_CYCLE_1)
	s_and_b32 s14, s14, exec_lo
	s_or_saveexec_b32 s39, s39
	v_mov_b32_e32 v50, s38
	s_xor_b32 exec_lo, exec_lo, s39
	s_cbranch_execz .LBB6_3718
.LBB6_3985:                             ;   in Loop: Header=BB6_3280 Depth=4
	v_cmp_ne_u16_e32 vcc_lo, 0, v49
	v_mov_b32_e32 v50, 0
	s_and_not1_b32 s14, s14, exec_lo
	s_and_b32 vcc_lo, vcc_lo, exec_lo
	s_delay_alu instid0(SALU_CYCLE_1)
	s_or_b32 s14, s14, vcc_lo
	s_or_b32 exec_lo, exec_lo, s39
	s_and_saveexec_b32 s38, s14
	s_cbranch_execnz .LBB6_3719
	s_branch .LBB6_3720
.LBB6_3986:                             ;   in Loop: Header=BB6_3280 Depth=4
	s_mov_b32 s14, -1
	s_mov_b32 s40, exec_lo
                                        ; implicit-def: $sgpr38
	v_cmpx_eq_u16_e32 0x80, v48
; %bb.3987:                             ;   in Loop: Header=BB6_3280 Depth=4
	s_mov_b32 s38, 0x7f800001
	s_xor_b32 s14, exec_lo, -1
; %bb.3988:                             ;   in Loop: Header=BB6_3280 Depth=4
	s_or_b32 exec_lo, exec_lo, s40
	s_delay_alu instid0(SALU_CYCLE_1)
	s_and_b32 s14, s14, exec_lo
	s_or_saveexec_b32 s39, s39
	v_mov_b32_e32 v51, s38
	s_xor_b32 exec_lo, exec_lo, s39
	s_cbranch_execz .LBB6_3722
.LBB6_3989:                             ;   in Loop: Header=BB6_3280 Depth=4
	v_cmp_ne_u16_e32 vcc_lo, 0, v48
	v_mov_b32_e32 v51, 0
	s_and_not1_b32 s14, s14, exec_lo
	s_and_b32 vcc_lo, vcc_lo, exec_lo
	s_delay_alu instid0(SALU_CYCLE_1)
	s_or_b32 s14, s14, vcc_lo
	s_or_b32 exec_lo, exec_lo, s39
	s_and_saveexec_b32 s38, s14
	s_cbranch_execnz .LBB6_3723
	s_branch .LBB6_3724
.LBB6_3990:                             ;   in Loop: Header=BB6_3280 Depth=4
	s_mov_b32 s14, -1
	s_mov_b32 s40, exec_lo
                                        ; implicit-def: $sgpr38
	v_cmpx_eq_u16_e32 0x80, v49
; %bb.3991:                             ;   in Loop: Header=BB6_3280 Depth=4
	s_mov_b32 s38, 0x7f800001
	s_xor_b32 s14, exec_lo, -1
; %bb.3992:                             ;   in Loop: Header=BB6_3280 Depth=4
	s_or_b32 exec_lo, exec_lo, s40
	s_delay_alu instid0(SALU_CYCLE_1)
	s_and_b32 s14, s14, exec_lo
	s_or_saveexec_b32 s39, s39
	v_mov_b32_e32 v50, s38
	s_xor_b32 exec_lo, exec_lo, s39
	s_cbranch_execz .LBB6_3729
.LBB6_3993:                             ;   in Loop: Header=BB6_3280 Depth=4
	v_cmp_ne_u16_e32 vcc_lo, 0, v49
	v_mov_b32_e32 v50, 0
	s_and_not1_b32 s14, s14, exec_lo
	s_and_b32 vcc_lo, vcc_lo, exec_lo
	s_delay_alu instid0(SALU_CYCLE_1)
	s_or_b32 s14, s14, vcc_lo
	s_or_b32 exec_lo, exec_lo, s39
	s_and_saveexec_b32 s38, s14
	s_cbranch_execnz .LBB6_3730
	s_branch .LBB6_3731
.LBB6_3994:                             ;   in Loop: Header=BB6_3280 Depth=4
	s_mov_b32 s14, -1
	s_mov_b32 s40, exec_lo
                                        ; implicit-def: $sgpr38
	v_cmpx_eq_u16_e32 0x80, v48
; %bb.3995:                             ;   in Loop: Header=BB6_3280 Depth=4
	s_mov_b32 s38, 0x7f800001
	s_xor_b32 s14, exec_lo, -1
; %bb.3996:                             ;   in Loop: Header=BB6_3280 Depth=4
	s_or_b32 exec_lo, exec_lo, s40
	s_delay_alu instid0(SALU_CYCLE_1)
	s_and_b32 s14, s14, exec_lo
	s_or_saveexec_b32 s39, s39
	v_mov_b32_e32 v15, s38
	s_xor_b32 exec_lo, exec_lo, s39
	s_cbranch_execz .LBB6_3733
.LBB6_3997:                             ;   in Loop: Header=BB6_3280 Depth=4
	v_cmp_ne_u16_e32 vcc_lo, 0, v48
	v_mov_b32_e32 v15, 0
	s_and_not1_b32 s14, s14, exec_lo
	s_and_b32 vcc_lo, vcc_lo, exec_lo
	s_delay_alu instid0(SALU_CYCLE_1)
	s_or_b32 s14, s14, vcc_lo
	s_or_b32 exec_lo, exec_lo, s39
	s_and_saveexec_b32 s38, s14
	s_cbranch_execnz .LBB6_3734
	s_branch .LBB6_3735
.LBB6_3998:                             ;   in Loop: Header=BB6_305 Depth=3
	s_or_b32 exec_lo, exec_lo, s36
.LBB6_3999:                             ;   in Loop: Header=BB6_305 Depth=3
	s_delay_alu instid0(SALU_CYCLE_1) | instskip(SKIP_3) | instid1(VALU_DEP_1)
	s_or_b32 exec_lo, exec_lo, s35
	v_dual_mov_b32 v14, 0 :: v_dual_and_b32 v9, 15, v101
	s_mov_b32 s14, 0
	s_mov_b32 s35, exec_lo
                                        ; implicit-def: $vgpr16
                                        ; implicit-def: $vgpr8
	v_cndmask_b32_e64 v15, v24, v9, s13
	s_delay_alu instid0(VALU_DEP_1)
	v_cmpx_ne_u32_e32 0, v15
	s_cbranch_execz .LBB6_4001
; %bb.4000:                             ;   in Loop: Header=BB6_305 Depth=3
	v_cmp_lt_i32_e32 vcc_lo, 0, v25
	v_sub_nc_u32_e32 v9, v24, v9
	s_mov_b32 s14, exec_lo
	v_cndmask_b32_e32 v8, 0, v129, vcc_lo
	s_delay_alu instid0(VALU_DEP_2) | instskip(NEXT) | instid1(VALU_DEP_2)
	v_cndmask_b32_e64 v9, 0, v9, s13
	v_sub_nc_u32_e32 v8, v8, v25
	s_delay_alu instid0(VALU_DEP_2) | instskip(NEXT) | instid1(VALU_DEP_2)
	v_add3_u32 v14, v2, v22, v9
	v_lshl_add_u32 v16, v8, 5, v23
	s_delay_alu instid0(VALU_DEP_1) | instskip(NEXT) | instid1(VALU_DEP_1)
	v_ashrrev_i32_e32 v8, 31, v16
	v_lshrrev_b32_e32 v8, 27, v8
	s_delay_alu instid0(VALU_DEP_1) | instskip(NEXT) | instid1(VALU_DEP_1)
	v_add_nc_u32_e32 v8, v16, v8
	v_ashrrev_i32_e32 v8, 5, v8
.LBB6_4001:                             ;   in Loop: Header=BB6_305 Depth=3
	s_or_b32 exec_lo, exec_lo, s35
	s_delay_alu instid0(SALU_CYCLE_1)
	s_and_b32 s13, s14, exec_lo
.LBB6_4002:                             ;   in Loop: Header=BB6_305 Depth=3
	s_or_b32 exec_lo, exec_lo, s34
.LBB6_4003:                             ;   in Loop: Header=BB6_305 Depth=3
	s_and_saveexec_b32 s14, s13
	s_cbranch_execz .LBB6_5500
; %bb.4004:                             ;   in Loop: Header=BB6_305 Depth=3
	s_delay_alu instid0(VALU_DEP_1) | instskip(SKIP_1) | instid1(VALU_DEP_1)
	v_ashrrev_i32_e32 v2, 31, v15
	s_mov_b32 s34, exec_lo
	v_lshrrev_b32_e32 v2, 22, v2
	s_delay_alu instid0(VALU_DEP_1) | instskip(NEXT) | instid1(VALU_DEP_1)
	v_add_nc_u32_e32 v2, v15, v2
	v_ashrrev_i32_e32 v17, 10, v2
	s_delay_alu instid0(VALU_DEP_1) | instskip(NEXT) | instid1(VALU_DEP_1)
	v_sub_nc_u32_e32 v2, v17, v8
	v_cmpx_lt_i32_e32 0, v2
	s_cbranch_execz .LBB6_5449
; %bb.4005:                             ;   in Loop: Header=BB6_305 Depth=3
	s_cbranch_execz .LBB6_4006
; %bb.17350:
	s_getpc_b64 s[48:49]
.Lpost_getpc346:
	s_add_u32 s48, s48, (.LBB6_16954-.Lpost_getpc346)&4294967295
	s_addc_u32 s49, s49, (.LBB6_16954-.Lpost_getpc346)>>32
	s_setpc_b64 s[48:49]
.LBB6_4006:                             ;   in Loop: Header=BB6_305 Depth=3
	v_ashrrev_i32_e32 v9, 31, v16
	ds_load_b64 v[18:19], v0
	v_lshlrev_b32_e32 v8, 10, v8
	s_bitcmp1_b32 s31, 0
	s_mov_b32 s36, 0
	v_lshrrev_b32_e32 v9, 27, v9
	s_cselect_b32 s35, -1, 0
	s_delay_alu instid0(VALU_DEP_1) | instskip(NEXT) | instid1(VALU_DEP_1)
	v_add_nc_u32_e32 v9, v16, v9
	v_and_b32_e32 v13, 0xffffffe0, v9
	ds_load_b128 v[9:12], v0
	v_sub_nc_u32_e32 v13, v16, v13
	s_waitcnt lgkmcnt(1)
	v_add_co_u32 v18, vcc_lo, 0x3e0, v18
	v_add_co_ci_u32_e32 v19, vcc_lo, 0, v19, vcc_lo
	s_delay_alu instid0(VALU_DEP_3) | instskip(NEXT) | instid1(VALU_DEP_1)
	v_add3_u32 v13, v14, v13, v8
	v_ashrrev_i32_e32 v20, 31, v13
	s_waitcnt lgkmcnt(0)
	v_add_co_u32 v8, vcc_lo, v9, v13
	s_delay_alu instid0(VALU_DEP_2)
	v_add_co_ci_u32_e32 v9, vcc_lo, v10, v20, vcc_lo
	v_add_co_u32 v10, vcc_lo, v11, v13
	v_add_co_ci_u32_e32 v11, vcc_lo, v12, v20, vcc_lo
	v_add_co_u32 v12, vcc_lo, v18, v13
	v_add_co_ci_u32_e32 v13, vcc_lo, v19, v20, vcc_lo
	s_branch .LBB6_4010
.LBB6_4007:                             ;   in Loop: Header=BB6_4010 Depth=4
	s_or_b32 exec_lo, exec_lo, s13
	s_delay_alu instid0(VALU_DEP_1) | instskip(NEXT) | instid1(VALU_DEP_2)
	v_lshrrev_b32_e32 v19, 20, v19
	v_cmp_gt_i32_e32 vcc_lo, 16, v18
	v_lshrrev_b32_e32 v22, 24, v22
	v_min_i32_e32 v25, 15, v18
	s_delay_alu instid0(VALU_DEP_2) | instskip(NEXT) | instid1(VALU_DEP_1)
	v_dual_cndmask_b32 v19, 7, v19 :: v_dual_and_b32 v22, 0x80, v22
	v_or_b32_e32 v18, v18, v19
	v_and_b32_e32 v32, 7, v19
	s_delay_alu instid0(VALU_DEP_2) | instskip(SKIP_1) | instid1(VALU_DEP_1)
	v_cmp_ne_u32_e32 vcc_lo, 0, v18
	v_lshlrev_b32_e32 v25, 3, v25
	v_or3_b32 v19, v25, v22, v32
	s_delay_alu instid0(VALU_DEP_1)
	v_cndmask_b32_e32 v18, 0, v19, vcc_lo
.LBB6_4008:                             ;   in Loop: Header=BB6_4010 Depth=4
	s_or_b32 exec_lo, exec_lo, s38
.LBB6_4009:                             ;   in Loop: Header=BB6_4010 Depth=4
	s_delay_alu instid0(SALU_CYCLE_1)
	s_or_b32 exec_lo, exec_lo, s37
	v_add_co_u32 v73, vcc_lo, 0xfffffc20, v12
	v_add_co_ci_u32_e32 v74, vcc_lo, -1, v13, vcc_lo
	v_add_co_u32 v19, vcc_lo, 0xfffffc40, v12
	v_sub_nc_u32_e32 v2, v2, v129
	flat_store_b8 v[73:74], v20 glc slc dlc
	v_add_co_ci_u32_e32 v20, vcc_lo, -1, v13, vcc_lo
	v_add_co_u32 v73, vcc_lo, 0xfffffc60, v12
	v_add_co_ci_u32_e32 v74, vcc_lo, -1, v13, vcc_lo
	v_add_co_u32 v75, vcc_lo, 0xfffffc80, v12
	v_add_co_ci_u32_e32 v76, vcc_lo, -1, v13, vcc_lo
	v_add_co_u32 v77, vcc_lo, 0xfffffca0, v12
	v_add_co_ci_u32_e32 v78, vcc_lo, -1, v13, vcc_lo
	v_add_co_u32 v88, vcc_lo, 0xfffffcc0, v12
	v_add_co_ci_u32_e32 v89, vcc_lo, -1, v13, vcc_lo
	flat_store_b8 v[19:20], v23 glc slc dlc
	flat_store_b8 v[73:74], v26 glc slc dlc
	flat_store_b8 v[75:76], v33 glc slc dlc
	flat_store_b8 v[77:78], v36 glc slc dlc
	flat_store_b8 v[88:89], v39 glc slc dlc
	v_add_co_u32 v19, vcc_lo, 0xfffffce0, v12
	v_add_co_ci_u32_e32 v20, vcc_lo, -1, v13, vcc_lo
	v_add_co_u32 v22, vcc_lo, 0xfffffd00, v12
	v_add_co_ci_u32_e32 v23, vcc_lo, -1, v13, vcc_lo
	v_add_co_u32 v25, vcc_lo, 0xfffffd20, v12
	v_add_co_ci_u32_e32 v26, vcc_lo, -1, v13, vcc_lo
	v_add_co_u32 v32, vcc_lo, 0xfffffd40, v12
	v_add_co_ci_u32_e32 v33, vcc_lo, -1, v13, vcc_lo
	v_add_co_u32 v35, vcc_lo, 0xfffffd60, v12
	v_add_co_ci_u32_e32 v36, vcc_lo, -1, v13, vcc_lo
	flat_store_b8 v[19:20], v50 glc slc dlc
	flat_store_b8 v[22:23], v113 glc slc dlc
	flat_store_b8 v[25:26], v116 glc slc dlc
	flat_store_b8 v[32:33], v182 glc slc dlc
	flat_store_b8 v[35:36], v41 glc slc dlc
	v_add_co_u32 v19, vcc_lo, 0xfffffd80, v12
	;; [unrolled: 15-line block ×5, first 2 shown]
	v_add_co_ci_u32_e32 v20, vcc_lo, -1, v13, vcc_lo
	v_add_co_u32 v22, vcc_lo, 0xffffff80, v12
	v_add_co_ci_u32_e32 v23, vcc_lo, -1, v13, vcc_lo
	v_add_co_u32 v25, vcc_lo, 0xffffffa0, v12
	;; [unrolled: 2-line block ×5, first 2 shown]
	v_add_co_ci_u32_e32 v9, vcc_lo, v9, v160, vcc_lo
	v_add_co_u32 v10, vcc_lo, v10, v151
	v_add_co_ci_u32_e32 v11, vcc_lo, v11, v160, vcc_lo
	flat_store_b8 v[19:20], v37 glc slc dlc
	flat_store_b8 v[22:23], v34 glc slc dlc
	;; [unrolled: 1-line block ×6, first 2 shown]
	v_cmp_gt_i32_e32 vcc_lo, 1, v2
	v_add_co_u32 v12, s13, v12, v151
	s_delay_alu instid0(VALU_DEP_1) | instskip(SKIP_1) | instid1(SALU_CYCLE_1)
	v_add_co_ci_u32_e64 v13, s13, v13, v160, s13
	s_or_b32 s36, vcc_lo, s36
	s_and_not1_b32 exec_lo, exec_lo, s36
	s_cbranch_execz .LBB6_5448
.LBB6_4010:                             ;   Parent Loop BB6_51 Depth=1
                                        ;     Parent Loop BB6_303 Depth=2
                                        ;       Parent Loop BB6_305 Depth=3
                                        ; =>      This Inner Loop Header: Depth=4
	s_clause 0x1f
	flat_load_u8 v104, v[8:9] slc dlc
	flat_load_u8 v95, v[8:9] offset:32 slc dlc
	flat_load_u8 v94, v[8:9] offset:64 slc dlc
	;; [unrolled: 1-line block ×31, first 2 shown]
	s_clause 0x1f
	flat_load_u8 v20, v[10:11] slc dlc
	flat_load_u8 v23, v[10:11] offset:32 slc dlc
	flat_load_u8 v26, v[10:11] offset:64 slc dlc
	;; [unrolled: 1-line block ×31, first 2 shown]
	s_and_b32 vcc_lo, exec_lo, s35
	s_cbranch_vccz .LBB6_4020
; %bb.4011:                             ;   in Loop: Header=BB6_4010 Depth=4
	s_waitcnt vmcnt(62) lgkmcnt(62)
	v_and_b32_e32 v106, 0xff, v104
	s_mov_b32 s13, 0
	s_mov_b32 s38, exec_lo
                                        ; implicit-def: $sgpr37
	s_delay_alu instid0(VALU_DEP_1)
	v_cmpx_lt_i16_e32 0x7f, v106
	s_xor_b32 s38, exec_lo, s38
	s_cbranch_execnz .LBB6_4936
; %bb.4012:                             ;   in Loop: Header=BB6_4010 Depth=4
	s_or_saveexec_b32 s38, s38
	v_mov_b32_e32 v105, s37
	s_xor_b32 exec_lo, exec_lo, s38
	s_cbranch_execnz .LBB6_4939
.LBB6_4013:                             ;   in Loop: Header=BB6_4010 Depth=4
	s_or_b32 exec_lo, exec_lo, s38
	s_and_saveexec_b32 s37, s13
	s_cbranch_execz .LBB6_4015
.LBB6_4014:                             ;   in Loop: Header=BB6_4010 Depth=4
	v_lshrrev_b16 v108, 3, v104
	v_lshlrev_b32_e32 v109, 24, v104
	s_delay_alu instid0(VALU_DEP_2) | instskip(NEXT) | instid1(VALU_DEP_1)
	v_and_b32_e32 v108, 15, v108
	v_cmp_eq_u32_e32 vcc_lo, 0, v108
	v_and_b32_e32 v105, 7, v104
	s_delay_alu instid0(VALU_DEP_1) | instskip(NEXT) | instid1(VALU_DEP_1)
	v_clz_i32_u32_e32 v106, v105
	v_min_u32_e32 v106, 32, v106
	s_delay_alu instid0(VALU_DEP_1) | instskip(SKIP_1) | instid1(VALU_DEP_1)
	v_subrev_nc_u32_e32 v107, 28, v106
	v_sub_nc_u32_e32 v106, 29, v106
	v_dual_cndmask_b32 v106, v108, v106 :: v_dual_lshlrev_b32 v107, v107, v104
	s_delay_alu instid0(VALU_DEP_1) | instskip(NEXT) | instid1(VALU_DEP_2)
	v_and_b32_e32 v107, 7, v107
	v_lshl_add_u32 v106, v106, 23, 0x3b800000
	s_delay_alu instid0(VALU_DEP_2) | instskip(SKIP_1) | instid1(VALU_DEP_2)
	v_cndmask_b32_e32 v105, v105, v107, vcc_lo
	v_and_b32_e32 v107, 0x80000000, v109
	v_lshlrev_b32_e32 v105, 20, v105
	s_delay_alu instid0(VALU_DEP_1)
	v_or3_b32 v105, v107, v106, v105
.LBB6_4015:                             ;   in Loop: Header=BB6_4010 Depth=4
	s_or_b32 exec_lo, exec_lo, s37
	s_waitcnt vmcnt(31) lgkmcnt(31)
	v_and_b32_e32 v107, 0xff, v20
	s_mov_b32 s13, 0
	s_mov_b32 s38, exec_lo
                                        ; implicit-def: $sgpr37
	s_delay_alu instid0(VALU_DEP_1)
	v_cmpx_lt_i16_e32 0x7f, v107
	s_xor_b32 s38, exec_lo, s38
	s_cbranch_execnz .LBB6_4940
; %bb.4016:                             ;   in Loop: Header=BB6_4010 Depth=4
	s_or_saveexec_b32 s38, s38
	v_mov_b32_e32 v106, s37
	s_xor_b32 exec_lo, exec_lo, s38
	s_cbranch_execnz .LBB6_4943
.LBB6_4017:                             ;   in Loop: Header=BB6_4010 Depth=4
	s_or_b32 exec_lo, exec_lo, s38
	s_and_saveexec_b32 s37, s13
	s_cbranch_execz .LBB6_4019
.LBB6_4018:                             ;   in Loop: Header=BB6_4010 Depth=4
	v_lshrrev_b16 v109, 3, v20
	v_lshlrev_b32_e32 v110, 24, v20
	s_delay_alu instid0(VALU_DEP_2) | instskip(NEXT) | instid1(VALU_DEP_1)
	v_and_b32_e32 v109, 15, v109
	v_cmp_eq_u32_e32 vcc_lo, 0, v109
	v_and_b32_e32 v106, 7, v20
	s_delay_alu instid0(VALU_DEP_1) | instskip(NEXT) | instid1(VALU_DEP_1)
	v_clz_i32_u32_e32 v107, v106
	v_min_u32_e32 v107, 32, v107
	s_delay_alu instid0(VALU_DEP_1) | instskip(SKIP_1) | instid1(VALU_DEP_1)
	v_subrev_nc_u32_e32 v108, 28, v107
	v_sub_nc_u32_e32 v107, 29, v107
	v_dual_cndmask_b32 v107, v109, v107 :: v_dual_lshlrev_b32 v108, v108, v20
	s_delay_alu instid0(VALU_DEP_1) | instskip(NEXT) | instid1(VALU_DEP_2)
	v_and_b32_e32 v108, 7, v108
	v_lshl_add_u32 v107, v107, 23, 0x3b800000
	s_delay_alu instid0(VALU_DEP_2) | instskip(SKIP_1) | instid1(VALU_DEP_2)
	v_cndmask_b32_e32 v106, v106, v108, vcc_lo
	v_and_b32_e32 v108, 0x80000000, v110
	v_lshlrev_b32_e32 v106, 20, v106
	s_delay_alu instid0(VALU_DEP_1)
	v_or3_b32 v106, v108, v107, v106
.LBB6_4019:                             ;   in Loop: Header=BB6_4010 Depth=4
	s_or_b32 exec_lo, exec_lo, s37
	s_delay_alu instid0(VALU_DEP_1) | instskip(SKIP_1) | instid1(VALU_DEP_1)
	v_dual_max_f32 v106, v106, v106 :: v_dual_max_f32 v105, v105, v105
	s_mov_b32 s13, 0
	v_max_f32_e32 v105, v105, v106
	s_branch .LBB6_4021
.LBB6_4020:                             ;   in Loop: Header=BB6_4010 Depth=4
	s_mov_b32 s13, -1
                                        ; implicit-def: $vgpr105
.LBB6_4021:                             ;   in Loop: Header=BB6_4010 Depth=4
	s_delay_alu instid0(SALU_CYCLE_1)
	s_and_b32 vcc_lo, exec_lo, s13
	s_cbranch_vccz .LBB6_4031
; %bb.4022:                             ;   in Loop: Header=BB6_4010 Depth=4
	s_waitcnt vmcnt(62) lgkmcnt(62)
	v_and_b32_e32 v106, 0xff, v104
	s_mov_b32 s13, 0
	s_mov_b32 s38, exec_lo
                                        ; implicit-def: $sgpr37
	s_delay_alu instid0(VALU_DEP_1)
	v_cmpx_lt_i16_e32 0x7f, v106
	s_xor_b32 s38, exec_lo, s38
	s_cbranch_execnz .LBB6_4944
; %bb.4023:                             ;   in Loop: Header=BB6_4010 Depth=4
	s_or_saveexec_b32 s38, s38
	v_mov_b32_e32 v105, s37
	s_xor_b32 exec_lo, exec_lo, s38
	s_cbranch_execnz .LBB6_4947
.LBB6_4024:                             ;   in Loop: Header=BB6_4010 Depth=4
	s_or_b32 exec_lo, exec_lo, s38
	s_and_saveexec_b32 s37, s13
	s_cbranch_execz .LBB6_4026
.LBB6_4025:                             ;   in Loop: Header=BB6_4010 Depth=4
	v_lshrrev_b16 v108, 3, v104
	s_delay_alu instid0(VALU_DEP_1) | instskip(NEXT) | instid1(VALU_DEP_1)
	v_and_b32_e32 v108, 15, v108
	v_cmp_eq_u32_e32 vcc_lo, 0, v108
	v_and_b32_e32 v105, 7, v104
	s_delay_alu instid0(VALU_DEP_1) | instskip(NEXT) | instid1(VALU_DEP_1)
	v_clz_i32_u32_e32 v106, v105
	v_min_u32_e32 v106, 32, v106
	s_delay_alu instid0(VALU_DEP_1) | instskip(SKIP_1) | instid1(VALU_DEP_1)
	v_subrev_nc_u32_e32 v107, 28, v106
	v_sub_nc_u32_e32 v106, 29, v106
	v_dual_cndmask_b32 v106, v108, v106 :: v_dual_lshlrev_b32 v107, v107, v104
	v_lshlrev_b32_e32 v104, 24, v104
	s_delay_alu instid0(VALU_DEP_2) | instskip(NEXT) | instid1(VALU_DEP_3)
	v_and_b32_e32 v107, 7, v107
	v_lshl_add_u32 v106, v106, 23, 0x3b800000
	s_delay_alu instid0(VALU_DEP_2) | instskip(NEXT) | instid1(VALU_DEP_1)
	v_dual_cndmask_b32 v105, v105, v107 :: v_dual_and_b32 v104, 0x80000000, v104
	v_lshlrev_b32_e32 v105, 20, v105
	s_delay_alu instid0(VALU_DEP_1)
	v_or3_b32 v105, v104, v106, v105
.LBB6_4026:                             ;   in Loop: Header=BB6_4010 Depth=4
	s_or_b32 exec_lo, exec_lo, s37
	s_waitcnt vmcnt(31) lgkmcnt(31)
	v_and_b32_e32 v106, 0xff, v20
	s_mov_b32 s13, 0
	s_mov_b32 s38, exec_lo
                                        ; implicit-def: $sgpr37
	s_delay_alu instid0(VALU_DEP_1)
	v_cmpx_lt_i16_e32 0x7f, v106
	s_xor_b32 s38, exec_lo, s38
	s_cbranch_execnz .LBB6_4948
; %bb.4027:                             ;   in Loop: Header=BB6_4010 Depth=4
	s_or_saveexec_b32 s38, s38
	v_mov_b32_e32 v104, s37
	s_xor_b32 exec_lo, exec_lo, s38
	s_cbranch_execnz .LBB6_4951
.LBB6_4028:                             ;   in Loop: Header=BB6_4010 Depth=4
	s_or_b32 exec_lo, exec_lo, s38
	s_and_saveexec_b32 s37, s13
	s_cbranch_execz .LBB6_4030
.LBB6_4029:                             ;   in Loop: Header=BB6_4010 Depth=4
	v_and_b32_e32 v104, 7, v20
	v_lshrrev_b16 v108, 3, v20
	s_delay_alu instid0(VALU_DEP_2) | instskip(NEXT) | instid1(VALU_DEP_2)
	v_clz_i32_u32_e32 v106, v104
	v_and_b32_e32 v108, 15, v108
	s_delay_alu instid0(VALU_DEP_2) | instskip(NEXT) | instid1(VALU_DEP_2)
	v_min_u32_e32 v106, 32, v106
	v_cmp_eq_u32_e32 vcc_lo, 0, v108
	s_delay_alu instid0(VALU_DEP_2) | instskip(SKIP_1) | instid1(VALU_DEP_1)
	v_subrev_nc_u32_e32 v107, 28, v106
	v_sub_nc_u32_e32 v106, 29, v106
	v_dual_cndmask_b32 v106, v108, v106 :: v_dual_lshlrev_b32 v107, v107, v20
	v_lshlrev_b32_e32 v20, 24, v20
	s_delay_alu instid0(VALU_DEP_2) | instskip(NEXT) | instid1(VALU_DEP_3)
	v_and_b32_e32 v107, 7, v107
	v_lshl_add_u32 v106, v106, 23, 0x3b800000
	s_delay_alu instid0(VALU_DEP_3) | instskip(NEXT) | instid1(VALU_DEP_3)
	v_and_b32_e32 v20, 0x80000000, v20
	v_cndmask_b32_e32 v104, v104, v107, vcc_lo
	s_delay_alu instid0(VALU_DEP_1) | instskip(NEXT) | instid1(VALU_DEP_1)
	v_lshlrev_b32_e32 v104, 20, v104
	v_or3_b32 v104, v20, v106, v104
.LBB6_4030:                             ;   in Loop: Header=BB6_4010 Depth=4
	s_or_b32 exec_lo, exec_lo, s37
	s_delay_alu instid0(VALU_DEP_1) | instskip(SKIP_1) | instid1(VALU_DEP_1)
	v_max_f32_e32 v20, v104, v104
	v_max_f32_e32 v104, v105, v105
	v_min_f32_e32 v105, v104, v20
.LBB6_4031:                             ;   in Loop: Header=BB6_4010 Depth=4
	s_waitcnt vmcnt(31) lgkmcnt(31)
	s_delay_alu instid0(VALU_DEP_1) | instskip(NEXT) | instid1(VALU_DEP_1)
	v_and_b32_e32 v20, 0x7f800000, v105
	v_cmp_ne_u32_e32 vcc_lo, 0x7f800000, v20
	v_mov_b32_e32 v20, 0x80
	s_and_saveexec_b32 s37, vcc_lo
	s_cbranch_execz .LBB6_4039
; %bb.4032:                             ;   in Loop: Header=BB6_4010 Depth=4
	v_mov_b32_e32 v20, 0
	s_mov_b32 s38, exec_lo
	v_cmpx_ne_u32_e32 0, v105
	s_cbranch_execz .LBB6_4038
; %bb.4033:                             ;   in Loop: Header=BB6_4010 Depth=4
	v_bfe_u32 v20, v105, 23, 8
	v_and_b32_e32 v104, 0x7fffff, v105
	s_delay_alu instid0(VALU_DEP_2) | instskip(SKIP_1) | instid1(VALU_DEP_3)
	v_sub_nc_u32_e32 v106, 0x78, v20
	v_cmp_gt_u32_e32 vcc_lo, 0x79, v20
	v_or_b32_e32 v107, 0x800000, v104
	s_delay_alu instid0(VALU_DEP_3) | instskip(SKIP_2) | instid1(VALU_DEP_3)
	v_cndmask_b32_e32 v106, 0, v106, vcc_lo
	v_cmp_eq_u32_e32 vcc_lo, 0, v20
	v_add_nc_u32_e32 v20, 0xffffff89, v20
	v_cndmask_b32_e64 v106, v106, 0x77, vcc_lo
	v_cndmask_b32_e32 v104, v107, v104, vcc_lo
	s_delay_alu instid0(VALU_DEP_3) | instskip(NEXT) | instid1(VALU_DEP_3)
	v_cndmask_b32_e64 v20, v20, 0xffffff8a, vcc_lo
	v_lshl_add_u32 v107, 0x100000, v106, -1
	s_delay_alu instid0(VALU_DEP_3) | instskip(SKIP_1) | instid1(VALU_DEP_4)
	v_lshrrev_b32_e32 v108, v106, v104
	v_lshlrev_b32_e64 v110, v106, 0x80000
	v_add_nc_u32_e32 v106, v106, v20
	s_delay_alu instid0(VALU_DEP_4) | instskip(NEXT) | instid1(VALU_DEP_4)
	v_and_b32_e32 v104, v107, v104
	v_bfe_u32 v109, v108, 20, 1
	s_delay_alu instid0(VALU_DEP_2) | instskip(NEXT) | instid1(VALU_DEP_2)
	v_cmp_eq_u32_e64 s13, v104, v110
	v_add_nc_u32_e32 v107, -1, v109
	s_delay_alu instid0(VALU_DEP_1) | instskip(SKIP_2) | instid1(VALU_DEP_2)
	v_cndmask_b32_e64 v104, 0, v107, s13
	v_lshrrev_b32_e32 v107, 23, v108
	s_mov_b32 s13, exec_lo
	v_add_nc_u32_e32 v104, v104, v108
	s_delay_alu instid0(VALU_DEP_2) | instskip(NEXT) | instid1(VALU_DEP_2)
	v_xor_b32_e32 v107, 1, v107
	v_and_b32_e32 v20, 0xfffff, v104
	s_delay_alu instid0(VALU_DEP_1) | instskip(NEXT) | instid1(VALU_DEP_3)
	v_add_nc_u32_e32 v104, v20, v108
                                        ; implicit-def: $vgpr20
	v_cmpx_ne_u32_e64 v106, v107
	s_xor_b32 s13, exec_lo, s13
; %bb.4034:                             ;   in Loop: Header=BB6_4010 Depth=4
	s_delay_alu instid0(VALU_DEP_2) | instskip(SKIP_2) | instid1(VALU_DEP_2)
	v_cmp_lt_u32_e32 vcc_lo, 0xffffff, v104
	v_sub_nc_u32_e32 v20, v106, v107
	v_cndmask_b32_e64 v106, 0, 1, vcc_lo
	v_add_co_ci_u32_e32 v20, vcc_lo, 0, v20, vcc_lo
	s_delay_alu instid0(VALU_DEP_2)
	v_lshrrev_b32_e32 v104, v106, v104
; %bb.4035:                             ;   in Loop: Header=BB6_4010 Depth=4
	s_and_not1_saveexec_b32 s13, s13
; %bb.4036:                             ;   in Loop: Header=BB6_4010 Depth=4
	s_delay_alu instid0(VALU_DEP_1)
	v_bfe_u32 v20, v104, 23, 1
; %bb.4037:                             ;   in Loop: Header=BB6_4010 Depth=4
	s_or_b32 exec_lo, exec_lo, s13
	v_lshrrev_b32_e32 v104, 20, v104
	s_delay_alu instid0(VALU_DEP_2) | instskip(SKIP_2) | instid1(VALU_DEP_2)
	v_cmp_gt_i32_e32 vcc_lo, 16, v20
	v_lshrrev_b32_e32 v105, 24, v105
	v_min_i32_e32 v106, 15, v20
	v_dual_cndmask_b32 v104, 7, v104 :: v_dual_and_b32 v105, 0x80, v105
	s_delay_alu instid0(VALU_DEP_2) | instskip(NEXT) | instid1(VALU_DEP_2)
	v_lshlrev_b32_e32 v106, 3, v106
	v_and_b32_e32 v107, 7, v104
	v_or_b32_e32 v20, v20, v104
	s_delay_alu instid0(VALU_DEP_2) | instskip(NEXT) | instid1(VALU_DEP_2)
	v_or3_b32 v104, v106, v105, v107
	v_cmp_ne_u32_e32 vcc_lo, 0, v20
	s_delay_alu instid0(VALU_DEP_2)
	v_cndmask_b32_e32 v20, 0, v104, vcc_lo
.LBB6_4038:                             ;   in Loop: Header=BB6_4010 Depth=4
	s_or_b32 exec_lo, exec_lo, s38
.LBB6_4039:                             ;   in Loop: Header=BB6_4010 Depth=4
	s_delay_alu instid0(SALU_CYCLE_1) | instskip(NEXT) | instid1(SALU_CYCLE_1)
	s_or_b32 exec_lo, exec_lo, s37
	s_and_not1_b32 vcc_lo, exec_lo, s35
	s_cbranch_vccnz .LBB6_4049
; %bb.4040:                             ;   in Loop: Header=BB6_4010 Depth=4
	v_and_b32_e32 v105, 0xff, v95
	s_mov_b32 s13, 0
	s_mov_b32 s38, exec_lo
                                        ; implicit-def: $sgpr37
	s_delay_alu instid0(VALU_DEP_1)
	v_cmpx_lt_i16_e32 0x7f, v105
	s_xor_b32 s38, exec_lo, s38
	s_cbranch_execnz .LBB6_4952
; %bb.4041:                             ;   in Loop: Header=BB6_4010 Depth=4
	s_or_saveexec_b32 s38, s38
	v_mov_b32_e32 v104, s37
	s_xor_b32 exec_lo, exec_lo, s38
	s_cbranch_execnz .LBB6_4955
.LBB6_4042:                             ;   in Loop: Header=BB6_4010 Depth=4
	s_or_b32 exec_lo, exec_lo, s38
	s_and_saveexec_b32 s37, s13
	s_cbranch_execz .LBB6_4044
.LBB6_4043:                             ;   in Loop: Header=BB6_4010 Depth=4
	v_lshrrev_b16 v107, 3, v95
	v_lshlrev_b32_e32 v108, 24, v95
	s_delay_alu instid0(VALU_DEP_2) | instskip(NEXT) | instid1(VALU_DEP_1)
	v_and_b32_e32 v107, 15, v107
	v_cmp_eq_u32_e32 vcc_lo, 0, v107
	v_and_b32_e32 v104, 7, v95
	s_delay_alu instid0(VALU_DEP_1) | instskip(NEXT) | instid1(VALU_DEP_1)
	v_clz_i32_u32_e32 v105, v104
	v_min_u32_e32 v105, 32, v105
	s_delay_alu instid0(VALU_DEP_1) | instskip(SKIP_1) | instid1(VALU_DEP_1)
	v_subrev_nc_u32_e32 v106, 28, v105
	v_sub_nc_u32_e32 v105, 29, v105
	v_dual_cndmask_b32 v105, v107, v105 :: v_dual_lshlrev_b32 v106, v106, v95
	s_delay_alu instid0(VALU_DEP_1) | instskip(NEXT) | instid1(VALU_DEP_2)
	v_and_b32_e32 v106, 7, v106
	v_lshl_add_u32 v105, v105, 23, 0x3b800000
	s_delay_alu instid0(VALU_DEP_2) | instskip(SKIP_1) | instid1(VALU_DEP_2)
	v_cndmask_b32_e32 v104, v104, v106, vcc_lo
	v_and_b32_e32 v106, 0x80000000, v108
	v_lshlrev_b32_e32 v104, 20, v104
	s_delay_alu instid0(VALU_DEP_1)
	v_or3_b32 v104, v106, v105, v104
.LBB6_4044:                             ;   in Loop: Header=BB6_4010 Depth=4
	s_or_b32 exec_lo, exec_lo, s37
	s_waitcnt vmcnt(30) lgkmcnt(30)
	v_and_b32_e32 v106, 0xff, v23
	s_mov_b32 s13, 0
	s_mov_b32 s38, exec_lo
                                        ; implicit-def: $sgpr37
	s_delay_alu instid0(VALU_DEP_1)
	v_cmpx_lt_i16_e32 0x7f, v106
	s_xor_b32 s38, exec_lo, s38
	s_cbranch_execnz .LBB6_4956
; %bb.4045:                             ;   in Loop: Header=BB6_4010 Depth=4
	s_or_saveexec_b32 s38, s38
	v_mov_b32_e32 v105, s37
	s_xor_b32 exec_lo, exec_lo, s38
	s_cbranch_execnz .LBB6_4959
.LBB6_4046:                             ;   in Loop: Header=BB6_4010 Depth=4
	s_or_b32 exec_lo, exec_lo, s38
	s_and_saveexec_b32 s37, s13
	s_cbranch_execz .LBB6_4048
.LBB6_4047:                             ;   in Loop: Header=BB6_4010 Depth=4
	v_lshrrev_b16 v108, 3, v23
	v_lshlrev_b32_e32 v109, 24, v23
	s_delay_alu instid0(VALU_DEP_2) | instskip(NEXT) | instid1(VALU_DEP_1)
	v_and_b32_e32 v108, 15, v108
	v_cmp_eq_u32_e32 vcc_lo, 0, v108
	v_and_b32_e32 v105, 7, v23
	s_delay_alu instid0(VALU_DEP_1) | instskip(NEXT) | instid1(VALU_DEP_1)
	v_clz_i32_u32_e32 v106, v105
	v_min_u32_e32 v106, 32, v106
	s_delay_alu instid0(VALU_DEP_1) | instskip(SKIP_1) | instid1(VALU_DEP_1)
	v_subrev_nc_u32_e32 v107, 28, v106
	v_sub_nc_u32_e32 v106, 29, v106
	v_dual_cndmask_b32 v106, v108, v106 :: v_dual_lshlrev_b32 v107, v107, v23
	s_delay_alu instid0(VALU_DEP_1) | instskip(NEXT) | instid1(VALU_DEP_2)
	v_and_b32_e32 v107, 7, v107
	v_lshl_add_u32 v106, v106, 23, 0x3b800000
	s_delay_alu instid0(VALU_DEP_2) | instskip(SKIP_1) | instid1(VALU_DEP_2)
	v_cndmask_b32_e32 v105, v105, v107, vcc_lo
	v_and_b32_e32 v107, 0x80000000, v109
	v_lshlrev_b32_e32 v105, 20, v105
	s_delay_alu instid0(VALU_DEP_1)
	v_or3_b32 v105, v107, v106, v105
.LBB6_4048:                             ;   in Loop: Header=BB6_4010 Depth=4
	s_or_b32 exec_lo, exec_lo, s37
	s_delay_alu instid0(VALU_DEP_1) | instskip(SKIP_1) | instid1(VALU_DEP_1)
	v_dual_max_f32 v105, v105, v105 :: v_dual_max_f32 v104, v104, v104
	s_mov_b32 s13, 0
	v_max_f32_e32 v104, v104, v105
	s_branch .LBB6_4050
.LBB6_4049:                             ;   in Loop: Header=BB6_4010 Depth=4
	s_mov_b32 s13, -1
                                        ; implicit-def: $vgpr104
.LBB6_4050:                             ;   in Loop: Header=BB6_4010 Depth=4
	s_delay_alu instid0(SALU_CYCLE_1)
	s_and_b32 vcc_lo, exec_lo, s13
	s_cbranch_vccz .LBB6_4060
; %bb.4051:                             ;   in Loop: Header=BB6_4010 Depth=4
	v_and_b32_e32 v105, 0xff, v95
	s_mov_b32 s13, 0
	s_mov_b32 s38, exec_lo
                                        ; implicit-def: $sgpr37
	s_delay_alu instid0(VALU_DEP_1)
	v_cmpx_lt_i16_e32 0x7f, v105
	s_xor_b32 s38, exec_lo, s38
	s_cbranch_execnz .LBB6_4960
; %bb.4052:                             ;   in Loop: Header=BB6_4010 Depth=4
	s_or_saveexec_b32 s38, s38
	v_mov_b32_e32 v104, s37
	s_xor_b32 exec_lo, exec_lo, s38
	s_cbranch_execnz .LBB6_4963
.LBB6_4053:                             ;   in Loop: Header=BB6_4010 Depth=4
	s_or_b32 exec_lo, exec_lo, s38
	s_and_saveexec_b32 s37, s13
	s_cbranch_execz .LBB6_4055
.LBB6_4054:                             ;   in Loop: Header=BB6_4010 Depth=4
	v_lshrrev_b16 v107, 3, v95
	s_delay_alu instid0(VALU_DEP_1) | instskip(NEXT) | instid1(VALU_DEP_1)
	v_and_b32_e32 v107, 15, v107
	v_cmp_eq_u32_e32 vcc_lo, 0, v107
	v_and_b32_e32 v104, 7, v95
	s_delay_alu instid0(VALU_DEP_1) | instskip(NEXT) | instid1(VALU_DEP_1)
	v_clz_i32_u32_e32 v105, v104
	v_min_u32_e32 v105, 32, v105
	s_delay_alu instid0(VALU_DEP_1) | instskip(SKIP_1) | instid1(VALU_DEP_1)
	v_subrev_nc_u32_e32 v106, 28, v105
	v_sub_nc_u32_e32 v105, 29, v105
	v_dual_cndmask_b32 v105, v107, v105 :: v_dual_lshlrev_b32 v106, v106, v95
	v_lshlrev_b32_e32 v95, 24, v95
	s_delay_alu instid0(VALU_DEP_2) | instskip(NEXT) | instid1(VALU_DEP_3)
	v_and_b32_e32 v106, 7, v106
	v_lshl_add_u32 v105, v105, 23, 0x3b800000
	s_delay_alu instid0(VALU_DEP_2) | instskip(NEXT) | instid1(VALU_DEP_1)
	v_dual_cndmask_b32 v104, v104, v106 :: v_dual_and_b32 v95, 0x80000000, v95
	v_lshlrev_b32_e32 v104, 20, v104
	s_delay_alu instid0(VALU_DEP_1)
	v_or3_b32 v104, v95, v105, v104
.LBB6_4055:                             ;   in Loop: Header=BB6_4010 Depth=4
	s_or_b32 exec_lo, exec_lo, s37
	s_waitcnt vmcnt(30) lgkmcnt(30)
	v_and_b32_e32 v105, 0xff, v23
	s_mov_b32 s13, 0
	s_mov_b32 s38, exec_lo
                                        ; implicit-def: $sgpr37
	s_delay_alu instid0(VALU_DEP_1)
	v_cmpx_lt_i16_e32 0x7f, v105
	s_xor_b32 s38, exec_lo, s38
	s_cbranch_execnz .LBB6_4964
; %bb.4056:                             ;   in Loop: Header=BB6_4010 Depth=4
	s_or_saveexec_b32 s38, s38
	v_mov_b32_e32 v95, s37
	s_xor_b32 exec_lo, exec_lo, s38
	s_cbranch_execnz .LBB6_4967
.LBB6_4057:                             ;   in Loop: Header=BB6_4010 Depth=4
	s_or_b32 exec_lo, exec_lo, s38
	s_and_saveexec_b32 s37, s13
	s_cbranch_execz .LBB6_4059
.LBB6_4058:                             ;   in Loop: Header=BB6_4010 Depth=4
	v_and_b32_e32 v95, 7, v23
	v_lshrrev_b16 v107, 3, v23
	s_delay_alu instid0(VALU_DEP_2) | instskip(NEXT) | instid1(VALU_DEP_2)
	v_clz_i32_u32_e32 v105, v95
	v_and_b32_e32 v107, 15, v107
	s_delay_alu instid0(VALU_DEP_2) | instskip(NEXT) | instid1(VALU_DEP_2)
	v_min_u32_e32 v105, 32, v105
	v_cmp_eq_u32_e32 vcc_lo, 0, v107
	s_delay_alu instid0(VALU_DEP_2) | instskip(SKIP_1) | instid1(VALU_DEP_1)
	v_subrev_nc_u32_e32 v106, 28, v105
	v_sub_nc_u32_e32 v105, 29, v105
	v_dual_cndmask_b32 v105, v107, v105 :: v_dual_lshlrev_b32 v106, v106, v23
	v_lshlrev_b32_e32 v23, 24, v23
	s_delay_alu instid0(VALU_DEP_2) | instskip(NEXT) | instid1(VALU_DEP_3)
	v_and_b32_e32 v106, 7, v106
	v_lshl_add_u32 v105, v105, 23, 0x3b800000
	s_delay_alu instid0(VALU_DEP_3) | instskip(NEXT) | instid1(VALU_DEP_3)
	v_and_b32_e32 v23, 0x80000000, v23
	v_cndmask_b32_e32 v95, v95, v106, vcc_lo
	s_delay_alu instid0(VALU_DEP_1) | instskip(NEXT) | instid1(VALU_DEP_1)
	v_lshlrev_b32_e32 v95, 20, v95
	v_or3_b32 v95, v23, v105, v95
.LBB6_4059:                             ;   in Loop: Header=BB6_4010 Depth=4
	s_or_b32 exec_lo, exec_lo, s37
	s_delay_alu instid0(VALU_DEP_1) | instskip(SKIP_1) | instid1(VALU_DEP_1)
	v_max_f32_e32 v23, v95, v95
	v_max_f32_e32 v95, v104, v104
	v_min_f32_e32 v104, v95, v23
.LBB6_4060:                             ;   in Loop: Header=BB6_4010 Depth=4
	s_waitcnt vmcnt(30) lgkmcnt(30)
	s_delay_alu instid0(VALU_DEP_1) | instskip(NEXT) | instid1(VALU_DEP_1)
	v_and_b32_e32 v23, 0x7f800000, v104
	v_cmp_ne_u32_e32 vcc_lo, 0x7f800000, v23
	v_mov_b32_e32 v23, 0x80
	s_and_saveexec_b32 s37, vcc_lo
	s_cbranch_execz .LBB6_4068
; %bb.4061:                             ;   in Loop: Header=BB6_4010 Depth=4
	v_mov_b32_e32 v23, 0
	s_mov_b32 s38, exec_lo
	v_cmpx_ne_u32_e32 0, v104
	s_cbranch_execz .LBB6_4067
; %bb.4062:                             ;   in Loop: Header=BB6_4010 Depth=4
	v_bfe_u32 v23, v104, 23, 8
	v_and_b32_e32 v95, 0x7fffff, v104
	s_delay_alu instid0(VALU_DEP_2) | instskip(SKIP_1) | instid1(VALU_DEP_3)
	v_sub_nc_u32_e32 v105, 0x78, v23
	v_cmp_gt_u32_e32 vcc_lo, 0x79, v23
	v_or_b32_e32 v106, 0x800000, v95
	s_delay_alu instid0(VALU_DEP_3) | instskip(SKIP_2) | instid1(VALU_DEP_3)
	v_cndmask_b32_e32 v105, 0, v105, vcc_lo
	v_cmp_eq_u32_e32 vcc_lo, 0, v23
	v_add_nc_u32_e32 v23, 0xffffff89, v23
	v_cndmask_b32_e64 v105, v105, 0x77, vcc_lo
	v_cndmask_b32_e32 v95, v106, v95, vcc_lo
	s_delay_alu instid0(VALU_DEP_3) | instskip(NEXT) | instid1(VALU_DEP_3)
	v_cndmask_b32_e64 v23, v23, 0xffffff8a, vcc_lo
	v_lshl_add_u32 v106, 0x100000, v105, -1
	s_delay_alu instid0(VALU_DEP_3) | instskip(SKIP_1) | instid1(VALU_DEP_4)
	v_lshrrev_b32_e32 v107, v105, v95
	v_lshlrev_b32_e64 v109, v105, 0x80000
	v_add_nc_u32_e32 v105, v105, v23
	s_delay_alu instid0(VALU_DEP_4) | instskip(NEXT) | instid1(VALU_DEP_4)
	v_and_b32_e32 v95, v106, v95
	v_bfe_u32 v108, v107, 20, 1
	s_delay_alu instid0(VALU_DEP_2) | instskip(NEXT) | instid1(VALU_DEP_2)
	v_cmp_eq_u32_e64 s13, v95, v109
	v_add_nc_u32_e32 v106, -1, v108
	s_delay_alu instid0(VALU_DEP_1) | instskip(SKIP_2) | instid1(VALU_DEP_2)
	v_cndmask_b32_e64 v95, 0, v106, s13
	v_lshrrev_b32_e32 v106, 23, v107
	s_mov_b32 s13, exec_lo
	v_add_nc_u32_e32 v95, v95, v107
	s_delay_alu instid0(VALU_DEP_2) | instskip(NEXT) | instid1(VALU_DEP_2)
	v_xor_b32_e32 v106, 1, v106
	v_and_b32_e32 v23, 0xfffff, v95
	s_delay_alu instid0(VALU_DEP_1) | instskip(NEXT) | instid1(VALU_DEP_3)
	v_add_nc_u32_e32 v95, v23, v107
                                        ; implicit-def: $vgpr23
	v_cmpx_ne_u32_e64 v105, v106
	s_xor_b32 s13, exec_lo, s13
; %bb.4063:                             ;   in Loop: Header=BB6_4010 Depth=4
	s_delay_alu instid0(VALU_DEP_2) | instskip(SKIP_2) | instid1(VALU_DEP_2)
	v_cmp_lt_u32_e32 vcc_lo, 0xffffff, v95
	v_sub_nc_u32_e32 v23, v105, v106
	v_cndmask_b32_e64 v105, 0, 1, vcc_lo
	v_add_co_ci_u32_e32 v23, vcc_lo, 0, v23, vcc_lo
	s_delay_alu instid0(VALU_DEP_2)
	v_lshrrev_b32_e32 v95, v105, v95
; %bb.4064:                             ;   in Loop: Header=BB6_4010 Depth=4
	s_and_not1_saveexec_b32 s13, s13
; %bb.4065:                             ;   in Loop: Header=BB6_4010 Depth=4
	s_delay_alu instid0(VALU_DEP_1)
	v_bfe_u32 v23, v95, 23, 1
; %bb.4066:                             ;   in Loop: Header=BB6_4010 Depth=4
	s_or_b32 exec_lo, exec_lo, s13
	v_lshrrev_b32_e32 v95, 20, v95
	s_delay_alu instid0(VALU_DEP_2) | instskip(SKIP_2) | instid1(VALU_DEP_2)
	v_cmp_gt_i32_e32 vcc_lo, 16, v23
	v_lshrrev_b32_e32 v104, 24, v104
	v_min_i32_e32 v105, 15, v23
	v_dual_cndmask_b32 v95, 7, v95 :: v_dual_and_b32 v104, 0x80, v104
	s_delay_alu instid0(VALU_DEP_2) | instskip(NEXT) | instid1(VALU_DEP_2)
	v_lshlrev_b32_e32 v105, 3, v105
	v_and_b32_e32 v106, 7, v95
	v_or_b32_e32 v23, v23, v95
	s_delay_alu instid0(VALU_DEP_2) | instskip(NEXT) | instid1(VALU_DEP_2)
	v_or3_b32 v95, v105, v104, v106
	v_cmp_ne_u32_e32 vcc_lo, 0, v23
	s_delay_alu instid0(VALU_DEP_2)
	v_cndmask_b32_e32 v23, 0, v95, vcc_lo
.LBB6_4067:                             ;   in Loop: Header=BB6_4010 Depth=4
	s_or_b32 exec_lo, exec_lo, s38
.LBB6_4068:                             ;   in Loop: Header=BB6_4010 Depth=4
	s_delay_alu instid0(SALU_CYCLE_1) | instskip(NEXT) | instid1(SALU_CYCLE_1)
	s_or_b32 exec_lo, exec_lo, s37
	s_and_not1_b32 vcc_lo, exec_lo, s35
	s_cbranch_vccnz .LBB6_4078
; %bb.4069:                             ;   in Loop: Header=BB6_4010 Depth=4
	v_and_b32_e32 v104, 0xff, v94
	s_mov_b32 s13, 0
	s_mov_b32 s38, exec_lo
                                        ; implicit-def: $sgpr37
	s_delay_alu instid0(VALU_DEP_1)
	v_cmpx_lt_i16_e32 0x7f, v104
	s_xor_b32 s38, exec_lo, s38
	s_cbranch_execnz .LBB6_4968
; %bb.4070:                             ;   in Loop: Header=BB6_4010 Depth=4
	s_or_saveexec_b32 s38, s38
	v_mov_b32_e32 v95, s37
	s_xor_b32 exec_lo, exec_lo, s38
	s_cbranch_execnz .LBB6_4971
.LBB6_4071:                             ;   in Loop: Header=BB6_4010 Depth=4
	s_or_b32 exec_lo, exec_lo, s38
	s_and_saveexec_b32 s37, s13
	s_cbranch_execz .LBB6_4073
.LBB6_4072:                             ;   in Loop: Header=BB6_4010 Depth=4
	v_lshrrev_b16 v106, 3, v94
	v_lshlrev_b32_e32 v107, 24, v94
	s_delay_alu instid0(VALU_DEP_2) | instskip(NEXT) | instid1(VALU_DEP_1)
	v_and_b32_e32 v106, 15, v106
	v_cmp_eq_u32_e32 vcc_lo, 0, v106
	v_and_b32_e32 v95, 7, v94
	s_delay_alu instid0(VALU_DEP_1) | instskip(NEXT) | instid1(VALU_DEP_1)
	v_clz_i32_u32_e32 v104, v95
	v_min_u32_e32 v104, 32, v104
	s_delay_alu instid0(VALU_DEP_1) | instskip(SKIP_1) | instid1(VALU_DEP_1)
	v_subrev_nc_u32_e32 v105, 28, v104
	v_sub_nc_u32_e32 v104, 29, v104
	v_dual_cndmask_b32 v104, v106, v104 :: v_dual_lshlrev_b32 v105, v105, v94
	s_delay_alu instid0(VALU_DEP_1) | instskip(NEXT) | instid1(VALU_DEP_2)
	v_and_b32_e32 v105, 7, v105
	v_lshl_add_u32 v104, v104, 23, 0x3b800000
	s_delay_alu instid0(VALU_DEP_2) | instskip(SKIP_1) | instid1(VALU_DEP_2)
	v_cndmask_b32_e32 v95, v95, v105, vcc_lo
	v_and_b32_e32 v105, 0x80000000, v107
	v_lshlrev_b32_e32 v95, 20, v95
	s_delay_alu instid0(VALU_DEP_1)
	v_or3_b32 v95, v105, v104, v95
.LBB6_4073:                             ;   in Loop: Header=BB6_4010 Depth=4
	s_or_b32 exec_lo, exec_lo, s37
	s_waitcnt vmcnt(29) lgkmcnt(29)
	v_and_b32_e32 v105, 0xff, v26
	s_mov_b32 s13, 0
	s_mov_b32 s38, exec_lo
                                        ; implicit-def: $sgpr37
	s_delay_alu instid0(VALU_DEP_1)
	v_cmpx_lt_i16_e32 0x7f, v105
	s_xor_b32 s38, exec_lo, s38
	s_cbranch_execnz .LBB6_4972
; %bb.4074:                             ;   in Loop: Header=BB6_4010 Depth=4
	s_or_saveexec_b32 s38, s38
	v_mov_b32_e32 v104, s37
	s_xor_b32 exec_lo, exec_lo, s38
	s_cbranch_execnz .LBB6_4975
.LBB6_4075:                             ;   in Loop: Header=BB6_4010 Depth=4
	s_or_b32 exec_lo, exec_lo, s38
	s_and_saveexec_b32 s37, s13
	s_cbranch_execz .LBB6_4077
.LBB6_4076:                             ;   in Loop: Header=BB6_4010 Depth=4
	v_lshrrev_b16 v107, 3, v26
	v_lshlrev_b32_e32 v108, 24, v26
	s_delay_alu instid0(VALU_DEP_2) | instskip(NEXT) | instid1(VALU_DEP_1)
	v_and_b32_e32 v107, 15, v107
	v_cmp_eq_u32_e32 vcc_lo, 0, v107
	v_and_b32_e32 v104, 7, v26
	s_delay_alu instid0(VALU_DEP_1) | instskip(NEXT) | instid1(VALU_DEP_1)
	v_clz_i32_u32_e32 v105, v104
	v_min_u32_e32 v105, 32, v105
	s_delay_alu instid0(VALU_DEP_1) | instskip(SKIP_1) | instid1(VALU_DEP_1)
	v_subrev_nc_u32_e32 v106, 28, v105
	v_sub_nc_u32_e32 v105, 29, v105
	v_dual_cndmask_b32 v105, v107, v105 :: v_dual_lshlrev_b32 v106, v106, v26
	s_delay_alu instid0(VALU_DEP_1) | instskip(NEXT) | instid1(VALU_DEP_2)
	v_and_b32_e32 v106, 7, v106
	v_lshl_add_u32 v105, v105, 23, 0x3b800000
	s_delay_alu instid0(VALU_DEP_2) | instskip(SKIP_1) | instid1(VALU_DEP_2)
	v_cndmask_b32_e32 v104, v104, v106, vcc_lo
	v_and_b32_e32 v106, 0x80000000, v108
	v_lshlrev_b32_e32 v104, 20, v104
	s_delay_alu instid0(VALU_DEP_1)
	v_or3_b32 v104, v106, v105, v104
.LBB6_4077:                             ;   in Loop: Header=BB6_4010 Depth=4
	s_or_b32 exec_lo, exec_lo, s37
	s_delay_alu instid0(VALU_DEP_1) | instskip(SKIP_1) | instid1(VALU_DEP_1)
	v_dual_max_f32 v104, v104, v104 :: v_dual_max_f32 v95, v95, v95
	s_mov_b32 s13, 0
	v_max_f32_e32 v95, v95, v104
	s_branch .LBB6_4079
.LBB6_4078:                             ;   in Loop: Header=BB6_4010 Depth=4
	s_mov_b32 s13, -1
                                        ; implicit-def: $vgpr95
.LBB6_4079:                             ;   in Loop: Header=BB6_4010 Depth=4
	s_delay_alu instid0(SALU_CYCLE_1)
	s_and_b32 vcc_lo, exec_lo, s13
	s_cbranch_vccz .LBB6_4089
; %bb.4080:                             ;   in Loop: Header=BB6_4010 Depth=4
	v_and_b32_e32 v104, 0xff, v94
	s_mov_b32 s13, 0
	s_mov_b32 s38, exec_lo
                                        ; implicit-def: $sgpr37
	s_delay_alu instid0(VALU_DEP_1)
	v_cmpx_lt_i16_e32 0x7f, v104
	s_xor_b32 s38, exec_lo, s38
	s_cbranch_execnz .LBB6_4976
; %bb.4081:                             ;   in Loop: Header=BB6_4010 Depth=4
	s_or_saveexec_b32 s38, s38
	v_mov_b32_e32 v95, s37
	s_xor_b32 exec_lo, exec_lo, s38
	s_cbranch_execnz .LBB6_4979
.LBB6_4082:                             ;   in Loop: Header=BB6_4010 Depth=4
	s_or_b32 exec_lo, exec_lo, s38
	s_and_saveexec_b32 s37, s13
	s_cbranch_execz .LBB6_4084
.LBB6_4083:                             ;   in Loop: Header=BB6_4010 Depth=4
	v_lshrrev_b16 v106, 3, v94
	s_delay_alu instid0(VALU_DEP_1) | instskip(NEXT) | instid1(VALU_DEP_1)
	v_and_b32_e32 v106, 15, v106
	v_cmp_eq_u32_e32 vcc_lo, 0, v106
	v_and_b32_e32 v95, 7, v94
	s_delay_alu instid0(VALU_DEP_1) | instskip(NEXT) | instid1(VALU_DEP_1)
	v_clz_i32_u32_e32 v104, v95
	v_min_u32_e32 v104, 32, v104
	s_delay_alu instid0(VALU_DEP_1) | instskip(SKIP_1) | instid1(VALU_DEP_1)
	v_subrev_nc_u32_e32 v105, 28, v104
	v_sub_nc_u32_e32 v104, 29, v104
	v_dual_cndmask_b32 v104, v106, v104 :: v_dual_lshlrev_b32 v105, v105, v94
	v_lshlrev_b32_e32 v94, 24, v94
	s_delay_alu instid0(VALU_DEP_2) | instskip(NEXT) | instid1(VALU_DEP_3)
	v_and_b32_e32 v105, 7, v105
	v_lshl_add_u32 v104, v104, 23, 0x3b800000
	s_delay_alu instid0(VALU_DEP_2) | instskip(NEXT) | instid1(VALU_DEP_1)
	v_dual_cndmask_b32 v95, v95, v105 :: v_dual_and_b32 v94, 0x80000000, v94
	v_lshlrev_b32_e32 v95, 20, v95
	s_delay_alu instid0(VALU_DEP_1)
	v_or3_b32 v95, v94, v104, v95
.LBB6_4084:                             ;   in Loop: Header=BB6_4010 Depth=4
	s_or_b32 exec_lo, exec_lo, s37
	s_waitcnt vmcnt(29) lgkmcnt(29)
	v_and_b32_e32 v104, 0xff, v26
	s_mov_b32 s13, 0
	s_mov_b32 s38, exec_lo
                                        ; implicit-def: $sgpr37
	s_delay_alu instid0(VALU_DEP_1)
	v_cmpx_lt_i16_e32 0x7f, v104
	s_xor_b32 s38, exec_lo, s38
	s_cbranch_execnz .LBB6_4980
; %bb.4085:                             ;   in Loop: Header=BB6_4010 Depth=4
	s_or_saveexec_b32 s38, s38
	v_mov_b32_e32 v94, s37
	s_xor_b32 exec_lo, exec_lo, s38
	s_cbranch_execnz .LBB6_4983
.LBB6_4086:                             ;   in Loop: Header=BB6_4010 Depth=4
	s_or_b32 exec_lo, exec_lo, s38
	s_and_saveexec_b32 s37, s13
	s_cbranch_execz .LBB6_4088
.LBB6_4087:                             ;   in Loop: Header=BB6_4010 Depth=4
	v_and_b32_e32 v94, 7, v26
	v_lshrrev_b16 v106, 3, v26
	s_delay_alu instid0(VALU_DEP_2) | instskip(NEXT) | instid1(VALU_DEP_2)
	v_clz_i32_u32_e32 v104, v94
	v_and_b32_e32 v106, 15, v106
	s_delay_alu instid0(VALU_DEP_2) | instskip(NEXT) | instid1(VALU_DEP_2)
	v_min_u32_e32 v104, 32, v104
	v_cmp_eq_u32_e32 vcc_lo, 0, v106
	s_delay_alu instid0(VALU_DEP_2) | instskip(SKIP_1) | instid1(VALU_DEP_1)
	v_subrev_nc_u32_e32 v105, 28, v104
	v_sub_nc_u32_e32 v104, 29, v104
	v_dual_cndmask_b32 v104, v106, v104 :: v_dual_lshlrev_b32 v105, v105, v26
	v_lshlrev_b32_e32 v26, 24, v26
	s_delay_alu instid0(VALU_DEP_2) | instskip(NEXT) | instid1(VALU_DEP_3)
	v_and_b32_e32 v105, 7, v105
	v_lshl_add_u32 v104, v104, 23, 0x3b800000
	s_delay_alu instid0(VALU_DEP_3) | instskip(NEXT) | instid1(VALU_DEP_3)
	v_and_b32_e32 v26, 0x80000000, v26
	v_cndmask_b32_e32 v94, v94, v105, vcc_lo
	s_delay_alu instid0(VALU_DEP_1) | instskip(NEXT) | instid1(VALU_DEP_1)
	v_lshlrev_b32_e32 v94, 20, v94
	v_or3_b32 v94, v26, v104, v94
.LBB6_4088:                             ;   in Loop: Header=BB6_4010 Depth=4
	s_or_b32 exec_lo, exec_lo, s37
	s_delay_alu instid0(VALU_DEP_1) | instskip(SKIP_1) | instid1(VALU_DEP_1)
	v_max_f32_e32 v26, v94, v94
	v_max_f32_e32 v94, v95, v95
	v_min_f32_e32 v95, v94, v26
.LBB6_4089:                             ;   in Loop: Header=BB6_4010 Depth=4
	s_waitcnt vmcnt(29) lgkmcnt(29)
	s_delay_alu instid0(VALU_DEP_1) | instskip(NEXT) | instid1(VALU_DEP_1)
	v_and_b32_e32 v26, 0x7f800000, v95
	v_cmp_ne_u32_e32 vcc_lo, 0x7f800000, v26
	v_mov_b32_e32 v26, 0x80
	s_and_saveexec_b32 s37, vcc_lo
	s_cbranch_execz .LBB6_4097
; %bb.4090:                             ;   in Loop: Header=BB6_4010 Depth=4
	v_mov_b32_e32 v26, 0
	s_mov_b32 s38, exec_lo
	v_cmpx_ne_u32_e32 0, v95
	s_cbranch_execz .LBB6_4096
; %bb.4091:                             ;   in Loop: Header=BB6_4010 Depth=4
	v_bfe_u32 v26, v95, 23, 8
	v_and_b32_e32 v94, 0x7fffff, v95
	s_delay_alu instid0(VALU_DEP_2) | instskip(SKIP_1) | instid1(VALU_DEP_3)
	v_sub_nc_u32_e32 v104, 0x78, v26
	v_cmp_gt_u32_e32 vcc_lo, 0x79, v26
	v_or_b32_e32 v105, 0x800000, v94
	s_delay_alu instid0(VALU_DEP_3) | instskip(SKIP_2) | instid1(VALU_DEP_3)
	v_cndmask_b32_e32 v104, 0, v104, vcc_lo
	v_cmp_eq_u32_e32 vcc_lo, 0, v26
	v_add_nc_u32_e32 v26, 0xffffff89, v26
	v_cndmask_b32_e64 v104, v104, 0x77, vcc_lo
	v_cndmask_b32_e32 v94, v105, v94, vcc_lo
	s_delay_alu instid0(VALU_DEP_3) | instskip(NEXT) | instid1(VALU_DEP_3)
	v_cndmask_b32_e64 v26, v26, 0xffffff8a, vcc_lo
	v_lshl_add_u32 v105, 0x100000, v104, -1
	s_delay_alu instid0(VALU_DEP_3) | instskip(SKIP_1) | instid1(VALU_DEP_4)
	v_lshrrev_b32_e32 v106, v104, v94
	v_lshlrev_b32_e64 v108, v104, 0x80000
	v_add_nc_u32_e32 v104, v104, v26
	s_delay_alu instid0(VALU_DEP_4) | instskip(NEXT) | instid1(VALU_DEP_4)
	v_and_b32_e32 v94, v105, v94
	v_bfe_u32 v107, v106, 20, 1
	s_delay_alu instid0(VALU_DEP_2) | instskip(NEXT) | instid1(VALU_DEP_2)
	v_cmp_eq_u32_e64 s13, v94, v108
	v_add_nc_u32_e32 v105, -1, v107
	s_delay_alu instid0(VALU_DEP_1) | instskip(SKIP_2) | instid1(VALU_DEP_2)
	v_cndmask_b32_e64 v94, 0, v105, s13
	v_lshrrev_b32_e32 v105, 23, v106
	s_mov_b32 s13, exec_lo
	v_add_nc_u32_e32 v94, v94, v106
	s_delay_alu instid0(VALU_DEP_2) | instskip(NEXT) | instid1(VALU_DEP_2)
	v_xor_b32_e32 v105, 1, v105
	v_and_b32_e32 v26, 0xfffff, v94
	s_delay_alu instid0(VALU_DEP_1) | instskip(NEXT) | instid1(VALU_DEP_3)
	v_add_nc_u32_e32 v94, v26, v106
                                        ; implicit-def: $vgpr26
	v_cmpx_ne_u32_e64 v104, v105
	s_xor_b32 s13, exec_lo, s13
; %bb.4092:                             ;   in Loop: Header=BB6_4010 Depth=4
	s_delay_alu instid0(VALU_DEP_2) | instskip(SKIP_2) | instid1(VALU_DEP_2)
	v_cmp_lt_u32_e32 vcc_lo, 0xffffff, v94
	v_sub_nc_u32_e32 v26, v104, v105
	v_cndmask_b32_e64 v104, 0, 1, vcc_lo
	v_add_co_ci_u32_e32 v26, vcc_lo, 0, v26, vcc_lo
	s_delay_alu instid0(VALU_DEP_2)
	v_lshrrev_b32_e32 v94, v104, v94
; %bb.4093:                             ;   in Loop: Header=BB6_4010 Depth=4
	s_and_not1_saveexec_b32 s13, s13
; %bb.4094:                             ;   in Loop: Header=BB6_4010 Depth=4
	s_delay_alu instid0(VALU_DEP_1)
	v_bfe_u32 v26, v94, 23, 1
; %bb.4095:                             ;   in Loop: Header=BB6_4010 Depth=4
	s_or_b32 exec_lo, exec_lo, s13
	v_lshrrev_b32_e32 v94, 20, v94
	s_delay_alu instid0(VALU_DEP_2) | instskip(SKIP_2) | instid1(VALU_DEP_2)
	v_cmp_gt_i32_e32 vcc_lo, 16, v26
	v_lshrrev_b32_e32 v95, 24, v95
	v_min_i32_e32 v104, 15, v26
	v_dual_cndmask_b32 v94, 7, v94 :: v_dual_and_b32 v95, 0x80, v95
	s_delay_alu instid0(VALU_DEP_2) | instskip(NEXT) | instid1(VALU_DEP_2)
	v_lshlrev_b32_e32 v104, 3, v104
	v_and_b32_e32 v105, 7, v94
	v_or_b32_e32 v26, v26, v94
	s_delay_alu instid0(VALU_DEP_2) | instskip(NEXT) | instid1(VALU_DEP_2)
	v_or3_b32 v94, v104, v95, v105
	v_cmp_ne_u32_e32 vcc_lo, 0, v26
	s_delay_alu instid0(VALU_DEP_2)
	v_cndmask_b32_e32 v26, 0, v94, vcc_lo
.LBB6_4096:                             ;   in Loop: Header=BB6_4010 Depth=4
	s_or_b32 exec_lo, exec_lo, s38
.LBB6_4097:                             ;   in Loop: Header=BB6_4010 Depth=4
	s_delay_alu instid0(SALU_CYCLE_1) | instskip(NEXT) | instid1(SALU_CYCLE_1)
	s_or_b32 exec_lo, exec_lo, s37
	s_and_not1_b32 vcc_lo, exec_lo, s35
	s_cbranch_vccnz .LBB6_4107
; %bb.4098:                             ;   in Loop: Header=BB6_4010 Depth=4
	v_and_b32_e32 v95, 0xff, v93
	s_mov_b32 s13, 0
	s_mov_b32 s38, exec_lo
                                        ; implicit-def: $sgpr37
	s_delay_alu instid0(VALU_DEP_1)
	v_cmpx_lt_i16_e32 0x7f, v95
	s_xor_b32 s38, exec_lo, s38
	s_cbranch_execnz .LBB6_4984
; %bb.4099:                             ;   in Loop: Header=BB6_4010 Depth=4
	s_or_saveexec_b32 s38, s38
	v_mov_b32_e32 v94, s37
	s_xor_b32 exec_lo, exec_lo, s38
	s_cbranch_execnz .LBB6_4987
.LBB6_4100:                             ;   in Loop: Header=BB6_4010 Depth=4
	s_or_b32 exec_lo, exec_lo, s38
	s_and_saveexec_b32 s37, s13
	s_cbranch_execz .LBB6_4102
.LBB6_4101:                             ;   in Loop: Header=BB6_4010 Depth=4
	v_lshrrev_b16 v105, 3, v93
	v_lshlrev_b32_e32 v106, 24, v93
	s_delay_alu instid0(VALU_DEP_2) | instskip(NEXT) | instid1(VALU_DEP_1)
	v_and_b32_e32 v105, 15, v105
	v_cmp_eq_u32_e32 vcc_lo, 0, v105
	v_and_b32_e32 v94, 7, v93
	s_delay_alu instid0(VALU_DEP_1) | instskip(NEXT) | instid1(VALU_DEP_1)
	v_clz_i32_u32_e32 v95, v94
	v_min_u32_e32 v95, 32, v95
	s_delay_alu instid0(VALU_DEP_1) | instskip(SKIP_1) | instid1(VALU_DEP_1)
	v_subrev_nc_u32_e32 v104, 28, v95
	v_sub_nc_u32_e32 v95, 29, v95
	v_dual_cndmask_b32 v95, v105, v95 :: v_dual_lshlrev_b32 v104, v104, v93
	s_delay_alu instid0(VALU_DEP_1) | instskip(NEXT) | instid1(VALU_DEP_2)
	v_and_b32_e32 v104, 7, v104
	v_lshl_add_u32 v95, v95, 23, 0x3b800000
	s_delay_alu instid0(VALU_DEP_2) | instskip(SKIP_1) | instid1(VALU_DEP_2)
	v_cndmask_b32_e32 v94, v94, v104, vcc_lo
	v_and_b32_e32 v104, 0x80000000, v106
	v_lshlrev_b32_e32 v94, 20, v94
	s_delay_alu instid0(VALU_DEP_1)
	v_or3_b32 v94, v104, v95, v94
.LBB6_4102:                             ;   in Loop: Header=BB6_4010 Depth=4
	s_or_b32 exec_lo, exec_lo, s37
	s_waitcnt vmcnt(28) lgkmcnt(28)
	v_and_b32_e32 v104, 0xff, v33
	s_mov_b32 s13, 0
	s_mov_b32 s38, exec_lo
                                        ; implicit-def: $sgpr37
	s_delay_alu instid0(VALU_DEP_1)
	v_cmpx_lt_i16_e32 0x7f, v104
	s_xor_b32 s38, exec_lo, s38
	s_cbranch_execnz .LBB6_4988
; %bb.4103:                             ;   in Loop: Header=BB6_4010 Depth=4
	s_or_saveexec_b32 s38, s38
	v_mov_b32_e32 v95, s37
	s_xor_b32 exec_lo, exec_lo, s38
	s_cbranch_execnz .LBB6_4991
.LBB6_4104:                             ;   in Loop: Header=BB6_4010 Depth=4
	s_or_b32 exec_lo, exec_lo, s38
	s_and_saveexec_b32 s37, s13
	s_cbranch_execz .LBB6_4106
.LBB6_4105:                             ;   in Loop: Header=BB6_4010 Depth=4
	v_lshrrev_b16 v106, 3, v33
	v_lshlrev_b32_e32 v107, 24, v33
	s_delay_alu instid0(VALU_DEP_2) | instskip(NEXT) | instid1(VALU_DEP_1)
	v_and_b32_e32 v106, 15, v106
	v_cmp_eq_u32_e32 vcc_lo, 0, v106
	v_and_b32_e32 v95, 7, v33
	s_delay_alu instid0(VALU_DEP_1) | instskip(NEXT) | instid1(VALU_DEP_1)
	v_clz_i32_u32_e32 v104, v95
	v_min_u32_e32 v104, 32, v104
	s_delay_alu instid0(VALU_DEP_1) | instskip(SKIP_1) | instid1(VALU_DEP_1)
	v_subrev_nc_u32_e32 v105, 28, v104
	v_sub_nc_u32_e32 v104, 29, v104
	v_dual_cndmask_b32 v104, v106, v104 :: v_dual_lshlrev_b32 v105, v105, v33
	s_delay_alu instid0(VALU_DEP_1) | instskip(NEXT) | instid1(VALU_DEP_2)
	v_and_b32_e32 v105, 7, v105
	v_lshl_add_u32 v104, v104, 23, 0x3b800000
	s_delay_alu instid0(VALU_DEP_2) | instskip(SKIP_1) | instid1(VALU_DEP_2)
	v_cndmask_b32_e32 v95, v95, v105, vcc_lo
	v_and_b32_e32 v105, 0x80000000, v107
	v_lshlrev_b32_e32 v95, 20, v95
	s_delay_alu instid0(VALU_DEP_1)
	v_or3_b32 v95, v105, v104, v95
.LBB6_4106:                             ;   in Loop: Header=BB6_4010 Depth=4
	s_or_b32 exec_lo, exec_lo, s37
	s_delay_alu instid0(VALU_DEP_1) | instskip(SKIP_1) | instid1(VALU_DEP_1)
	v_dual_max_f32 v95, v95, v95 :: v_dual_max_f32 v94, v94, v94
	s_mov_b32 s13, 0
	v_max_f32_e32 v94, v94, v95
	s_branch .LBB6_4108
.LBB6_4107:                             ;   in Loop: Header=BB6_4010 Depth=4
	s_mov_b32 s13, -1
                                        ; implicit-def: $vgpr94
.LBB6_4108:                             ;   in Loop: Header=BB6_4010 Depth=4
	s_delay_alu instid0(SALU_CYCLE_1)
	s_and_b32 vcc_lo, exec_lo, s13
	s_cbranch_vccz .LBB6_4118
; %bb.4109:                             ;   in Loop: Header=BB6_4010 Depth=4
	v_and_b32_e32 v95, 0xff, v93
	s_mov_b32 s13, 0
	s_mov_b32 s38, exec_lo
                                        ; implicit-def: $sgpr37
	s_delay_alu instid0(VALU_DEP_1)
	v_cmpx_lt_i16_e32 0x7f, v95
	s_xor_b32 s38, exec_lo, s38
	s_cbranch_execnz .LBB6_4992
; %bb.4110:                             ;   in Loop: Header=BB6_4010 Depth=4
	s_or_saveexec_b32 s38, s38
	v_mov_b32_e32 v94, s37
	s_xor_b32 exec_lo, exec_lo, s38
	s_cbranch_execnz .LBB6_4995
.LBB6_4111:                             ;   in Loop: Header=BB6_4010 Depth=4
	s_or_b32 exec_lo, exec_lo, s38
	s_and_saveexec_b32 s37, s13
	s_cbranch_execz .LBB6_4113
.LBB6_4112:                             ;   in Loop: Header=BB6_4010 Depth=4
	v_lshrrev_b16 v105, 3, v93
	s_delay_alu instid0(VALU_DEP_1) | instskip(NEXT) | instid1(VALU_DEP_1)
	v_and_b32_e32 v105, 15, v105
	v_cmp_eq_u32_e32 vcc_lo, 0, v105
	v_and_b32_e32 v94, 7, v93
	s_delay_alu instid0(VALU_DEP_1) | instskip(NEXT) | instid1(VALU_DEP_1)
	v_clz_i32_u32_e32 v95, v94
	v_min_u32_e32 v95, 32, v95
	s_delay_alu instid0(VALU_DEP_1) | instskip(SKIP_1) | instid1(VALU_DEP_1)
	v_subrev_nc_u32_e32 v104, 28, v95
	v_sub_nc_u32_e32 v95, 29, v95
	v_dual_cndmask_b32 v95, v105, v95 :: v_dual_lshlrev_b32 v104, v104, v93
	v_lshlrev_b32_e32 v93, 24, v93
	s_delay_alu instid0(VALU_DEP_2) | instskip(NEXT) | instid1(VALU_DEP_3)
	v_and_b32_e32 v104, 7, v104
	v_lshl_add_u32 v95, v95, 23, 0x3b800000
	s_delay_alu instid0(VALU_DEP_2) | instskip(NEXT) | instid1(VALU_DEP_1)
	v_dual_cndmask_b32 v94, v94, v104 :: v_dual_and_b32 v93, 0x80000000, v93
	v_lshlrev_b32_e32 v94, 20, v94
	s_delay_alu instid0(VALU_DEP_1)
	v_or3_b32 v94, v93, v95, v94
.LBB6_4113:                             ;   in Loop: Header=BB6_4010 Depth=4
	s_or_b32 exec_lo, exec_lo, s37
	s_waitcnt vmcnt(28) lgkmcnt(28)
	v_and_b32_e32 v95, 0xff, v33
	s_mov_b32 s13, 0
	s_mov_b32 s38, exec_lo
                                        ; implicit-def: $sgpr37
	s_delay_alu instid0(VALU_DEP_1)
	v_cmpx_lt_i16_e32 0x7f, v95
	s_xor_b32 s38, exec_lo, s38
	s_cbranch_execnz .LBB6_4996
; %bb.4114:                             ;   in Loop: Header=BB6_4010 Depth=4
	s_or_saveexec_b32 s38, s38
	v_mov_b32_e32 v93, s37
	s_xor_b32 exec_lo, exec_lo, s38
	s_cbranch_execnz .LBB6_4999
.LBB6_4115:                             ;   in Loop: Header=BB6_4010 Depth=4
	s_or_b32 exec_lo, exec_lo, s38
	s_and_saveexec_b32 s37, s13
	s_cbranch_execz .LBB6_4117
.LBB6_4116:                             ;   in Loop: Header=BB6_4010 Depth=4
	v_and_b32_e32 v93, 7, v33
	v_lshrrev_b16 v105, 3, v33
	s_delay_alu instid0(VALU_DEP_2) | instskip(NEXT) | instid1(VALU_DEP_2)
	v_clz_i32_u32_e32 v95, v93
	v_and_b32_e32 v105, 15, v105
	s_delay_alu instid0(VALU_DEP_2) | instskip(NEXT) | instid1(VALU_DEP_2)
	v_min_u32_e32 v95, 32, v95
	v_cmp_eq_u32_e32 vcc_lo, 0, v105
	s_delay_alu instid0(VALU_DEP_2) | instskip(SKIP_1) | instid1(VALU_DEP_1)
	v_subrev_nc_u32_e32 v104, 28, v95
	v_sub_nc_u32_e32 v95, 29, v95
	v_dual_cndmask_b32 v95, v105, v95 :: v_dual_lshlrev_b32 v104, v104, v33
	v_lshlrev_b32_e32 v33, 24, v33
	s_delay_alu instid0(VALU_DEP_2) | instskip(NEXT) | instid1(VALU_DEP_3)
	v_and_b32_e32 v104, 7, v104
	v_lshl_add_u32 v95, v95, 23, 0x3b800000
	s_delay_alu instid0(VALU_DEP_3) | instskip(NEXT) | instid1(VALU_DEP_3)
	v_and_b32_e32 v33, 0x80000000, v33
	v_cndmask_b32_e32 v93, v93, v104, vcc_lo
	s_delay_alu instid0(VALU_DEP_1) | instskip(NEXT) | instid1(VALU_DEP_1)
	v_lshlrev_b32_e32 v93, 20, v93
	v_or3_b32 v93, v33, v95, v93
.LBB6_4117:                             ;   in Loop: Header=BB6_4010 Depth=4
	s_or_b32 exec_lo, exec_lo, s37
	s_delay_alu instid0(VALU_DEP_1) | instskip(SKIP_1) | instid1(VALU_DEP_1)
	v_max_f32_e32 v33, v93, v93
	v_max_f32_e32 v93, v94, v94
	v_min_f32_e32 v94, v93, v33
.LBB6_4118:                             ;   in Loop: Header=BB6_4010 Depth=4
	s_waitcnt vmcnt(28) lgkmcnt(28)
	s_delay_alu instid0(VALU_DEP_1) | instskip(NEXT) | instid1(VALU_DEP_1)
	v_and_b32_e32 v33, 0x7f800000, v94
	v_cmp_ne_u32_e32 vcc_lo, 0x7f800000, v33
	v_mov_b32_e32 v33, 0x80
	s_and_saveexec_b32 s37, vcc_lo
	s_cbranch_execz .LBB6_4126
; %bb.4119:                             ;   in Loop: Header=BB6_4010 Depth=4
	v_mov_b32_e32 v33, 0
	s_mov_b32 s38, exec_lo
	v_cmpx_ne_u32_e32 0, v94
	s_cbranch_execz .LBB6_4125
; %bb.4120:                             ;   in Loop: Header=BB6_4010 Depth=4
	v_bfe_u32 v33, v94, 23, 8
	v_and_b32_e32 v93, 0x7fffff, v94
	s_delay_alu instid0(VALU_DEP_2) | instskip(SKIP_1) | instid1(VALU_DEP_3)
	v_sub_nc_u32_e32 v95, 0x78, v33
	v_cmp_gt_u32_e32 vcc_lo, 0x79, v33
	v_or_b32_e32 v104, 0x800000, v93
	s_delay_alu instid0(VALU_DEP_3) | instskip(SKIP_2) | instid1(VALU_DEP_3)
	v_cndmask_b32_e32 v95, 0, v95, vcc_lo
	v_cmp_eq_u32_e32 vcc_lo, 0, v33
	v_add_nc_u32_e32 v33, 0xffffff89, v33
	v_cndmask_b32_e64 v95, v95, 0x77, vcc_lo
	v_cndmask_b32_e32 v93, v104, v93, vcc_lo
	s_delay_alu instid0(VALU_DEP_3) | instskip(NEXT) | instid1(VALU_DEP_3)
	v_cndmask_b32_e64 v33, v33, 0xffffff8a, vcc_lo
	v_lshl_add_u32 v104, 0x100000, v95, -1
	s_delay_alu instid0(VALU_DEP_3) | instskip(SKIP_1) | instid1(VALU_DEP_4)
	v_lshrrev_b32_e32 v105, v95, v93
	v_lshlrev_b32_e64 v107, v95, 0x80000
	v_add_nc_u32_e32 v95, v95, v33
	s_delay_alu instid0(VALU_DEP_4) | instskip(NEXT) | instid1(VALU_DEP_4)
	v_and_b32_e32 v93, v104, v93
	v_bfe_u32 v106, v105, 20, 1
	s_delay_alu instid0(VALU_DEP_2) | instskip(NEXT) | instid1(VALU_DEP_2)
	v_cmp_eq_u32_e64 s13, v93, v107
	v_add_nc_u32_e32 v104, -1, v106
	s_delay_alu instid0(VALU_DEP_1) | instskip(SKIP_2) | instid1(VALU_DEP_2)
	v_cndmask_b32_e64 v93, 0, v104, s13
	v_lshrrev_b32_e32 v104, 23, v105
	s_mov_b32 s13, exec_lo
	v_add_nc_u32_e32 v93, v93, v105
	s_delay_alu instid0(VALU_DEP_2) | instskip(NEXT) | instid1(VALU_DEP_2)
	v_xor_b32_e32 v104, 1, v104
	v_and_b32_e32 v33, 0xfffff, v93
	s_delay_alu instid0(VALU_DEP_1) | instskip(NEXT) | instid1(VALU_DEP_3)
	v_add_nc_u32_e32 v93, v33, v105
                                        ; implicit-def: $vgpr33
	v_cmpx_ne_u32_e64 v95, v104
	s_xor_b32 s13, exec_lo, s13
; %bb.4121:                             ;   in Loop: Header=BB6_4010 Depth=4
	s_delay_alu instid0(VALU_DEP_2) | instskip(SKIP_2) | instid1(VALU_DEP_2)
	v_cmp_lt_u32_e32 vcc_lo, 0xffffff, v93
	v_sub_nc_u32_e32 v33, v95, v104
	v_cndmask_b32_e64 v95, 0, 1, vcc_lo
	v_add_co_ci_u32_e32 v33, vcc_lo, 0, v33, vcc_lo
	s_delay_alu instid0(VALU_DEP_2)
	v_lshrrev_b32_e32 v93, v95, v93
; %bb.4122:                             ;   in Loop: Header=BB6_4010 Depth=4
	s_and_not1_saveexec_b32 s13, s13
; %bb.4123:                             ;   in Loop: Header=BB6_4010 Depth=4
	s_delay_alu instid0(VALU_DEP_1)
	v_bfe_u32 v33, v93, 23, 1
; %bb.4124:                             ;   in Loop: Header=BB6_4010 Depth=4
	s_or_b32 exec_lo, exec_lo, s13
	v_lshrrev_b32_e32 v93, 20, v93
	s_delay_alu instid0(VALU_DEP_2) | instskip(SKIP_2) | instid1(VALU_DEP_2)
	v_cmp_gt_i32_e32 vcc_lo, 16, v33
	v_lshrrev_b32_e32 v94, 24, v94
	v_min_i32_e32 v95, 15, v33
	v_dual_cndmask_b32 v93, 7, v93 :: v_dual_and_b32 v94, 0x80, v94
	s_delay_alu instid0(VALU_DEP_2) | instskip(NEXT) | instid1(VALU_DEP_2)
	v_lshlrev_b32_e32 v95, 3, v95
	v_and_b32_e32 v104, 7, v93
	v_or_b32_e32 v33, v33, v93
	s_delay_alu instid0(VALU_DEP_2) | instskip(NEXT) | instid1(VALU_DEP_2)
	v_or3_b32 v93, v95, v94, v104
	v_cmp_ne_u32_e32 vcc_lo, 0, v33
	s_delay_alu instid0(VALU_DEP_2)
	v_cndmask_b32_e32 v33, 0, v93, vcc_lo
.LBB6_4125:                             ;   in Loop: Header=BB6_4010 Depth=4
	s_or_b32 exec_lo, exec_lo, s38
.LBB6_4126:                             ;   in Loop: Header=BB6_4010 Depth=4
	s_delay_alu instid0(SALU_CYCLE_1) | instskip(NEXT) | instid1(SALU_CYCLE_1)
	s_or_b32 exec_lo, exec_lo, s37
	s_and_not1_b32 vcc_lo, exec_lo, s35
	s_cbranch_vccnz .LBB6_4136
; %bb.4127:                             ;   in Loop: Header=BB6_4010 Depth=4
	v_and_b32_e32 v94, 0xff, v92
	s_mov_b32 s13, 0
	s_mov_b32 s38, exec_lo
                                        ; implicit-def: $sgpr37
	s_delay_alu instid0(VALU_DEP_1)
	v_cmpx_lt_i16_e32 0x7f, v94
	s_xor_b32 s38, exec_lo, s38
	s_cbranch_execnz .LBB6_5000
; %bb.4128:                             ;   in Loop: Header=BB6_4010 Depth=4
	s_or_saveexec_b32 s38, s38
	v_mov_b32_e32 v93, s37
	s_xor_b32 exec_lo, exec_lo, s38
	s_cbranch_execnz .LBB6_5003
.LBB6_4129:                             ;   in Loop: Header=BB6_4010 Depth=4
	s_or_b32 exec_lo, exec_lo, s38
	s_and_saveexec_b32 s37, s13
	s_cbranch_execz .LBB6_4131
.LBB6_4130:                             ;   in Loop: Header=BB6_4010 Depth=4
	v_lshrrev_b16 v104, 3, v92
	v_lshlrev_b32_e32 v105, 24, v92
	s_delay_alu instid0(VALU_DEP_2) | instskip(NEXT) | instid1(VALU_DEP_1)
	v_and_b32_e32 v104, 15, v104
	v_cmp_eq_u32_e32 vcc_lo, 0, v104
	v_and_b32_e32 v93, 7, v92
	s_delay_alu instid0(VALU_DEP_1) | instskip(NEXT) | instid1(VALU_DEP_1)
	v_clz_i32_u32_e32 v94, v93
	v_min_u32_e32 v94, 32, v94
	s_delay_alu instid0(VALU_DEP_1) | instskip(SKIP_1) | instid1(VALU_DEP_1)
	v_subrev_nc_u32_e32 v95, 28, v94
	v_sub_nc_u32_e32 v94, 29, v94
	v_dual_cndmask_b32 v94, v104, v94 :: v_dual_lshlrev_b32 v95, v95, v92
	s_delay_alu instid0(VALU_DEP_1) | instskip(NEXT) | instid1(VALU_DEP_2)
	v_and_b32_e32 v95, 7, v95
	v_lshl_add_u32 v94, v94, 23, 0x3b800000
	s_delay_alu instid0(VALU_DEP_2) | instskip(SKIP_1) | instid1(VALU_DEP_2)
	v_cndmask_b32_e32 v93, v93, v95, vcc_lo
	v_and_b32_e32 v95, 0x80000000, v105
	v_lshlrev_b32_e32 v93, 20, v93
	s_delay_alu instid0(VALU_DEP_1)
	v_or3_b32 v93, v95, v94, v93
.LBB6_4131:                             ;   in Loop: Header=BB6_4010 Depth=4
	s_or_b32 exec_lo, exec_lo, s37
	s_waitcnt vmcnt(27) lgkmcnt(27)
	v_and_b32_e32 v95, 0xff, v36
	s_mov_b32 s13, 0
	s_mov_b32 s38, exec_lo
                                        ; implicit-def: $sgpr37
	s_delay_alu instid0(VALU_DEP_1)
	v_cmpx_lt_i16_e32 0x7f, v95
	s_xor_b32 s38, exec_lo, s38
	s_cbranch_execnz .LBB6_5004
; %bb.4132:                             ;   in Loop: Header=BB6_4010 Depth=4
	s_or_saveexec_b32 s38, s38
	v_mov_b32_e32 v94, s37
	s_xor_b32 exec_lo, exec_lo, s38
	s_cbranch_execnz .LBB6_5007
.LBB6_4133:                             ;   in Loop: Header=BB6_4010 Depth=4
	s_or_b32 exec_lo, exec_lo, s38
	s_and_saveexec_b32 s37, s13
	s_cbranch_execz .LBB6_4135
.LBB6_4134:                             ;   in Loop: Header=BB6_4010 Depth=4
	v_lshrrev_b16 v105, 3, v36
	v_lshlrev_b32_e32 v106, 24, v36
	s_delay_alu instid0(VALU_DEP_2) | instskip(NEXT) | instid1(VALU_DEP_1)
	v_and_b32_e32 v105, 15, v105
	v_cmp_eq_u32_e32 vcc_lo, 0, v105
	v_and_b32_e32 v94, 7, v36
	s_delay_alu instid0(VALU_DEP_1) | instskip(NEXT) | instid1(VALU_DEP_1)
	v_clz_i32_u32_e32 v95, v94
	v_min_u32_e32 v95, 32, v95
	s_delay_alu instid0(VALU_DEP_1) | instskip(SKIP_1) | instid1(VALU_DEP_1)
	v_subrev_nc_u32_e32 v104, 28, v95
	v_sub_nc_u32_e32 v95, 29, v95
	v_dual_cndmask_b32 v95, v105, v95 :: v_dual_lshlrev_b32 v104, v104, v36
	s_delay_alu instid0(VALU_DEP_1) | instskip(NEXT) | instid1(VALU_DEP_2)
	v_and_b32_e32 v104, 7, v104
	v_lshl_add_u32 v95, v95, 23, 0x3b800000
	s_delay_alu instid0(VALU_DEP_2) | instskip(SKIP_1) | instid1(VALU_DEP_2)
	v_cndmask_b32_e32 v94, v94, v104, vcc_lo
	v_and_b32_e32 v104, 0x80000000, v106
	v_lshlrev_b32_e32 v94, 20, v94
	s_delay_alu instid0(VALU_DEP_1)
	v_or3_b32 v94, v104, v95, v94
.LBB6_4135:                             ;   in Loop: Header=BB6_4010 Depth=4
	s_or_b32 exec_lo, exec_lo, s37
	s_delay_alu instid0(VALU_DEP_1) | instskip(SKIP_1) | instid1(VALU_DEP_1)
	v_dual_max_f32 v94, v94, v94 :: v_dual_max_f32 v93, v93, v93
	s_mov_b32 s13, 0
	v_max_f32_e32 v93, v93, v94
	s_branch .LBB6_4137
.LBB6_4136:                             ;   in Loop: Header=BB6_4010 Depth=4
	s_mov_b32 s13, -1
                                        ; implicit-def: $vgpr93
.LBB6_4137:                             ;   in Loop: Header=BB6_4010 Depth=4
	s_delay_alu instid0(SALU_CYCLE_1)
	s_and_b32 vcc_lo, exec_lo, s13
	s_cbranch_vccz .LBB6_4147
; %bb.4138:                             ;   in Loop: Header=BB6_4010 Depth=4
	v_and_b32_e32 v94, 0xff, v92
	s_mov_b32 s13, 0
	s_mov_b32 s38, exec_lo
                                        ; implicit-def: $sgpr37
	s_delay_alu instid0(VALU_DEP_1)
	v_cmpx_lt_i16_e32 0x7f, v94
	s_xor_b32 s38, exec_lo, s38
	s_cbranch_execnz .LBB6_5008
; %bb.4139:                             ;   in Loop: Header=BB6_4010 Depth=4
	s_or_saveexec_b32 s38, s38
	v_mov_b32_e32 v93, s37
	s_xor_b32 exec_lo, exec_lo, s38
	s_cbranch_execnz .LBB6_5011
.LBB6_4140:                             ;   in Loop: Header=BB6_4010 Depth=4
	s_or_b32 exec_lo, exec_lo, s38
	s_and_saveexec_b32 s37, s13
	s_cbranch_execz .LBB6_4142
.LBB6_4141:                             ;   in Loop: Header=BB6_4010 Depth=4
	v_lshrrev_b16 v104, 3, v92
	s_delay_alu instid0(VALU_DEP_1) | instskip(NEXT) | instid1(VALU_DEP_1)
	v_and_b32_e32 v104, 15, v104
	v_cmp_eq_u32_e32 vcc_lo, 0, v104
	v_and_b32_e32 v93, 7, v92
	s_delay_alu instid0(VALU_DEP_1) | instskip(NEXT) | instid1(VALU_DEP_1)
	v_clz_i32_u32_e32 v94, v93
	v_min_u32_e32 v94, 32, v94
	s_delay_alu instid0(VALU_DEP_1) | instskip(SKIP_1) | instid1(VALU_DEP_1)
	v_subrev_nc_u32_e32 v95, 28, v94
	v_sub_nc_u32_e32 v94, 29, v94
	v_dual_cndmask_b32 v94, v104, v94 :: v_dual_lshlrev_b32 v95, v95, v92
	v_lshlrev_b32_e32 v92, 24, v92
	s_delay_alu instid0(VALU_DEP_2) | instskip(NEXT) | instid1(VALU_DEP_3)
	v_and_b32_e32 v95, 7, v95
	v_lshl_add_u32 v94, v94, 23, 0x3b800000
	s_delay_alu instid0(VALU_DEP_2) | instskip(NEXT) | instid1(VALU_DEP_1)
	v_dual_cndmask_b32 v93, v93, v95 :: v_dual_and_b32 v92, 0x80000000, v92
	v_lshlrev_b32_e32 v93, 20, v93
	s_delay_alu instid0(VALU_DEP_1)
	v_or3_b32 v93, v92, v94, v93
.LBB6_4142:                             ;   in Loop: Header=BB6_4010 Depth=4
	s_or_b32 exec_lo, exec_lo, s37
	s_waitcnt vmcnt(27) lgkmcnt(27)
	v_and_b32_e32 v94, 0xff, v36
	s_mov_b32 s13, 0
	s_mov_b32 s38, exec_lo
                                        ; implicit-def: $sgpr37
	s_delay_alu instid0(VALU_DEP_1)
	v_cmpx_lt_i16_e32 0x7f, v94
	s_xor_b32 s38, exec_lo, s38
	s_cbranch_execnz .LBB6_5012
; %bb.4143:                             ;   in Loop: Header=BB6_4010 Depth=4
	s_or_saveexec_b32 s38, s38
	v_mov_b32_e32 v92, s37
	s_xor_b32 exec_lo, exec_lo, s38
	s_cbranch_execnz .LBB6_5015
.LBB6_4144:                             ;   in Loop: Header=BB6_4010 Depth=4
	s_or_b32 exec_lo, exec_lo, s38
	s_and_saveexec_b32 s37, s13
	s_cbranch_execz .LBB6_4146
.LBB6_4145:                             ;   in Loop: Header=BB6_4010 Depth=4
	v_and_b32_e32 v92, 7, v36
	v_lshrrev_b16 v104, 3, v36
	s_delay_alu instid0(VALU_DEP_2) | instskip(NEXT) | instid1(VALU_DEP_2)
	v_clz_i32_u32_e32 v94, v92
	v_and_b32_e32 v104, 15, v104
	s_delay_alu instid0(VALU_DEP_2) | instskip(NEXT) | instid1(VALU_DEP_2)
	v_min_u32_e32 v94, 32, v94
	v_cmp_eq_u32_e32 vcc_lo, 0, v104
	s_delay_alu instid0(VALU_DEP_2) | instskip(SKIP_1) | instid1(VALU_DEP_1)
	v_subrev_nc_u32_e32 v95, 28, v94
	v_sub_nc_u32_e32 v94, 29, v94
	v_dual_cndmask_b32 v94, v104, v94 :: v_dual_lshlrev_b32 v95, v95, v36
	v_lshlrev_b32_e32 v36, 24, v36
	s_delay_alu instid0(VALU_DEP_2) | instskip(NEXT) | instid1(VALU_DEP_3)
	v_and_b32_e32 v95, 7, v95
	v_lshl_add_u32 v94, v94, 23, 0x3b800000
	s_delay_alu instid0(VALU_DEP_3) | instskip(NEXT) | instid1(VALU_DEP_3)
	v_and_b32_e32 v36, 0x80000000, v36
	v_cndmask_b32_e32 v92, v92, v95, vcc_lo
	s_delay_alu instid0(VALU_DEP_1) | instskip(NEXT) | instid1(VALU_DEP_1)
	v_lshlrev_b32_e32 v92, 20, v92
	v_or3_b32 v92, v36, v94, v92
.LBB6_4146:                             ;   in Loop: Header=BB6_4010 Depth=4
	s_or_b32 exec_lo, exec_lo, s37
	s_delay_alu instid0(VALU_DEP_1) | instskip(SKIP_1) | instid1(VALU_DEP_1)
	v_max_f32_e32 v36, v92, v92
	v_max_f32_e32 v92, v93, v93
	v_min_f32_e32 v93, v92, v36
.LBB6_4147:                             ;   in Loop: Header=BB6_4010 Depth=4
	s_waitcnt vmcnt(27) lgkmcnt(27)
	s_delay_alu instid0(VALU_DEP_1) | instskip(NEXT) | instid1(VALU_DEP_1)
	v_and_b32_e32 v36, 0x7f800000, v93
	v_cmp_ne_u32_e32 vcc_lo, 0x7f800000, v36
	v_mov_b32_e32 v36, 0x80
	s_and_saveexec_b32 s37, vcc_lo
	s_cbranch_execz .LBB6_4155
; %bb.4148:                             ;   in Loop: Header=BB6_4010 Depth=4
	v_mov_b32_e32 v36, 0
	s_mov_b32 s38, exec_lo
	v_cmpx_ne_u32_e32 0, v93
	s_cbranch_execz .LBB6_4154
; %bb.4149:                             ;   in Loop: Header=BB6_4010 Depth=4
	v_bfe_u32 v36, v93, 23, 8
	v_and_b32_e32 v92, 0x7fffff, v93
	s_delay_alu instid0(VALU_DEP_2) | instskip(SKIP_1) | instid1(VALU_DEP_3)
	v_sub_nc_u32_e32 v94, 0x78, v36
	v_cmp_gt_u32_e32 vcc_lo, 0x79, v36
	v_or_b32_e32 v95, 0x800000, v92
	s_delay_alu instid0(VALU_DEP_3) | instskip(SKIP_2) | instid1(VALU_DEP_3)
	v_cndmask_b32_e32 v94, 0, v94, vcc_lo
	v_cmp_eq_u32_e32 vcc_lo, 0, v36
	v_add_nc_u32_e32 v36, 0xffffff89, v36
	v_cndmask_b32_e64 v94, v94, 0x77, vcc_lo
	v_cndmask_b32_e32 v92, v95, v92, vcc_lo
	s_delay_alu instid0(VALU_DEP_3) | instskip(NEXT) | instid1(VALU_DEP_3)
	v_cndmask_b32_e64 v36, v36, 0xffffff8a, vcc_lo
	v_lshl_add_u32 v95, 0x100000, v94, -1
	s_delay_alu instid0(VALU_DEP_3) | instskip(SKIP_1) | instid1(VALU_DEP_4)
	v_lshrrev_b32_e32 v104, v94, v92
	v_lshlrev_b32_e64 v106, v94, 0x80000
	v_add_nc_u32_e32 v94, v94, v36
	s_delay_alu instid0(VALU_DEP_4) | instskip(NEXT) | instid1(VALU_DEP_4)
	v_and_b32_e32 v92, v95, v92
	v_bfe_u32 v105, v104, 20, 1
	s_delay_alu instid0(VALU_DEP_2) | instskip(NEXT) | instid1(VALU_DEP_2)
	v_cmp_eq_u32_e64 s13, v92, v106
	v_add_nc_u32_e32 v95, -1, v105
	s_delay_alu instid0(VALU_DEP_1) | instskip(SKIP_2) | instid1(VALU_DEP_2)
	v_cndmask_b32_e64 v92, 0, v95, s13
	v_lshrrev_b32_e32 v95, 23, v104
	s_mov_b32 s13, exec_lo
	v_add_nc_u32_e32 v92, v92, v104
	s_delay_alu instid0(VALU_DEP_2) | instskip(NEXT) | instid1(VALU_DEP_2)
	v_xor_b32_e32 v95, 1, v95
	v_and_b32_e32 v36, 0xfffff, v92
	s_delay_alu instid0(VALU_DEP_1) | instskip(NEXT) | instid1(VALU_DEP_3)
	v_add_nc_u32_e32 v92, v36, v104
                                        ; implicit-def: $vgpr36
	v_cmpx_ne_u32_e64 v94, v95
	s_xor_b32 s13, exec_lo, s13
; %bb.4150:                             ;   in Loop: Header=BB6_4010 Depth=4
	s_delay_alu instid0(VALU_DEP_2) | instskip(SKIP_2) | instid1(VALU_DEP_2)
	v_cmp_lt_u32_e32 vcc_lo, 0xffffff, v92
	v_sub_nc_u32_e32 v36, v94, v95
	v_cndmask_b32_e64 v94, 0, 1, vcc_lo
	v_add_co_ci_u32_e32 v36, vcc_lo, 0, v36, vcc_lo
	s_delay_alu instid0(VALU_DEP_2)
	v_lshrrev_b32_e32 v92, v94, v92
; %bb.4151:                             ;   in Loop: Header=BB6_4010 Depth=4
	s_and_not1_saveexec_b32 s13, s13
; %bb.4152:                             ;   in Loop: Header=BB6_4010 Depth=4
	s_delay_alu instid0(VALU_DEP_1)
	v_bfe_u32 v36, v92, 23, 1
; %bb.4153:                             ;   in Loop: Header=BB6_4010 Depth=4
	s_or_b32 exec_lo, exec_lo, s13
	v_lshrrev_b32_e32 v92, 20, v92
	s_delay_alu instid0(VALU_DEP_2) | instskip(SKIP_2) | instid1(VALU_DEP_2)
	v_cmp_gt_i32_e32 vcc_lo, 16, v36
	v_lshrrev_b32_e32 v93, 24, v93
	v_min_i32_e32 v94, 15, v36
	v_dual_cndmask_b32 v92, 7, v92 :: v_dual_and_b32 v93, 0x80, v93
	s_delay_alu instid0(VALU_DEP_2) | instskip(NEXT) | instid1(VALU_DEP_2)
	v_lshlrev_b32_e32 v94, 3, v94
	v_and_b32_e32 v95, 7, v92
	v_or_b32_e32 v36, v36, v92
	s_delay_alu instid0(VALU_DEP_2) | instskip(NEXT) | instid1(VALU_DEP_2)
	v_or3_b32 v92, v94, v93, v95
	v_cmp_ne_u32_e32 vcc_lo, 0, v36
	s_delay_alu instid0(VALU_DEP_2)
	v_cndmask_b32_e32 v36, 0, v92, vcc_lo
.LBB6_4154:                             ;   in Loop: Header=BB6_4010 Depth=4
	s_or_b32 exec_lo, exec_lo, s38
.LBB6_4155:                             ;   in Loop: Header=BB6_4010 Depth=4
	s_delay_alu instid0(SALU_CYCLE_1) | instskip(NEXT) | instid1(SALU_CYCLE_1)
	s_or_b32 exec_lo, exec_lo, s37
	s_and_not1_b32 vcc_lo, exec_lo, s35
	s_cbranch_vccnz .LBB6_4165
; %bb.4156:                             ;   in Loop: Header=BB6_4010 Depth=4
	v_and_b32_e32 v93, 0xff, v91
	s_mov_b32 s13, 0
	s_mov_b32 s38, exec_lo
                                        ; implicit-def: $sgpr37
	s_delay_alu instid0(VALU_DEP_1)
	v_cmpx_lt_i16_e32 0x7f, v93
	s_xor_b32 s38, exec_lo, s38
	s_cbranch_execnz .LBB6_5016
; %bb.4157:                             ;   in Loop: Header=BB6_4010 Depth=4
	s_or_saveexec_b32 s38, s38
	v_mov_b32_e32 v92, s37
	s_xor_b32 exec_lo, exec_lo, s38
	s_cbranch_execnz .LBB6_5019
.LBB6_4158:                             ;   in Loop: Header=BB6_4010 Depth=4
	s_or_b32 exec_lo, exec_lo, s38
	s_and_saveexec_b32 s37, s13
	s_cbranch_execz .LBB6_4160
.LBB6_4159:                             ;   in Loop: Header=BB6_4010 Depth=4
	v_lshrrev_b16 v95, 3, v91
	v_lshlrev_b32_e32 v104, 24, v91
	s_delay_alu instid0(VALU_DEP_2) | instskip(NEXT) | instid1(VALU_DEP_1)
	v_and_b32_e32 v95, 15, v95
	v_cmp_eq_u32_e32 vcc_lo, 0, v95
	v_and_b32_e32 v92, 7, v91
	s_delay_alu instid0(VALU_DEP_1) | instskip(NEXT) | instid1(VALU_DEP_1)
	v_clz_i32_u32_e32 v93, v92
	v_min_u32_e32 v93, 32, v93
	s_delay_alu instid0(VALU_DEP_1) | instskip(SKIP_1) | instid1(VALU_DEP_1)
	v_subrev_nc_u32_e32 v94, 28, v93
	v_sub_nc_u32_e32 v93, 29, v93
	v_dual_cndmask_b32 v93, v95, v93 :: v_dual_lshlrev_b32 v94, v94, v91
	s_delay_alu instid0(VALU_DEP_1) | instskip(NEXT) | instid1(VALU_DEP_2)
	v_and_b32_e32 v94, 7, v94
	v_lshl_add_u32 v93, v93, 23, 0x3b800000
	s_delay_alu instid0(VALU_DEP_2) | instskip(SKIP_1) | instid1(VALU_DEP_2)
	v_cndmask_b32_e32 v92, v92, v94, vcc_lo
	v_and_b32_e32 v94, 0x80000000, v104
	v_lshlrev_b32_e32 v92, 20, v92
	s_delay_alu instid0(VALU_DEP_1)
	v_or3_b32 v92, v94, v93, v92
.LBB6_4160:                             ;   in Loop: Header=BB6_4010 Depth=4
	s_or_b32 exec_lo, exec_lo, s37
	s_waitcnt vmcnt(26) lgkmcnt(26)
	v_and_b32_e32 v94, 0xff, v39
	s_mov_b32 s13, 0
	s_mov_b32 s38, exec_lo
                                        ; implicit-def: $sgpr37
	s_delay_alu instid0(VALU_DEP_1)
	v_cmpx_lt_i16_e32 0x7f, v94
	s_xor_b32 s38, exec_lo, s38
	s_cbranch_execnz .LBB6_5020
; %bb.4161:                             ;   in Loop: Header=BB6_4010 Depth=4
	s_or_saveexec_b32 s38, s38
	v_mov_b32_e32 v93, s37
	s_xor_b32 exec_lo, exec_lo, s38
	s_cbranch_execnz .LBB6_5023
.LBB6_4162:                             ;   in Loop: Header=BB6_4010 Depth=4
	s_or_b32 exec_lo, exec_lo, s38
	s_and_saveexec_b32 s37, s13
	s_cbranch_execz .LBB6_4164
.LBB6_4163:                             ;   in Loop: Header=BB6_4010 Depth=4
	v_lshrrev_b16 v104, 3, v39
	v_lshlrev_b32_e32 v105, 24, v39
	s_delay_alu instid0(VALU_DEP_2) | instskip(NEXT) | instid1(VALU_DEP_1)
	v_and_b32_e32 v104, 15, v104
	v_cmp_eq_u32_e32 vcc_lo, 0, v104
	v_and_b32_e32 v93, 7, v39
	s_delay_alu instid0(VALU_DEP_1) | instskip(NEXT) | instid1(VALU_DEP_1)
	v_clz_i32_u32_e32 v94, v93
	v_min_u32_e32 v94, 32, v94
	s_delay_alu instid0(VALU_DEP_1) | instskip(SKIP_1) | instid1(VALU_DEP_1)
	v_subrev_nc_u32_e32 v95, 28, v94
	v_sub_nc_u32_e32 v94, 29, v94
	v_dual_cndmask_b32 v94, v104, v94 :: v_dual_lshlrev_b32 v95, v95, v39
	s_delay_alu instid0(VALU_DEP_1) | instskip(NEXT) | instid1(VALU_DEP_2)
	v_and_b32_e32 v95, 7, v95
	v_lshl_add_u32 v94, v94, 23, 0x3b800000
	s_delay_alu instid0(VALU_DEP_2) | instskip(SKIP_1) | instid1(VALU_DEP_2)
	v_cndmask_b32_e32 v93, v93, v95, vcc_lo
	v_and_b32_e32 v95, 0x80000000, v105
	v_lshlrev_b32_e32 v93, 20, v93
	s_delay_alu instid0(VALU_DEP_1)
	v_or3_b32 v93, v95, v94, v93
.LBB6_4164:                             ;   in Loop: Header=BB6_4010 Depth=4
	s_or_b32 exec_lo, exec_lo, s37
	s_delay_alu instid0(VALU_DEP_1) | instskip(SKIP_1) | instid1(VALU_DEP_1)
	v_dual_max_f32 v93, v93, v93 :: v_dual_max_f32 v92, v92, v92
	s_mov_b32 s13, 0
	v_max_f32_e32 v92, v92, v93
	s_branch .LBB6_4166
.LBB6_4165:                             ;   in Loop: Header=BB6_4010 Depth=4
	s_mov_b32 s13, -1
                                        ; implicit-def: $vgpr92
.LBB6_4166:                             ;   in Loop: Header=BB6_4010 Depth=4
	s_delay_alu instid0(SALU_CYCLE_1)
	s_and_b32 vcc_lo, exec_lo, s13
	s_cbranch_vccz .LBB6_4176
; %bb.4167:                             ;   in Loop: Header=BB6_4010 Depth=4
	v_and_b32_e32 v93, 0xff, v91
	s_mov_b32 s13, 0
	s_mov_b32 s38, exec_lo
                                        ; implicit-def: $sgpr37
	s_delay_alu instid0(VALU_DEP_1)
	v_cmpx_lt_i16_e32 0x7f, v93
	s_xor_b32 s38, exec_lo, s38
	s_cbranch_execnz .LBB6_5024
; %bb.4168:                             ;   in Loop: Header=BB6_4010 Depth=4
	s_or_saveexec_b32 s38, s38
	v_mov_b32_e32 v92, s37
	s_xor_b32 exec_lo, exec_lo, s38
	s_cbranch_execnz .LBB6_5027
.LBB6_4169:                             ;   in Loop: Header=BB6_4010 Depth=4
	s_or_b32 exec_lo, exec_lo, s38
	s_and_saveexec_b32 s37, s13
	s_cbranch_execz .LBB6_4171
.LBB6_4170:                             ;   in Loop: Header=BB6_4010 Depth=4
	v_lshrrev_b16 v95, 3, v91
	s_delay_alu instid0(VALU_DEP_1) | instskip(NEXT) | instid1(VALU_DEP_1)
	v_and_b32_e32 v95, 15, v95
	v_cmp_eq_u32_e32 vcc_lo, 0, v95
	v_and_b32_e32 v92, 7, v91
	s_delay_alu instid0(VALU_DEP_1) | instskip(NEXT) | instid1(VALU_DEP_1)
	v_clz_i32_u32_e32 v93, v92
	v_min_u32_e32 v93, 32, v93
	s_delay_alu instid0(VALU_DEP_1) | instskip(SKIP_1) | instid1(VALU_DEP_1)
	v_subrev_nc_u32_e32 v94, 28, v93
	v_sub_nc_u32_e32 v93, 29, v93
	v_dual_cndmask_b32 v93, v95, v93 :: v_dual_lshlrev_b32 v94, v94, v91
	v_lshlrev_b32_e32 v91, 24, v91
	s_delay_alu instid0(VALU_DEP_2) | instskip(NEXT) | instid1(VALU_DEP_3)
	v_and_b32_e32 v94, 7, v94
	v_lshl_add_u32 v93, v93, 23, 0x3b800000
	s_delay_alu instid0(VALU_DEP_2) | instskip(NEXT) | instid1(VALU_DEP_1)
	v_dual_cndmask_b32 v92, v92, v94 :: v_dual_and_b32 v91, 0x80000000, v91
	v_lshlrev_b32_e32 v92, 20, v92
	s_delay_alu instid0(VALU_DEP_1)
	v_or3_b32 v92, v91, v93, v92
.LBB6_4171:                             ;   in Loop: Header=BB6_4010 Depth=4
	s_or_b32 exec_lo, exec_lo, s37
	s_waitcnt vmcnt(26) lgkmcnt(26)
	v_and_b32_e32 v93, 0xff, v39
	s_mov_b32 s13, 0
	s_mov_b32 s38, exec_lo
                                        ; implicit-def: $sgpr37
	s_delay_alu instid0(VALU_DEP_1)
	v_cmpx_lt_i16_e32 0x7f, v93
	s_xor_b32 s38, exec_lo, s38
	s_cbranch_execnz .LBB6_5028
; %bb.4172:                             ;   in Loop: Header=BB6_4010 Depth=4
	s_or_saveexec_b32 s38, s38
	v_mov_b32_e32 v91, s37
	s_xor_b32 exec_lo, exec_lo, s38
	s_cbranch_execnz .LBB6_5031
.LBB6_4173:                             ;   in Loop: Header=BB6_4010 Depth=4
	s_or_b32 exec_lo, exec_lo, s38
	s_and_saveexec_b32 s37, s13
	s_cbranch_execz .LBB6_4175
.LBB6_4174:                             ;   in Loop: Header=BB6_4010 Depth=4
	v_and_b32_e32 v91, 7, v39
	v_lshrrev_b16 v95, 3, v39
	s_delay_alu instid0(VALU_DEP_2) | instskip(NEXT) | instid1(VALU_DEP_2)
	v_clz_i32_u32_e32 v93, v91
	v_and_b32_e32 v95, 15, v95
	s_delay_alu instid0(VALU_DEP_2) | instskip(NEXT) | instid1(VALU_DEP_2)
	v_min_u32_e32 v93, 32, v93
	v_cmp_eq_u32_e32 vcc_lo, 0, v95
	s_delay_alu instid0(VALU_DEP_2) | instskip(SKIP_1) | instid1(VALU_DEP_1)
	v_subrev_nc_u32_e32 v94, 28, v93
	v_sub_nc_u32_e32 v93, 29, v93
	v_dual_cndmask_b32 v93, v95, v93 :: v_dual_lshlrev_b32 v94, v94, v39
	v_lshlrev_b32_e32 v39, 24, v39
	s_delay_alu instid0(VALU_DEP_2) | instskip(NEXT) | instid1(VALU_DEP_3)
	v_and_b32_e32 v94, 7, v94
	v_lshl_add_u32 v93, v93, 23, 0x3b800000
	s_delay_alu instid0(VALU_DEP_3) | instskip(NEXT) | instid1(VALU_DEP_3)
	v_and_b32_e32 v39, 0x80000000, v39
	v_cndmask_b32_e32 v91, v91, v94, vcc_lo
	s_delay_alu instid0(VALU_DEP_1) | instskip(NEXT) | instid1(VALU_DEP_1)
	v_lshlrev_b32_e32 v91, 20, v91
	v_or3_b32 v91, v39, v93, v91
.LBB6_4175:                             ;   in Loop: Header=BB6_4010 Depth=4
	s_or_b32 exec_lo, exec_lo, s37
	s_delay_alu instid0(VALU_DEP_1) | instskip(SKIP_1) | instid1(VALU_DEP_1)
	v_max_f32_e32 v39, v91, v91
	v_max_f32_e32 v91, v92, v92
	v_min_f32_e32 v92, v91, v39
.LBB6_4176:                             ;   in Loop: Header=BB6_4010 Depth=4
	s_waitcnt vmcnt(26) lgkmcnt(26)
	s_delay_alu instid0(VALU_DEP_1) | instskip(NEXT) | instid1(VALU_DEP_1)
	v_and_b32_e32 v39, 0x7f800000, v92
	v_cmp_ne_u32_e32 vcc_lo, 0x7f800000, v39
	v_mov_b32_e32 v39, 0x80
	s_and_saveexec_b32 s37, vcc_lo
	s_cbranch_execz .LBB6_4184
; %bb.4177:                             ;   in Loop: Header=BB6_4010 Depth=4
	v_mov_b32_e32 v39, 0
	s_mov_b32 s38, exec_lo
	v_cmpx_ne_u32_e32 0, v92
	s_cbranch_execz .LBB6_4183
; %bb.4178:                             ;   in Loop: Header=BB6_4010 Depth=4
	v_bfe_u32 v39, v92, 23, 8
	v_and_b32_e32 v91, 0x7fffff, v92
	s_delay_alu instid0(VALU_DEP_2) | instskip(SKIP_1) | instid1(VALU_DEP_3)
	v_sub_nc_u32_e32 v93, 0x78, v39
	v_cmp_gt_u32_e32 vcc_lo, 0x79, v39
	v_or_b32_e32 v94, 0x800000, v91
	s_delay_alu instid0(VALU_DEP_3) | instskip(SKIP_2) | instid1(VALU_DEP_3)
	v_cndmask_b32_e32 v93, 0, v93, vcc_lo
	v_cmp_eq_u32_e32 vcc_lo, 0, v39
	v_add_nc_u32_e32 v39, 0xffffff89, v39
	v_cndmask_b32_e64 v93, v93, 0x77, vcc_lo
	v_cndmask_b32_e32 v91, v94, v91, vcc_lo
	s_delay_alu instid0(VALU_DEP_3) | instskip(NEXT) | instid1(VALU_DEP_3)
	v_cndmask_b32_e64 v39, v39, 0xffffff8a, vcc_lo
	v_lshl_add_u32 v94, 0x100000, v93, -1
	s_delay_alu instid0(VALU_DEP_3) | instskip(SKIP_1) | instid1(VALU_DEP_4)
	v_lshrrev_b32_e32 v95, v93, v91
	v_lshlrev_b32_e64 v105, v93, 0x80000
	v_add_nc_u32_e32 v93, v93, v39
	s_delay_alu instid0(VALU_DEP_4) | instskip(NEXT) | instid1(VALU_DEP_4)
	v_and_b32_e32 v91, v94, v91
	v_bfe_u32 v104, v95, 20, 1
	s_delay_alu instid0(VALU_DEP_2) | instskip(NEXT) | instid1(VALU_DEP_2)
	v_cmp_eq_u32_e64 s13, v91, v105
	v_add_nc_u32_e32 v94, -1, v104
	s_delay_alu instid0(VALU_DEP_1) | instskip(SKIP_2) | instid1(VALU_DEP_2)
	v_cndmask_b32_e64 v91, 0, v94, s13
	v_lshrrev_b32_e32 v94, 23, v95
	s_mov_b32 s13, exec_lo
	v_add_nc_u32_e32 v91, v91, v95
	s_delay_alu instid0(VALU_DEP_2) | instskip(NEXT) | instid1(VALU_DEP_2)
	v_xor_b32_e32 v94, 1, v94
	v_and_b32_e32 v39, 0xfffff, v91
	s_delay_alu instid0(VALU_DEP_1) | instskip(NEXT) | instid1(VALU_DEP_3)
	v_add_nc_u32_e32 v91, v39, v95
                                        ; implicit-def: $vgpr39
	v_cmpx_ne_u32_e64 v93, v94
	s_xor_b32 s13, exec_lo, s13
; %bb.4179:                             ;   in Loop: Header=BB6_4010 Depth=4
	s_delay_alu instid0(VALU_DEP_2) | instskip(SKIP_2) | instid1(VALU_DEP_2)
	v_cmp_lt_u32_e32 vcc_lo, 0xffffff, v91
	v_sub_nc_u32_e32 v39, v93, v94
	v_cndmask_b32_e64 v93, 0, 1, vcc_lo
	v_add_co_ci_u32_e32 v39, vcc_lo, 0, v39, vcc_lo
	s_delay_alu instid0(VALU_DEP_2)
	v_lshrrev_b32_e32 v91, v93, v91
; %bb.4180:                             ;   in Loop: Header=BB6_4010 Depth=4
	s_and_not1_saveexec_b32 s13, s13
; %bb.4181:                             ;   in Loop: Header=BB6_4010 Depth=4
	s_delay_alu instid0(VALU_DEP_1)
	v_bfe_u32 v39, v91, 23, 1
; %bb.4182:                             ;   in Loop: Header=BB6_4010 Depth=4
	s_or_b32 exec_lo, exec_lo, s13
	v_lshrrev_b32_e32 v91, 20, v91
	s_delay_alu instid0(VALU_DEP_2) | instskip(SKIP_2) | instid1(VALU_DEP_2)
	v_cmp_gt_i32_e32 vcc_lo, 16, v39
	v_lshrrev_b32_e32 v92, 24, v92
	v_min_i32_e32 v93, 15, v39
	v_dual_cndmask_b32 v91, 7, v91 :: v_dual_and_b32 v92, 0x80, v92
	s_delay_alu instid0(VALU_DEP_2) | instskip(NEXT) | instid1(VALU_DEP_2)
	v_lshlrev_b32_e32 v93, 3, v93
	v_and_b32_e32 v94, 7, v91
	v_or_b32_e32 v39, v39, v91
	s_delay_alu instid0(VALU_DEP_2) | instskip(NEXT) | instid1(VALU_DEP_2)
	v_or3_b32 v91, v93, v92, v94
	v_cmp_ne_u32_e32 vcc_lo, 0, v39
	s_delay_alu instid0(VALU_DEP_2)
	v_cndmask_b32_e32 v39, 0, v91, vcc_lo
.LBB6_4183:                             ;   in Loop: Header=BB6_4010 Depth=4
	s_or_b32 exec_lo, exec_lo, s38
.LBB6_4184:                             ;   in Loop: Header=BB6_4010 Depth=4
	s_delay_alu instid0(SALU_CYCLE_1) | instskip(NEXT) | instid1(SALU_CYCLE_1)
	s_or_b32 exec_lo, exec_lo, s37
	s_and_not1_b32 vcc_lo, exec_lo, s35
	s_cbranch_vccnz .LBB6_4194
; %bb.4185:                             ;   in Loop: Header=BB6_4010 Depth=4
	v_and_b32_e32 v92, 0xff, v90
	s_mov_b32 s13, 0
	s_mov_b32 s38, exec_lo
                                        ; implicit-def: $sgpr37
	s_delay_alu instid0(VALU_DEP_1)
	v_cmpx_lt_i16_e32 0x7f, v92
	s_xor_b32 s38, exec_lo, s38
	s_cbranch_execnz .LBB6_5032
; %bb.4186:                             ;   in Loop: Header=BB6_4010 Depth=4
	s_or_saveexec_b32 s38, s38
	v_mov_b32_e32 v91, s37
	s_xor_b32 exec_lo, exec_lo, s38
	s_cbranch_execnz .LBB6_5035
.LBB6_4187:                             ;   in Loop: Header=BB6_4010 Depth=4
	s_or_b32 exec_lo, exec_lo, s38
	s_and_saveexec_b32 s37, s13
	s_cbranch_execz .LBB6_4189
.LBB6_4188:                             ;   in Loop: Header=BB6_4010 Depth=4
	v_lshrrev_b16 v94, 3, v90
	v_lshlrev_b32_e32 v95, 24, v90
	s_delay_alu instid0(VALU_DEP_2) | instskip(NEXT) | instid1(VALU_DEP_1)
	v_and_b32_e32 v94, 15, v94
	v_cmp_eq_u32_e32 vcc_lo, 0, v94
	v_and_b32_e32 v91, 7, v90
	s_delay_alu instid0(VALU_DEP_1) | instskip(NEXT) | instid1(VALU_DEP_1)
	v_clz_i32_u32_e32 v92, v91
	v_min_u32_e32 v92, 32, v92
	s_delay_alu instid0(VALU_DEP_1) | instskip(SKIP_1) | instid1(VALU_DEP_1)
	v_subrev_nc_u32_e32 v93, 28, v92
	v_sub_nc_u32_e32 v92, 29, v92
	v_dual_cndmask_b32 v92, v94, v92 :: v_dual_lshlrev_b32 v93, v93, v90
	s_delay_alu instid0(VALU_DEP_1) | instskip(NEXT) | instid1(VALU_DEP_2)
	v_and_b32_e32 v93, 7, v93
	v_lshl_add_u32 v92, v92, 23, 0x3b800000
	s_delay_alu instid0(VALU_DEP_2) | instskip(SKIP_1) | instid1(VALU_DEP_2)
	v_cndmask_b32_e32 v91, v91, v93, vcc_lo
	v_and_b32_e32 v93, 0x80000000, v95
	v_lshlrev_b32_e32 v91, 20, v91
	s_delay_alu instid0(VALU_DEP_1)
	v_or3_b32 v91, v93, v92, v91
.LBB6_4189:                             ;   in Loop: Header=BB6_4010 Depth=4
	s_or_b32 exec_lo, exec_lo, s37
	s_waitcnt vmcnt(25) lgkmcnt(25)
	v_and_b32_e32 v93, 0xff, v50
	s_mov_b32 s13, 0
	s_mov_b32 s38, exec_lo
                                        ; implicit-def: $sgpr37
	s_delay_alu instid0(VALU_DEP_1)
	v_cmpx_lt_i16_e32 0x7f, v93
	s_xor_b32 s38, exec_lo, s38
	s_cbranch_execnz .LBB6_5036
; %bb.4190:                             ;   in Loop: Header=BB6_4010 Depth=4
	s_or_saveexec_b32 s38, s38
	v_mov_b32_e32 v92, s37
	s_xor_b32 exec_lo, exec_lo, s38
	s_cbranch_execnz .LBB6_5039
.LBB6_4191:                             ;   in Loop: Header=BB6_4010 Depth=4
	s_or_b32 exec_lo, exec_lo, s38
	s_and_saveexec_b32 s37, s13
	s_cbranch_execz .LBB6_4193
.LBB6_4192:                             ;   in Loop: Header=BB6_4010 Depth=4
	v_lshrrev_b16 v95, 3, v50
	v_lshlrev_b32_e32 v104, 24, v50
	s_delay_alu instid0(VALU_DEP_2) | instskip(NEXT) | instid1(VALU_DEP_1)
	v_and_b32_e32 v95, 15, v95
	v_cmp_eq_u32_e32 vcc_lo, 0, v95
	v_and_b32_e32 v92, 7, v50
	s_delay_alu instid0(VALU_DEP_1) | instskip(NEXT) | instid1(VALU_DEP_1)
	v_clz_i32_u32_e32 v93, v92
	v_min_u32_e32 v93, 32, v93
	s_delay_alu instid0(VALU_DEP_1) | instskip(SKIP_1) | instid1(VALU_DEP_1)
	v_subrev_nc_u32_e32 v94, 28, v93
	v_sub_nc_u32_e32 v93, 29, v93
	v_dual_cndmask_b32 v93, v95, v93 :: v_dual_lshlrev_b32 v94, v94, v50
	s_delay_alu instid0(VALU_DEP_1) | instskip(NEXT) | instid1(VALU_DEP_2)
	v_and_b32_e32 v94, 7, v94
	v_lshl_add_u32 v93, v93, 23, 0x3b800000
	s_delay_alu instid0(VALU_DEP_2) | instskip(SKIP_1) | instid1(VALU_DEP_2)
	v_cndmask_b32_e32 v92, v92, v94, vcc_lo
	v_and_b32_e32 v94, 0x80000000, v104
	v_lshlrev_b32_e32 v92, 20, v92
	s_delay_alu instid0(VALU_DEP_1)
	v_or3_b32 v92, v94, v93, v92
.LBB6_4193:                             ;   in Loop: Header=BB6_4010 Depth=4
	s_or_b32 exec_lo, exec_lo, s37
	s_delay_alu instid0(VALU_DEP_1) | instskip(SKIP_1) | instid1(VALU_DEP_1)
	v_dual_max_f32 v92, v92, v92 :: v_dual_max_f32 v91, v91, v91
	s_mov_b32 s13, 0
	v_max_f32_e32 v91, v91, v92
	s_branch .LBB6_4195
.LBB6_4194:                             ;   in Loop: Header=BB6_4010 Depth=4
	s_mov_b32 s13, -1
                                        ; implicit-def: $vgpr91
.LBB6_4195:                             ;   in Loop: Header=BB6_4010 Depth=4
	s_delay_alu instid0(SALU_CYCLE_1)
	s_and_b32 vcc_lo, exec_lo, s13
	s_cbranch_vccz .LBB6_4205
; %bb.4196:                             ;   in Loop: Header=BB6_4010 Depth=4
	v_and_b32_e32 v92, 0xff, v90
	s_mov_b32 s13, 0
	s_mov_b32 s38, exec_lo
                                        ; implicit-def: $sgpr37
	s_delay_alu instid0(VALU_DEP_1)
	v_cmpx_lt_i16_e32 0x7f, v92
	s_xor_b32 s38, exec_lo, s38
	s_cbranch_execnz .LBB6_5040
; %bb.4197:                             ;   in Loop: Header=BB6_4010 Depth=4
	s_or_saveexec_b32 s38, s38
	v_mov_b32_e32 v91, s37
	s_xor_b32 exec_lo, exec_lo, s38
	s_cbranch_execnz .LBB6_5043
.LBB6_4198:                             ;   in Loop: Header=BB6_4010 Depth=4
	s_or_b32 exec_lo, exec_lo, s38
	s_and_saveexec_b32 s37, s13
	s_cbranch_execz .LBB6_4200
.LBB6_4199:                             ;   in Loop: Header=BB6_4010 Depth=4
	v_lshrrev_b16 v94, 3, v90
	s_delay_alu instid0(VALU_DEP_1) | instskip(NEXT) | instid1(VALU_DEP_1)
	v_and_b32_e32 v94, 15, v94
	v_cmp_eq_u32_e32 vcc_lo, 0, v94
	v_and_b32_e32 v91, 7, v90
	s_delay_alu instid0(VALU_DEP_1) | instskip(NEXT) | instid1(VALU_DEP_1)
	v_clz_i32_u32_e32 v92, v91
	v_min_u32_e32 v92, 32, v92
	s_delay_alu instid0(VALU_DEP_1) | instskip(SKIP_1) | instid1(VALU_DEP_1)
	v_subrev_nc_u32_e32 v93, 28, v92
	v_sub_nc_u32_e32 v92, 29, v92
	v_dual_cndmask_b32 v92, v94, v92 :: v_dual_lshlrev_b32 v93, v93, v90
	v_lshlrev_b32_e32 v90, 24, v90
	s_delay_alu instid0(VALU_DEP_2) | instskip(NEXT) | instid1(VALU_DEP_3)
	v_and_b32_e32 v93, 7, v93
	v_lshl_add_u32 v92, v92, 23, 0x3b800000
	s_delay_alu instid0(VALU_DEP_2) | instskip(NEXT) | instid1(VALU_DEP_1)
	v_dual_cndmask_b32 v91, v91, v93 :: v_dual_and_b32 v90, 0x80000000, v90
	v_lshlrev_b32_e32 v91, 20, v91
	s_delay_alu instid0(VALU_DEP_1)
	v_or3_b32 v91, v90, v92, v91
.LBB6_4200:                             ;   in Loop: Header=BB6_4010 Depth=4
	s_or_b32 exec_lo, exec_lo, s37
	s_waitcnt vmcnt(25) lgkmcnt(25)
	v_and_b32_e32 v92, 0xff, v50
	s_mov_b32 s13, 0
	s_mov_b32 s38, exec_lo
                                        ; implicit-def: $sgpr37
	s_delay_alu instid0(VALU_DEP_1)
	v_cmpx_lt_i16_e32 0x7f, v92
	s_xor_b32 s38, exec_lo, s38
	s_cbranch_execnz .LBB6_5044
; %bb.4201:                             ;   in Loop: Header=BB6_4010 Depth=4
	s_or_saveexec_b32 s38, s38
	v_mov_b32_e32 v90, s37
	s_xor_b32 exec_lo, exec_lo, s38
	s_cbranch_execnz .LBB6_5047
.LBB6_4202:                             ;   in Loop: Header=BB6_4010 Depth=4
	s_or_b32 exec_lo, exec_lo, s38
	s_and_saveexec_b32 s37, s13
	s_cbranch_execz .LBB6_4204
.LBB6_4203:                             ;   in Loop: Header=BB6_4010 Depth=4
	v_and_b32_e32 v90, 7, v50
	v_lshrrev_b16 v94, 3, v50
	s_delay_alu instid0(VALU_DEP_2) | instskip(NEXT) | instid1(VALU_DEP_2)
	v_clz_i32_u32_e32 v92, v90
	v_and_b32_e32 v94, 15, v94
	s_delay_alu instid0(VALU_DEP_2) | instskip(NEXT) | instid1(VALU_DEP_2)
	v_min_u32_e32 v92, 32, v92
	v_cmp_eq_u32_e32 vcc_lo, 0, v94
	s_delay_alu instid0(VALU_DEP_2) | instskip(SKIP_1) | instid1(VALU_DEP_1)
	v_subrev_nc_u32_e32 v93, 28, v92
	v_sub_nc_u32_e32 v92, 29, v92
	v_dual_cndmask_b32 v92, v94, v92 :: v_dual_lshlrev_b32 v93, v93, v50
	v_lshlrev_b32_e32 v50, 24, v50
	s_delay_alu instid0(VALU_DEP_2) | instskip(NEXT) | instid1(VALU_DEP_3)
	v_and_b32_e32 v93, 7, v93
	v_lshl_add_u32 v92, v92, 23, 0x3b800000
	s_delay_alu instid0(VALU_DEP_3) | instskip(NEXT) | instid1(VALU_DEP_3)
	v_and_b32_e32 v50, 0x80000000, v50
	v_cndmask_b32_e32 v90, v90, v93, vcc_lo
	s_delay_alu instid0(VALU_DEP_1) | instskip(NEXT) | instid1(VALU_DEP_1)
	v_lshlrev_b32_e32 v90, 20, v90
	v_or3_b32 v90, v50, v92, v90
.LBB6_4204:                             ;   in Loop: Header=BB6_4010 Depth=4
	s_or_b32 exec_lo, exec_lo, s37
	s_delay_alu instid0(VALU_DEP_1) | instskip(SKIP_1) | instid1(VALU_DEP_1)
	v_max_f32_e32 v50, v90, v90
	v_max_f32_e32 v90, v91, v91
	v_min_f32_e32 v91, v90, v50
.LBB6_4205:                             ;   in Loop: Header=BB6_4010 Depth=4
	s_waitcnt vmcnt(25) lgkmcnt(25)
	s_delay_alu instid0(VALU_DEP_1) | instskip(NEXT) | instid1(VALU_DEP_1)
	v_and_b32_e32 v50, 0x7f800000, v91
	v_cmp_ne_u32_e32 vcc_lo, 0x7f800000, v50
	v_mov_b32_e32 v50, 0x80
	s_and_saveexec_b32 s37, vcc_lo
	s_cbranch_execz .LBB6_4213
; %bb.4206:                             ;   in Loop: Header=BB6_4010 Depth=4
	v_mov_b32_e32 v50, 0
	s_mov_b32 s38, exec_lo
	v_cmpx_ne_u32_e32 0, v91
	s_cbranch_execz .LBB6_4212
; %bb.4207:                             ;   in Loop: Header=BB6_4010 Depth=4
	v_bfe_u32 v50, v91, 23, 8
	v_and_b32_e32 v90, 0x7fffff, v91
	s_delay_alu instid0(VALU_DEP_2) | instskip(SKIP_1) | instid1(VALU_DEP_3)
	v_sub_nc_u32_e32 v92, 0x78, v50
	v_cmp_gt_u32_e32 vcc_lo, 0x79, v50
	v_or_b32_e32 v93, 0x800000, v90
	s_delay_alu instid0(VALU_DEP_3) | instskip(SKIP_2) | instid1(VALU_DEP_3)
	v_cndmask_b32_e32 v92, 0, v92, vcc_lo
	v_cmp_eq_u32_e32 vcc_lo, 0, v50
	v_add_nc_u32_e32 v50, 0xffffff89, v50
	v_cndmask_b32_e64 v92, v92, 0x77, vcc_lo
	v_cndmask_b32_e32 v90, v93, v90, vcc_lo
	s_delay_alu instid0(VALU_DEP_3) | instskip(NEXT) | instid1(VALU_DEP_3)
	v_cndmask_b32_e64 v50, v50, 0xffffff8a, vcc_lo
	v_lshl_add_u32 v93, 0x100000, v92, -1
	s_delay_alu instid0(VALU_DEP_3) | instskip(SKIP_1) | instid1(VALU_DEP_4)
	v_lshrrev_b32_e32 v94, v92, v90
	v_lshlrev_b32_e64 v104, v92, 0x80000
	v_add_nc_u32_e32 v92, v92, v50
	s_delay_alu instid0(VALU_DEP_4) | instskip(NEXT) | instid1(VALU_DEP_4)
	v_and_b32_e32 v90, v93, v90
	v_bfe_u32 v95, v94, 20, 1
	s_delay_alu instid0(VALU_DEP_2) | instskip(NEXT) | instid1(VALU_DEP_2)
	v_cmp_eq_u32_e64 s13, v90, v104
	v_add_nc_u32_e32 v93, -1, v95
	s_delay_alu instid0(VALU_DEP_1) | instskip(SKIP_2) | instid1(VALU_DEP_2)
	v_cndmask_b32_e64 v90, 0, v93, s13
	v_lshrrev_b32_e32 v93, 23, v94
	s_mov_b32 s13, exec_lo
	v_add_nc_u32_e32 v90, v90, v94
	s_delay_alu instid0(VALU_DEP_2) | instskip(NEXT) | instid1(VALU_DEP_2)
	v_xor_b32_e32 v93, 1, v93
	v_and_b32_e32 v50, 0xfffff, v90
	s_delay_alu instid0(VALU_DEP_1) | instskip(NEXT) | instid1(VALU_DEP_3)
	v_add_nc_u32_e32 v90, v50, v94
                                        ; implicit-def: $vgpr50
	v_cmpx_ne_u32_e64 v92, v93
	s_xor_b32 s13, exec_lo, s13
; %bb.4208:                             ;   in Loop: Header=BB6_4010 Depth=4
	s_delay_alu instid0(VALU_DEP_2) | instskip(SKIP_2) | instid1(VALU_DEP_2)
	v_cmp_lt_u32_e32 vcc_lo, 0xffffff, v90
	v_sub_nc_u32_e32 v50, v92, v93
	v_cndmask_b32_e64 v92, 0, 1, vcc_lo
	v_add_co_ci_u32_e32 v50, vcc_lo, 0, v50, vcc_lo
	s_delay_alu instid0(VALU_DEP_2)
	v_lshrrev_b32_e32 v90, v92, v90
; %bb.4209:                             ;   in Loop: Header=BB6_4010 Depth=4
	s_and_not1_saveexec_b32 s13, s13
; %bb.4210:                             ;   in Loop: Header=BB6_4010 Depth=4
	s_delay_alu instid0(VALU_DEP_1)
	v_bfe_u32 v50, v90, 23, 1
; %bb.4211:                             ;   in Loop: Header=BB6_4010 Depth=4
	s_or_b32 exec_lo, exec_lo, s13
	v_lshrrev_b32_e32 v90, 20, v90
	s_delay_alu instid0(VALU_DEP_2) | instskip(SKIP_2) | instid1(VALU_DEP_2)
	v_cmp_gt_i32_e32 vcc_lo, 16, v50
	v_lshrrev_b32_e32 v91, 24, v91
	v_min_i32_e32 v92, 15, v50
	v_dual_cndmask_b32 v90, 7, v90 :: v_dual_and_b32 v91, 0x80, v91
	s_delay_alu instid0(VALU_DEP_2) | instskip(NEXT) | instid1(VALU_DEP_2)
	v_lshlrev_b32_e32 v92, 3, v92
	v_and_b32_e32 v93, 7, v90
	v_or_b32_e32 v50, v50, v90
	s_delay_alu instid0(VALU_DEP_2) | instskip(NEXT) | instid1(VALU_DEP_2)
	v_or3_b32 v90, v92, v91, v93
	v_cmp_ne_u32_e32 vcc_lo, 0, v50
	s_delay_alu instid0(VALU_DEP_2)
	v_cndmask_b32_e32 v50, 0, v90, vcc_lo
.LBB6_4212:                             ;   in Loop: Header=BB6_4010 Depth=4
	s_or_b32 exec_lo, exec_lo, s38
.LBB6_4213:                             ;   in Loop: Header=BB6_4010 Depth=4
	s_delay_alu instid0(SALU_CYCLE_1) | instskip(NEXT) | instid1(SALU_CYCLE_1)
	s_or_b32 exec_lo, exec_lo, s37
	s_and_not1_b32 vcc_lo, exec_lo, s35
	s_cbranch_vccnz .LBB6_4223
; %bb.4214:                             ;   in Loop: Header=BB6_4010 Depth=4
	v_and_b32_e32 v91, 0xff, v89
	s_mov_b32 s13, 0
	s_mov_b32 s38, exec_lo
                                        ; implicit-def: $sgpr37
	s_delay_alu instid0(VALU_DEP_1)
	v_cmpx_lt_i16_e32 0x7f, v91
	s_xor_b32 s38, exec_lo, s38
	s_cbranch_execnz .LBB6_5048
; %bb.4215:                             ;   in Loop: Header=BB6_4010 Depth=4
	s_or_saveexec_b32 s38, s38
	v_mov_b32_e32 v90, s37
	s_xor_b32 exec_lo, exec_lo, s38
	s_cbranch_execnz .LBB6_5051
.LBB6_4216:                             ;   in Loop: Header=BB6_4010 Depth=4
	s_or_b32 exec_lo, exec_lo, s38
	s_and_saveexec_b32 s37, s13
	s_cbranch_execz .LBB6_4218
.LBB6_4217:                             ;   in Loop: Header=BB6_4010 Depth=4
	v_lshrrev_b16 v93, 3, v89
	v_lshlrev_b32_e32 v94, 24, v89
	s_delay_alu instid0(VALU_DEP_2) | instskip(NEXT) | instid1(VALU_DEP_1)
	v_and_b32_e32 v93, 15, v93
	v_cmp_eq_u32_e32 vcc_lo, 0, v93
	v_and_b32_e32 v90, 7, v89
	s_delay_alu instid0(VALU_DEP_1) | instskip(NEXT) | instid1(VALU_DEP_1)
	v_clz_i32_u32_e32 v91, v90
	v_min_u32_e32 v91, 32, v91
	s_delay_alu instid0(VALU_DEP_1) | instskip(SKIP_1) | instid1(VALU_DEP_1)
	v_subrev_nc_u32_e32 v92, 28, v91
	v_sub_nc_u32_e32 v91, 29, v91
	v_dual_cndmask_b32 v91, v93, v91 :: v_dual_lshlrev_b32 v92, v92, v89
	s_delay_alu instid0(VALU_DEP_1) | instskip(NEXT) | instid1(VALU_DEP_2)
	v_and_b32_e32 v92, 7, v92
	v_lshl_add_u32 v91, v91, 23, 0x3b800000
	s_delay_alu instid0(VALU_DEP_2) | instskip(SKIP_1) | instid1(VALU_DEP_2)
	v_cndmask_b32_e32 v90, v90, v92, vcc_lo
	v_and_b32_e32 v92, 0x80000000, v94
	v_lshlrev_b32_e32 v90, 20, v90
	s_delay_alu instid0(VALU_DEP_1)
	v_or3_b32 v90, v92, v91, v90
.LBB6_4218:                             ;   in Loop: Header=BB6_4010 Depth=4
	s_or_b32 exec_lo, exec_lo, s37
	s_waitcnt vmcnt(24) lgkmcnt(24)
	v_and_b32_e32 v92, 0xff, v113
	s_mov_b32 s13, 0
	s_mov_b32 s38, exec_lo
                                        ; implicit-def: $sgpr37
	s_delay_alu instid0(VALU_DEP_1)
	v_cmpx_lt_i16_e32 0x7f, v92
	s_xor_b32 s38, exec_lo, s38
	s_cbranch_execnz .LBB6_5052
; %bb.4219:                             ;   in Loop: Header=BB6_4010 Depth=4
	s_or_saveexec_b32 s38, s38
	v_mov_b32_e32 v91, s37
	s_xor_b32 exec_lo, exec_lo, s38
	s_cbranch_execnz .LBB6_5055
.LBB6_4220:                             ;   in Loop: Header=BB6_4010 Depth=4
	s_or_b32 exec_lo, exec_lo, s38
	s_and_saveexec_b32 s37, s13
	s_cbranch_execz .LBB6_4222
.LBB6_4221:                             ;   in Loop: Header=BB6_4010 Depth=4
	v_lshrrev_b16 v94, 3, v113
	v_lshlrev_b32_e32 v95, 24, v113
	s_delay_alu instid0(VALU_DEP_2) | instskip(NEXT) | instid1(VALU_DEP_1)
	v_and_b32_e32 v94, 15, v94
	v_cmp_eq_u32_e32 vcc_lo, 0, v94
	v_and_b32_e32 v91, 7, v113
	s_delay_alu instid0(VALU_DEP_1) | instskip(NEXT) | instid1(VALU_DEP_1)
	v_clz_i32_u32_e32 v92, v91
	v_min_u32_e32 v92, 32, v92
	s_delay_alu instid0(VALU_DEP_1) | instskip(SKIP_1) | instid1(VALU_DEP_1)
	v_subrev_nc_u32_e32 v93, 28, v92
	v_sub_nc_u32_e32 v92, 29, v92
	v_dual_cndmask_b32 v92, v94, v92 :: v_dual_lshlrev_b32 v93, v93, v113
	s_delay_alu instid0(VALU_DEP_1) | instskip(NEXT) | instid1(VALU_DEP_2)
	v_and_b32_e32 v93, 7, v93
	v_lshl_add_u32 v92, v92, 23, 0x3b800000
	s_delay_alu instid0(VALU_DEP_2) | instskip(SKIP_1) | instid1(VALU_DEP_2)
	v_cndmask_b32_e32 v91, v91, v93, vcc_lo
	v_and_b32_e32 v93, 0x80000000, v95
	v_lshlrev_b32_e32 v91, 20, v91
	s_delay_alu instid0(VALU_DEP_1)
	v_or3_b32 v91, v93, v92, v91
.LBB6_4222:                             ;   in Loop: Header=BB6_4010 Depth=4
	s_or_b32 exec_lo, exec_lo, s37
	s_delay_alu instid0(VALU_DEP_1) | instskip(SKIP_1) | instid1(VALU_DEP_1)
	v_dual_max_f32 v91, v91, v91 :: v_dual_max_f32 v90, v90, v90
	s_mov_b32 s13, 0
	v_max_f32_e32 v90, v90, v91
	s_branch .LBB6_4224
.LBB6_4223:                             ;   in Loop: Header=BB6_4010 Depth=4
	s_mov_b32 s13, -1
                                        ; implicit-def: $vgpr90
.LBB6_4224:                             ;   in Loop: Header=BB6_4010 Depth=4
	s_delay_alu instid0(SALU_CYCLE_1)
	s_and_b32 vcc_lo, exec_lo, s13
	s_cbranch_vccz .LBB6_4234
; %bb.4225:                             ;   in Loop: Header=BB6_4010 Depth=4
	v_and_b32_e32 v91, 0xff, v89
	s_mov_b32 s13, 0
	s_mov_b32 s38, exec_lo
                                        ; implicit-def: $sgpr37
	s_delay_alu instid0(VALU_DEP_1)
	v_cmpx_lt_i16_e32 0x7f, v91
	s_xor_b32 s38, exec_lo, s38
	s_cbranch_execnz .LBB6_5056
; %bb.4226:                             ;   in Loop: Header=BB6_4010 Depth=4
	s_or_saveexec_b32 s38, s38
	v_mov_b32_e32 v90, s37
	s_xor_b32 exec_lo, exec_lo, s38
	s_cbranch_execnz .LBB6_5059
.LBB6_4227:                             ;   in Loop: Header=BB6_4010 Depth=4
	s_or_b32 exec_lo, exec_lo, s38
	s_and_saveexec_b32 s37, s13
	s_cbranch_execz .LBB6_4229
.LBB6_4228:                             ;   in Loop: Header=BB6_4010 Depth=4
	v_lshrrev_b16 v93, 3, v89
	s_delay_alu instid0(VALU_DEP_1) | instskip(NEXT) | instid1(VALU_DEP_1)
	v_and_b32_e32 v93, 15, v93
	v_cmp_eq_u32_e32 vcc_lo, 0, v93
	v_and_b32_e32 v90, 7, v89
	s_delay_alu instid0(VALU_DEP_1) | instskip(NEXT) | instid1(VALU_DEP_1)
	v_clz_i32_u32_e32 v91, v90
	v_min_u32_e32 v91, 32, v91
	s_delay_alu instid0(VALU_DEP_1) | instskip(SKIP_1) | instid1(VALU_DEP_1)
	v_subrev_nc_u32_e32 v92, 28, v91
	v_sub_nc_u32_e32 v91, 29, v91
	v_dual_cndmask_b32 v91, v93, v91 :: v_dual_lshlrev_b32 v92, v92, v89
	v_lshlrev_b32_e32 v89, 24, v89
	s_delay_alu instid0(VALU_DEP_2) | instskip(NEXT) | instid1(VALU_DEP_3)
	v_and_b32_e32 v92, 7, v92
	v_lshl_add_u32 v91, v91, 23, 0x3b800000
	s_delay_alu instid0(VALU_DEP_2) | instskip(NEXT) | instid1(VALU_DEP_1)
	v_dual_cndmask_b32 v90, v90, v92 :: v_dual_and_b32 v89, 0x80000000, v89
	v_lshlrev_b32_e32 v90, 20, v90
	s_delay_alu instid0(VALU_DEP_1)
	v_or3_b32 v90, v89, v91, v90
.LBB6_4229:                             ;   in Loop: Header=BB6_4010 Depth=4
	s_or_b32 exec_lo, exec_lo, s37
	s_waitcnt vmcnt(24) lgkmcnt(24)
	v_and_b32_e32 v91, 0xff, v113
	s_mov_b32 s13, 0
	s_mov_b32 s38, exec_lo
                                        ; implicit-def: $sgpr37
	s_delay_alu instid0(VALU_DEP_1)
	v_cmpx_lt_i16_e32 0x7f, v91
	s_xor_b32 s38, exec_lo, s38
	s_cbranch_execnz .LBB6_5060
; %bb.4230:                             ;   in Loop: Header=BB6_4010 Depth=4
	s_or_saveexec_b32 s38, s38
	v_mov_b32_e32 v89, s37
	s_xor_b32 exec_lo, exec_lo, s38
	s_cbranch_execnz .LBB6_5063
.LBB6_4231:                             ;   in Loop: Header=BB6_4010 Depth=4
	s_or_b32 exec_lo, exec_lo, s38
	s_and_saveexec_b32 s37, s13
	s_cbranch_execz .LBB6_4233
.LBB6_4232:                             ;   in Loop: Header=BB6_4010 Depth=4
	v_and_b32_e32 v89, 7, v113
	v_lshrrev_b16 v93, 3, v113
	s_delay_alu instid0(VALU_DEP_2) | instskip(NEXT) | instid1(VALU_DEP_2)
	v_clz_i32_u32_e32 v91, v89
	v_and_b32_e32 v93, 15, v93
	s_delay_alu instid0(VALU_DEP_2) | instskip(NEXT) | instid1(VALU_DEP_2)
	v_min_u32_e32 v91, 32, v91
	v_cmp_eq_u32_e32 vcc_lo, 0, v93
	s_delay_alu instid0(VALU_DEP_2) | instskip(SKIP_1) | instid1(VALU_DEP_1)
	v_subrev_nc_u32_e32 v92, 28, v91
	v_sub_nc_u32_e32 v91, 29, v91
	v_dual_cndmask_b32 v91, v93, v91 :: v_dual_lshlrev_b32 v92, v92, v113
	v_lshlrev_b32_e32 v113, 24, v113
	s_delay_alu instid0(VALU_DEP_2) | instskip(NEXT) | instid1(VALU_DEP_3)
	v_and_b32_e32 v92, 7, v92
	v_lshl_add_u32 v91, v91, 23, 0x3b800000
	s_delay_alu instid0(VALU_DEP_3) | instskip(NEXT) | instid1(VALU_DEP_3)
	v_and_b32_e32 v113, 0x80000000, v113
	v_cndmask_b32_e32 v89, v89, v92, vcc_lo
	s_delay_alu instid0(VALU_DEP_1) | instskip(NEXT) | instid1(VALU_DEP_1)
	v_lshlrev_b32_e32 v89, 20, v89
	v_or3_b32 v89, v113, v91, v89
.LBB6_4233:                             ;   in Loop: Header=BB6_4010 Depth=4
	s_or_b32 exec_lo, exec_lo, s37
	s_delay_alu instid0(VALU_DEP_1) | instskip(SKIP_1) | instid1(VALU_DEP_1)
	v_max_f32_e32 v113, v89, v89
	v_max_f32_e32 v89, v90, v90
	v_min_f32_e32 v90, v89, v113
.LBB6_4234:                             ;   in Loop: Header=BB6_4010 Depth=4
	s_waitcnt vmcnt(24) lgkmcnt(24)
	s_delay_alu instid0(VALU_DEP_1) | instskip(NEXT) | instid1(VALU_DEP_1)
	v_and_b32_e32 v113, 0x7f800000, v90
	v_cmp_ne_u32_e32 vcc_lo, 0x7f800000, v113
	v_mov_b32_e32 v113, 0x80
	s_and_saveexec_b32 s37, vcc_lo
	s_cbranch_execz .LBB6_4242
; %bb.4235:                             ;   in Loop: Header=BB6_4010 Depth=4
	v_mov_b32_e32 v113, 0
	s_mov_b32 s38, exec_lo
	v_cmpx_ne_u32_e32 0, v90
	s_cbranch_execz .LBB6_4241
; %bb.4236:                             ;   in Loop: Header=BB6_4010 Depth=4
	v_bfe_u32 v113, v90, 23, 8
	v_and_b32_e32 v89, 0x7fffff, v90
	s_delay_alu instid0(VALU_DEP_2) | instskip(SKIP_1) | instid1(VALU_DEP_3)
	v_sub_nc_u32_e32 v91, 0x78, v113
	v_cmp_gt_u32_e32 vcc_lo, 0x79, v113
	v_or_b32_e32 v92, 0x800000, v89
	s_delay_alu instid0(VALU_DEP_3) | instskip(SKIP_2) | instid1(VALU_DEP_3)
	v_cndmask_b32_e32 v91, 0, v91, vcc_lo
	v_cmp_eq_u32_e32 vcc_lo, 0, v113
	v_add_nc_u32_e32 v113, 0xffffff89, v113
	v_cndmask_b32_e64 v91, v91, 0x77, vcc_lo
	v_cndmask_b32_e32 v89, v92, v89, vcc_lo
	s_delay_alu instid0(VALU_DEP_3) | instskip(NEXT) | instid1(VALU_DEP_3)
	v_cndmask_b32_e64 v113, v113, 0xffffff8a, vcc_lo
	v_lshl_add_u32 v92, 0x100000, v91, -1
	s_delay_alu instid0(VALU_DEP_3) | instskip(SKIP_1) | instid1(VALU_DEP_4)
	v_lshrrev_b32_e32 v93, v91, v89
	v_lshlrev_b32_e64 v95, v91, 0x80000
	v_add_nc_u32_e32 v91, v91, v113
	s_delay_alu instid0(VALU_DEP_4) | instskip(NEXT) | instid1(VALU_DEP_4)
	v_and_b32_e32 v89, v92, v89
	v_bfe_u32 v94, v93, 20, 1
	s_delay_alu instid0(VALU_DEP_2) | instskip(NEXT) | instid1(VALU_DEP_2)
	v_cmp_eq_u32_e64 s13, v89, v95
	v_add_nc_u32_e32 v92, -1, v94
	s_delay_alu instid0(VALU_DEP_1) | instskip(SKIP_2) | instid1(VALU_DEP_2)
	v_cndmask_b32_e64 v89, 0, v92, s13
	v_lshrrev_b32_e32 v92, 23, v93
	s_mov_b32 s13, exec_lo
	v_add_nc_u32_e32 v89, v89, v93
	s_delay_alu instid0(VALU_DEP_2) | instskip(NEXT) | instid1(VALU_DEP_2)
	v_xor_b32_e32 v92, 1, v92
	v_and_b32_e32 v113, 0xfffff, v89
	s_delay_alu instid0(VALU_DEP_1) | instskip(NEXT) | instid1(VALU_DEP_3)
	v_add_nc_u32_e32 v89, v113, v93
                                        ; implicit-def: $vgpr113
	v_cmpx_ne_u32_e64 v91, v92
	s_xor_b32 s13, exec_lo, s13
; %bb.4237:                             ;   in Loop: Header=BB6_4010 Depth=4
	s_delay_alu instid0(VALU_DEP_2) | instskip(SKIP_2) | instid1(VALU_DEP_2)
	v_cmp_lt_u32_e32 vcc_lo, 0xffffff, v89
	v_sub_nc_u32_e32 v113, v91, v92
	v_cndmask_b32_e64 v91, 0, 1, vcc_lo
	v_add_co_ci_u32_e32 v113, vcc_lo, 0, v113, vcc_lo
	s_delay_alu instid0(VALU_DEP_2)
	v_lshrrev_b32_e32 v89, v91, v89
; %bb.4238:                             ;   in Loop: Header=BB6_4010 Depth=4
	s_and_not1_saveexec_b32 s13, s13
; %bb.4239:                             ;   in Loop: Header=BB6_4010 Depth=4
	s_delay_alu instid0(VALU_DEP_1)
	v_bfe_u32 v113, v89, 23, 1
; %bb.4240:                             ;   in Loop: Header=BB6_4010 Depth=4
	s_or_b32 exec_lo, exec_lo, s13
	v_lshrrev_b32_e32 v89, 20, v89
	s_delay_alu instid0(VALU_DEP_2) | instskip(SKIP_2) | instid1(VALU_DEP_2)
	v_cmp_gt_i32_e32 vcc_lo, 16, v113
	v_lshrrev_b32_e32 v90, 24, v90
	v_min_i32_e32 v91, 15, v113
	v_dual_cndmask_b32 v89, 7, v89 :: v_dual_and_b32 v90, 0x80, v90
	s_delay_alu instid0(VALU_DEP_2) | instskip(NEXT) | instid1(VALU_DEP_2)
	v_lshlrev_b32_e32 v91, 3, v91
	v_and_b32_e32 v92, 7, v89
	v_or_b32_e32 v113, v113, v89
	s_delay_alu instid0(VALU_DEP_2) | instskip(NEXT) | instid1(VALU_DEP_2)
	v_or3_b32 v89, v91, v90, v92
	v_cmp_ne_u32_e32 vcc_lo, 0, v113
	s_delay_alu instid0(VALU_DEP_2)
	v_cndmask_b32_e32 v113, 0, v89, vcc_lo
.LBB6_4241:                             ;   in Loop: Header=BB6_4010 Depth=4
	s_or_b32 exec_lo, exec_lo, s38
.LBB6_4242:                             ;   in Loop: Header=BB6_4010 Depth=4
	s_delay_alu instid0(SALU_CYCLE_1) | instskip(NEXT) | instid1(SALU_CYCLE_1)
	s_or_b32 exec_lo, exec_lo, s37
	s_and_not1_b32 vcc_lo, exec_lo, s35
	s_cbranch_vccnz .LBB6_4252
; %bb.4243:                             ;   in Loop: Header=BB6_4010 Depth=4
	v_and_b32_e32 v90, 0xff, v88
	s_mov_b32 s13, 0
	s_mov_b32 s38, exec_lo
                                        ; implicit-def: $sgpr37
	s_delay_alu instid0(VALU_DEP_1)
	v_cmpx_lt_i16_e32 0x7f, v90
	s_xor_b32 s38, exec_lo, s38
	s_cbranch_execnz .LBB6_5064
; %bb.4244:                             ;   in Loop: Header=BB6_4010 Depth=4
	s_or_saveexec_b32 s38, s38
	v_mov_b32_e32 v89, s37
	s_xor_b32 exec_lo, exec_lo, s38
	s_cbranch_execnz .LBB6_5067
.LBB6_4245:                             ;   in Loop: Header=BB6_4010 Depth=4
	s_or_b32 exec_lo, exec_lo, s38
	s_and_saveexec_b32 s37, s13
	s_cbranch_execz .LBB6_4247
.LBB6_4246:                             ;   in Loop: Header=BB6_4010 Depth=4
	v_lshrrev_b16 v92, 3, v88
	v_lshlrev_b32_e32 v93, 24, v88
	s_delay_alu instid0(VALU_DEP_2) | instskip(NEXT) | instid1(VALU_DEP_1)
	v_and_b32_e32 v92, 15, v92
	v_cmp_eq_u32_e32 vcc_lo, 0, v92
	v_and_b32_e32 v89, 7, v88
	s_delay_alu instid0(VALU_DEP_1) | instskip(NEXT) | instid1(VALU_DEP_1)
	v_clz_i32_u32_e32 v90, v89
	v_min_u32_e32 v90, 32, v90
	s_delay_alu instid0(VALU_DEP_1) | instskip(SKIP_1) | instid1(VALU_DEP_1)
	v_subrev_nc_u32_e32 v91, 28, v90
	v_sub_nc_u32_e32 v90, 29, v90
	v_dual_cndmask_b32 v90, v92, v90 :: v_dual_lshlrev_b32 v91, v91, v88
	s_delay_alu instid0(VALU_DEP_1) | instskip(NEXT) | instid1(VALU_DEP_2)
	v_and_b32_e32 v91, 7, v91
	v_lshl_add_u32 v90, v90, 23, 0x3b800000
	s_delay_alu instid0(VALU_DEP_2) | instskip(SKIP_1) | instid1(VALU_DEP_2)
	v_cndmask_b32_e32 v89, v89, v91, vcc_lo
	v_and_b32_e32 v91, 0x80000000, v93
	v_lshlrev_b32_e32 v89, 20, v89
	s_delay_alu instid0(VALU_DEP_1)
	v_or3_b32 v89, v91, v90, v89
.LBB6_4247:                             ;   in Loop: Header=BB6_4010 Depth=4
	s_or_b32 exec_lo, exec_lo, s37
	s_waitcnt vmcnt(23) lgkmcnt(23)
	v_and_b32_e32 v91, 0xff, v116
	s_mov_b32 s13, 0
	s_mov_b32 s38, exec_lo
                                        ; implicit-def: $sgpr37
	s_delay_alu instid0(VALU_DEP_1)
	v_cmpx_lt_i16_e32 0x7f, v91
	s_xor_b32 s38, exec_lo, s38
	s_cbranch_execnz .LBB6_5068
; %bb.4248:                             ;   in Loop: Header=BB6_4010 Depth=4
	s_or_saveexec_b32 s38, s38
	v_mov_b32_e32 v90, s37
	s_xor_b32 exec_lo, exec_lo, s38
	s_cbranch_execnz .LBB6_5071
.LBB6_4249:                             ;   in Loop: Header=BB6_4010 Depth=4
	s_or_b32 exec_lo, exec_lo, s38
	s_and_saveexec_b32 s37, s13
	s_cbranch_execz .LBB6_4251
.LBB6_4250:                             ;   in Loop: Header=BB6_4010 Depth=4
	v_lshrrev_b16 v93, 3, v116
	v_lshlrev_b32_e32 v94, 24, v116
	s_delay_alu instid0(VALU_DEP_2) | instskip(NEXT) | instid1(VALU_DEP_1)
	v_and_b32_e32 v93, 15, v93
	v_cmp_eq_u32_e32 vcc_lo, 0, v93
	v_and_b32_e32 v90, 7, v116
	s_delay_alu instid0(VALU_DEP_1) | instskip(NEXT) | instid1(VALU_DEP_1)
	v_clz_i32_u32_e32 v91, v90
	v_min_u32_e32 v91, 32, v91
	s_delay_alu instid0(VALU_DEP_1) | instskip(SKIP_1) | instid1(VALU_DEP_1)
	v_subrev_nc_u32_e32 v92, 28, v91
	v_sub_nc_u32_e32 v91, 29, v91
	v_dual_cndmask_b32 v91, v93, v91 :: v_dual_lshlrev_b32 v92, v92, v116
	s_delay_alu instid0(VALU_DEP_1) | instskip(NEXT) | instid1(VALU_DEP_2)
	v_and_b32_e32 v92, 7, v92
	v_lshl_add_u32 v91, v91, 23, 0x3b800000
	s_delay_alu instid0(VALU_DEP_2) | instskip(SKIP_1) | instid1(VALU_DEP_2)
	v_cndmask_b32_e32 v90, v90, v92, vcc_lo
	v_and_b32_e32 v92, 0x80000000, v94
	v_lshlrev_b32_e32 v90, 20, v90
	s_delay_alu instid0(VALU_DEP_1)
	v_or3_b32 v90, v92, v91, v90
.LBB6_4251:                             ;   in Loop: Header=BB6_4010 Depth=4
	s_or_b32 exec_lo, exec_lo, s37
	s_delay_alu instid0(VALU_DEP_1) | instskip(SKIP_1) | instid1(VALU_DEP_1)
	v_dual_max_f32 v90, v90, v90 :: v_dual_max_f32 v89, v89, v89
	s_mov_b32 s13, 0
	v_max_f32_e32 v89, v89, v90
	s_branch .LBB6_4253
.LBB6_4252:                             ;   in Loop: Header=BB6_4010 Depth=4
	s_mov_b32 s13, -1
                                        ; implicit-def: $vgpr89
.LBB6_4253:                             ;   in Loop: Header=BB6_4010 Depth=4
	s_delay_alu instid0(SALU_CYCLE_1)
	s_and_b32 vcc_lo, exec_lo, s13
	s_cbranch_vccz .LBB6_4263
; %bb.4254:                             ;   in Loop: Header=BB6_4010 Depth=4
	v_and_b32_e32 v90, 0xff, v88
	s_mov_b32 s13, 0
	s_mov_b32 s38, exec_lo
                                        ; implicit-def: $sgpr37
	s_delay_alu instid0(VALU_DEP_1)
	v_cmpx_lt_i16_e32 0x7f, v90
	s_xor_b32 s38, exec_lo, s38
	s_cbranch_execnz .LBB6_5072
; %bb.4255:                             ;   in Loop: Header=BB6_4010 Depth=4
	s_or_saveexec_b32 s38, s38
	v_mov_b32_e32 v89, s37
	s_xor_b32 exec_lo, exec_lo, s38
	s_cbranch_execnz .LBB6_5075
.LBB6_4256:                             ;   in Loop: Header=BB6_4010 Depth=4
	s_or_b32 exec_lo, exec_lo, s38
	s_and_saveexec_b32 s37, s13
	s_cbranch_execz .LBB6_4258
.LBB6_4257:                             ;   in Loop: Header=BB6_4010 Depth=4
	v_lshrrev_b16 v92, 3, v88
	s_delay_alu instid0(VALU_DEP_1) | instskip(NEXT) | instid1(VALU_DEP_1)
	v_and_b32_e32 v92, 15, v92
	v_cmp_eq_u32_e32 vcc_lo, 0, v92
	v_and_b32_e32 v89, 7, v88
	s_delay_alu instid0(VALU_DEP_1) | instskip(NEXT) | instid1(VALU_DEP_1)
	v_clz_i32_u32_e32 v90, v89
	v_min_u32_e32 v90, 32, v90
	s_delay_alu instid0(VALU_DEP_1) | instskip(SKIP_1) | instid1(VALU_DEP_1)
	v_subrev_nc_u32_e32 v91, 28, v90
	v_sub_nc_u32_e32 v90, 29, v90
	v_dual_cndmask_b32 v90, v92, v90 :: v_dual_lshlrev_b32 v91, v91, v88
	v_lshlrev_b32_e32 v88, 24, v88
	s_delay_alu instid0(VALU_DEP_2) | instskip(NEXT) | instid1(VALU_DEP_3)
	v_and_b32_e32 v91, 7, v91
	v_lshl_add_u32 v90, v90, 23, 0x3b800000
	s_delay_alu instid0(VALU_DEP_2) | instskip(NEXT) | instid1(VALU_DEP_1)
	v_dual_cndmask_b32 v89, v89, v91 :: v_dual_and_b32 v88, 0x80000000, v88
	v_lshlrev_b32_e32 v89, 20, v89
	s_delay_alu instid0(VALU_DEP_1)
	v_or3_b32 v89, v88, v90, v89
.LBB6_4258:                             ;   in Loop: Header=BB6_4010 Depth=4
	s_or_b32 exec_lo, exec_lo, s37
	s_waitcnt vmcnt(23) lgkmcnt(23)
	v_and_b32_e32 v90, 0xff, v116
	s_mov_b32 s13, 0
	s_mov_b32 s38, exec_lo
                                        ; implicit-def: $sgpr37
	s_delay_alu instid0(VALU_DEP_1)
	v_cmpx_lt_i16_e32 0x7f, v90
	s_xor_b32 s38, exec_lo, s38
	s_cbranch_execnz .LBB6_5076
; %bb.4259:                             ;   in Loop: Header=BB6_4010 Depth=4
	s_or_saveexec_b32 s38, s38
	v_mov_b32_e32 v88, s37
	s_xor_b32 exec_lo, exec_lo, s38
	s_cbranch_execnz .LBB6_5079
.LBB6_4260:                             ;   in Loop: Header=BB6_4010 Depth=4
	s_or_b32 exec_lo, exec_lo, s38
	s_and_saveexec_b32 s37, s13
	s_cbranch_execz .LBB6_4262
.LBB6_4261:                             ;   in Loop: Header=BB6_4010 Depth=4
	v_and_b32_e32 v88, 7, v116
	v_lshrrev_b16 v92, 3, v116
	s_delay_alu instid0(VALU_DEP_2) | instskip(NEXT) | instid1(VALU_DEP_2)
	v_clz_i32_u32_e32 v90, v88
	v_and_b32_e32 v92, 15, v92
	s_delay_alu instid0(VALU_DEP_2) | instskip(NEXT) | instid1(VALU_DEP_2)
	v_min_u32_e32 v90, 32, v90
	v_cmp_eq_u32_e32 vcc_lo, 0, v92
	s_delay_alu instid0(VALU_DEP_2) | instskip(SKIP_1) | instid1(VALU_DEP_1)
	v_subrev_nc_u32_e32 v91, 28, v90
	v_sub_nc_u32_e32 v90, 29, v90
	v_dual_cndmask_b32 v90, v92, v90 :: v_dual_lshlrev_b32 v91, v91, v116
	v_lshlrev_b32_e32 v116, 24, v116
	s_delay_alu instid0(VALU_DEP_2) | instskip(NEXT) | instid1(VALU_DEP_3)
	v_and_b32_e32 v91, 7, v91
	v_lshl_add_u32 v90, v90, 23, 0x3b800000
	s_delay_alu instid0(VALU_DEP_3) | instskip(NEXT) | instid1(VALU_DEP_3)
	v_and_b32_e32 v116, 0x80000000, v116
	v_cndmask_b32_e32 v88, v88, v91, vcc_lo
	s_delay_alu instid0(VALU_DEP_1) | instskip(NEXT) | instid1(VALU_DEP_1)
	v_lshlrev_b32_e32 v88, 20, v88
	v_or3_b32 v88, v116, v90, v88
.LBB6_4262:                             ;   in Loop: Header=BB6_4010 Depth=4
	s_or_b32 exec_lo, exec_lo, s37
	s_delay_alu instid0(VALU_DEP_1) | instskip(SKIP_1) | instid1(VALU_DEP_1)
	v_max_f32_e32 v116, v88, v88
	v_max_f32_e32 v88, v89, v89
	v_min_f32_e32 v89, v88, v116
.LBB6_4263:                             ;   in Loop: Header=BB6_4010 Depth=4
	s_waitcnt vmcnt(23) lgkmcnt(23)
	s_delay_alu instid0(VALU_DEP_1) | instskip(NEXT) | instid1(VALU_DEP_1)
	v_and_b32_e32 v116, 0x7f800000, v89
	v_cmp_ne_u32_e32 vcc_lo, 0x7f800000, v116
	v_mov_b32_e32 v116, 0x80
	s_and_saveexec_b32 s37, vcc_lo
	s_cbranch_execz .LBB6_4271
; %bb.4264:                             ;   in Loop: Header=BB6_4010 Depth=4
	v_mov_b32_e32 v116, 0
	s_mov_b32 s38, exec_lo
	v_cmpx_ne_u32_e32 0, v89
	s_cbranch_execz .LBB6_4270
; %bb.4265:                             ;   in Loop: Header=BB6_4010 Depth=4
	v_bfe_u32 v116, v89, 23, 8
	v_and_b32_e32 v88, 0x7fffff, v89
	s_delay_alu instid0(VALU_DEP_2) | instskip(SKIP_1) | instid1(VALU_DEP_3)
	v_sub_nc_u32_e32 v90, 0x78, v116
	v_cmp_gt_u32_e32 vcc_lo, 0x79, v116
	v_or_b32_e32 v91, 0x800000, v88
	s_delay_alu instid0(VALU_DEP_3) | instskip(SKIP_2) | instid1(VALU_DEP_3)
	v_cndmask_b32_e32 v90, 0, v90, vcc_lo
	v_cmp_eq_u32_e32 vcc_lo, 0, v116
	v_add_nc_u32_e32 v116, 0xffffff89, v116
	v_cndmask_b32_e64 v90, v90, 0x77, vcc_lo
	v_cndmask_b32_e32 v88, v91, v88, vcc_lo
	s_delay_alu instid0(VALU_DEP_3) | instskip(NEXT) | instid1(VALU_DEP_3)
	v_cndmask_b32_e64 v116, v116, 0xffffff8a, vcc_lo
	v_lshl_add_u32 v91, 0x100000, v90, -1
	s_delay_alu instid0(VALU_DEP_3) | instskip(SKIP_1) | instid1(VALU_DEP_4)
	v_lshrrev_b32_e32 v92, v90, v88
	v_lshlrev_b32_e64 v94, v90, 0x80000
	v_add_nc_u32_e32 v90, v90, v116
	s_delay_alu instid0(VALU_DEP_4) | instskip(NEXT) | instid1(VALU_DEP_4)
	v_and_b32_e32 v88, v91, v88
	v_bfe_u32 v93, v92, 20, 1
	s_delay_alu instid0(VALU_DEP_2) | instskip(NEXT) | instid1(VALU_DEP_2)
	v_cmp_eq_u32_e64 s13, v88, v94
	v_add_nc_u32_e32 v91, -1, v93
	s_delay_alu instid0(VALU_DEP_1) | instskip(SKIP_2) | instid1(VALU_DEP_2)
	v_cndmask_b32_e64 v88, 0, v91, s13
	v_lshrrev_b32_e32 v91, 23, v92
	s_mov_b32 s13, exec_lo
	v_add_nc_u32_e32 v88, v88, v92
	s_delay_alu instid0(VALU_DEP_2) | instskip(NEXT) | instid1(VALU_DEP_2)
	v_xor_b32_e32 v91, 1, v91
	v_and_b32_e32 v116, 0xfffff, v88
	s_delay_alu instid0(VALU_DEP_1) | instskip(NEXT) | instid1(VALU_DEP_3)
	v_add_nc_u32_e32 v88, v116, v92
                                        ; implicit-def: $vgpr116
	v_cmpx_ne_u32_e64 v90, v91
	s_xor_b32 s13, exec_lo, s13
; %bb.4266:                             ;   in Loop: Header=BB6_4010 Depth=4
	s_delay_alu instid0(VALU_DEP_2) | instskip(SKIP_2) | instid1(VALU_DEP_2)
	v_cmp_lt_u32_e32 vcc_lo, 0xffffff, v88
	v_sub_nc_u32_e32 v116, v90, v91
	v_cndmask_b32_e64 v90, 0, 1, vcc_lo
	v_add_co_ci_u32_e32 v116, vcc_lo, 0, v116, vcc_lo
	s_delay_alu instid0(VALU_DEP_2)
	v_lshrrev_b32_e32 v88, v90, v88
; %bb.4267:                             ;   in Loop: Header=BB6_4010 Depth=4
	s_and_not1_saveexec_b32 s13, s13
; %bb.4268:                             ;   in Loop: Header=BB6_4010 Depth=4
	s_delay_alu instid0(VALU_DEP_1)
	v_bfe_u32 v116, v88, 23, 1
; %bb.4269:                             ;   in Loop: Header=BB6_4010 Depth=4
	s_or_b32 exec_lo, exec_lo, s13
	v_lshrrev_b32_e32 v88, 20, v88
	s_delay_alu instid0(VALU_DEP_2) | instskip(SKIP_2) | instid1(VALU_DEP_2)
	v_cmp_gt_i32_e32 vcc_lo, 16, v116
	v_lshrrev_b32_e32 v89, 24, v89
	v_min_i32_e32 v90, 15, v116
	v_dual_cndmask_b32 v88, 7, v88 :: v_dual_and_b32 v89, 0x80, v89
	s_delay_alu instid0(VALU_DEP_2) | instskip(NEXT) | instid1(VALU_DEP_2)
	v_lshlrev_b32_e32 v90, 3, v90
	v_and_b32_e32 v91, 7, v88
	v_or_b32_e32 v116, v116, v88
	s_delay_alu instid0(VALU_DEP_2) | instskip(NEXT) | instid1(VALU_DEP_2)
	v_or3_b32 v88, v90, v89, v91
	v_cmp_ne_u32_e32 vcc_lo, 0, v116
	s_delay_alu instid0(VALU_DEP_2)
	v_cndmask_b32_e32 v116, 0, v88, vcc_lo
.LBB6_4270:                             ;   in Loop: Header=BB6_4010 Depth=4
	s_or_b32 exec_lo, exec_lo, s38
.LBB6_4271:                             ;   in Loop: Header=BB6_4010 Depth=4
	s_delay_alu instid0(SALU_CYCLE_1) | instskip(NEXT) | instid1(SALU_CYCLE_1)
	s_or_b32 exec_lo, exec_lo, s37
	s_and_not1_b32 vcc_lo, exec_lo, s35
	s_cbranch_vccnz .LBB6_4281
; %bb.4272:                             ;   in Loop: Header=BB6_4010 Depth=4
	v_and_b32_e32 v89, 0xff, v79
	s_mov_b32 s13, 0
	s_mov_b32 s38, exec_lo
                                        ; implicit-def: $sgpr37
	s_delay_alu instid0(VALU_DEP_1)
	v_cmpx_lt_i16_e32 0x7f, v89
	s_xor_b32 s38, exec_lo, s38
	s_cbranch_execnz .LBB6_5080
; %bb.4273:                             ;   in Loop: Header=BB6_4010 Depth=4
	s_or_saveexec_b32 s38, s38
	v_mov_b32_e32 v88, s37
	s_xor_b32 exec_lo, exec_lo, s38
	s_cbranch_execnz .LBB6_5083
.LBB6_4274:                             ;   in Loop: Header=BB6_4010 Depth=4
	s_or_b32 exec_lo, exec_lo, s38
	s_and_saveexec_b32 s37, s13
	s_cbranch_execz .LBB6_4276
.LBB6_4275:                             ;   in Loop: Header=BB6_4010 Depth=4
	v_lshrrev_b16 v91, 3, v79
	v_lshlrev_b32_e32 v92, 24, v79
	s_delay_alu instid0(VALU_DEP_2) | instskip(NEXT) | instid1(VALU_DEP_1)
	v_and_b32_e32 v91, 15, v91
	v_cmp_eq_u32_e32 vcc_lo, 0, v91
	v_and_b32_e32 v88, 7, v79
	s_delay_alu instid0(VALU_DEP_1) | instskip(NEXT) | instid1(VALU_DEP_1)
	v_clz_i32_u32_e32 v89, v88
	v_min_u32_e32 v89, 32, v89
	s_delay_alu instid0(VALU_DEP_1) | instskip(SKIP_1) | instid1(VALU_DEP_1)
	v_subrev_nc_u32_e32 v90, 28, v89
	v_sub_nc_u32_e32 v89, 29, v89
	v_dual_cndmask_b32 v89, v91, v89 :: v_dual_lshlrev_b32 v90, v90, v79
	s_delay_alu instid0(VALU_DEP_1) | instskip(NEXT) | instid1(VALU_DEP_2)
	v_and_b32_e32 v90, 7, v90
	v_lshl_add_u32 v89, v89, 23, 0x3b800000
	s_delay_alu instid0(VALU_DEP_2) | instskip(SKIP_1) | instid1(VALU_DEP_2)
	v_cndmask_b32_e32 v88, v88, v90, vcc_lo
	v_and_b32_e32 v90, 0x80000000, v92
	v_lshlrev_b32_e32 v88, 20, v88
	s_delay_alu instid0(VALU_DEP_1)
	v_or3_b32 v88, v90, v89, v88
.LBB6_4276:                             ;   in Loop: Header=BB6_4010 Depth=4
	s_or_b32 exec_lo, exec_lo, s37
	s_waitcnt vmcnt(22) lgkmcnt(22)
	v_and_b32_e32 v90, 0xff, v182
	s_mov_b32 s13, 0
	s_mov_b32 s38, exec_lo
                                        ; implicit-def: $sgpr37
	s_delay_alu instid0(VALU_DEP_1)
	v_cmpx_lt_i16_e32 0x7f, v90
	s_xor_b32 s38, exec_lo, s38
	s_cbranch_execnz .LBB6_5084
; %bb.4277:                             ;   in Loop: Header=BB6_4010 Depth=4
	s_or_saveexec_b32 s38, s38
	v_mov_b32_e32 v89, s37
	s_xor_b32 exec_lo, exec_lo, s38
	s_cbranch_execnz .LBB6_5087
.LBB6_4278:                             ;   in Loop: Header=BB6_4010 Depth=4
	s_or_b32 exec_lo, exec_lo, s38
	s_and_saveexec_b32 s37, s13
	s_cbranch_execz .LBB6_4280
.LBB6_4279:                             ;   in Loop: Header=BB6_4010 Depth=4
	v_and_b32_e32 v89, 7, v182
	v_lshrrev_b16 v92, 3, v182
	v_lshlrev_b32_e32 v93, 24, v182
	s_delay_alu instid0(VALU_DEP_3) | instskip(NEXT) | instid1(VALU_DEP_1)
	v_clz_i32_u32_e32 v90, v89
	v_min_u32_e32 v90, 32, v90
	s_delay_alu instid0(VALU_DEP_1) | instskip(SKIP_1) | instid1(VALU_DEP_2)
	v_subrev_nc_u32_e32 v91, 28, v90
	v_sub_nc_u32_e32 v90, 29, v90
	v_lshlrev_b32_e32 v91, v91, v182
	s_delay_alu instid0(VALU_DEP_1) | instskip(SKIP_1) | instid1(VALU_DEP_1)
	v_and_b32_e32 v91, 7, v91
	v_and_b32_e32 v92, 15, v92
	v_cmp_eq_u32_e32 vcc_lo, 0, v92
	s_delay_alu instid0(VALU_DEP_3) | instskip(SKIP_1) | instid1(VALU_DEP_2)
	v_dual_cndmask_b32 v89, v89, v91 :: v_dual_cndmask_b32 v90, v92, v90
	v_and_b32_e32 v91, 0x80000000, v93
	v_lshlrev_b32_e32 v89, 20, v89
	s_delay_alu instid0(VALU_DEP_3) | instskip(NEXT) | instid1(VALU_DEP_1)
	v_lshl_add_u32 v90, v90, 23, 0x3b800000
	v_or3_b32 v89, v91, v90, v89
.LBB6_4280:                             ;   in Loop: Header=BB6_4010 Depth=4
	s_or_b32 exec_lo, exec_lo, s37
	s_delay_alu instid0(VALU_DEP_1) | instskip(SKIP_1) | instid1(VALU_DEP_1)
	v_dual_max_f32 v89, v89, v89 :: v_dual_max_f32 v88, v88, v88
	s_mov_b32 s13, 0
	v_max_f32_e32 v88, v88, v89
	s_branch .LBB6_4282
.LBB6_4281:                             ;   in Loop: Header=BB6_4010 Depth=4
	s_mov_b32 s13, -1
                                        ; implicit-def: $vgpr88
.LBB6_4282:                             ;   in Loop: Header=BB6_4010 Depth=4
	s_delay_alu instid0(SALU_CYCLE_1)
	s_and_b32 vcc_lo, exec_lo, s13
	s_cbranch_vccz .LBB6_4292
; %bb.4283:                             ;   in Loop: Header=BB6_4010 Depth=4
	v_and_b32_e32 v89, 0xff, v79
	s_mov_b32 s13, 0
	s_mov_b32 s38, exec_lo
                                        ; implicit-def: $sgpr37
	s_delay_alu instid0(VALU_DEP_1)
	v_cmpx_lt_i16_e32 0x7f, v89
	s_xor_b32 s38, exec_lo, s38
	s_cbranch_execnz .LBB6_5088
; %bb.4284:                             ;   in Loop: Header=BB6_4010 Depth=4
	s_or_saveexec_b32 s38, s38
	v_mov_b32_e32 v88, s37
	s_xor_b32 exec_lo, exec_lo, s38
	s_cbranch_execnz .LBB6_5091
.LBB6_4285:                             ;   in Loop: Header=BB6_4010 Depth=4
	s_or_b32 exec_lo, exec_lo, s38
	s_and_saveexec_b32 s37, s13
	s_cbranch_execz .LBB6_4287
.LBB6_4286:                             ;   in Loop: Header=BB6_4010 Depth=4
	v_lshrrev_b16 v91, 3, v79
	s_delay_alu instid0(VALU_DEP_1) | instskip(NEXT) | instid1(VALU_DEP_1)
	v_and_b32_e32 v91, 15, v91
	v_cmp_eq_u32_e32 vcc_lo, 0, v91
	v_and_b32_e32 v88, 7, v79
	s_delay_alu instid0(VALU_DEP_1) | instskip(NEXT) | instid1(VALU_DEP_1)
	v_clz_i32_u32_e32 v89, v88
	v_min_u32_e32 v89, 32, v89
	s_delay_alu instid0(VALU_DEP_1) | instskip(SKIP_1) | instid1(VALU_DEP_1)
	v_subrev_nc_u32_e32 v90, 28, v89
	v_sub_nc_u32_e32 v89, 29, v89
	v_dual_cndmask_b32 v89, v91, v89 :: v_dual_lshlrev_b32 v90, v90, v79
	v_lshlrev_b32_e32 v79, 24, v79
	s_delay_alu instid0(VALU_DEP_2) | instskip(NEXT) | instid1(VALU_DEP_3)
	v_and_b32_e32 v90, 7, v90
	v_lshl_add_u32 v89, v89, 23, 0x3b800000
	s_delay_alu instid0(VALU_DEP_2) | instskip(NEXT) | instid1(VALU_DEP_1)
	v_dual_cndmask_b32 v88, v88, v90 :: v_dual_and_b32 v79, 0x80000000, v79
	v_lshlrev_b32_e32 v88, 20, v88
	s_delay_alu instid0(VALU_DEP_1)
	v_or3_b32 v88, v79, v89, v88
.LBB6_4287:                             ;   in Loop: Header=BB6_4010 Depth=4
	s_or_b32 exec_lo, exec_lo, s37
	s_waitcnt vmcnt(22) lgkmcnt(22)
	v_and_b32_e32 v89, 0xff, v182
	s_mov_b32 s13, 0
	s_mov_b32 s38, exec_lo
                                        ; implicit-def: $sgpr37
	s_delay_alu instid0(VALU_DEP_1)
	v_cmpx_lt_i16_e32 0x7f, v89
	s_xor_b32 s38, exec_lo, s38
	s_cbranch_execnz .LBB6_5092
; %bb.4288:                             ;   in Loop: Header=BB6_4010 Depth=4
	s_or_saveexec_b32 s38, s38
	v_mov_b32_e32 v79, s37
	s_xor_b32 exec_lo, exec_lo, s38
	s_cbranch_execnz .LBB6_5095
.LBB6_4289:                             ;   in Loop: Header=BB6_4010 Depth=4
	s_or_b32 exec_lo, exec_lo, s38
	s_and_saveexec_b32 s37, s13
	s_cbranch_execz .LBB6_4291
.LBB6_4290:                             ;   in Loop: Header=BB6_4010 Depth=4
	v_and_b32_e32 v79, 7, v182
	v_lshrrev_b16 v91, 3, v182
	s_delay_alu instid0(VALU_DEP_2) | instskip(NEXT) | instid1(VALU_DEP_2)
	v_clz_i32_u32_e32 v89, v79
	v_and_b32_e32 v91, 15, v91
	s_delay_alu instid0(VALU_DEP_2) | instskip(NEXT) | instid1(VALU_DEP_2)
	v_min_u32_e32 v89, 32, v89
	v_cmp_eq_u32_e32 vcc_lo, 0, v91
	s_delay_alu instid0(VALU_DEP_2) | instskip(SKIP_1) | instid1(VALU_DEP_1)
	v_subrev_nc_u32_e32 v90, 28, v89
	v_sub_nc_u32_e32 v89, 29, v89
	v_dual_cndmask_b32 v89, v91, v89 :: v_dual_lshlrev_b32 v90, v90, v182
	v_lshlrev_b32_e32 v182, 24, v182
	s_delay_alu instid0(VALU_DEP_2) | instskip(NEXT) | instid1(VALU_DEP_3)
	v_and_b32_e32 v90, 7, v90
	v_lshl_add_u32 v89, v89, 23, 0x3b800000
	s_delay_alu instid0(VALU_DEP_3) | instskip(NEXT) | instid1(VALU_DEP_3)
	v_and_b32_e32 v182, 0x80000000, v182
	v_cndmask_b32_e32 v79, v79, v90, vcc_lo
	s_delay_alu instid0(VALU_DEP_1) | instskip(NEXT) | instid1(VALU_DEP_1)
	v_lshlrev_b32_e32 v79, 20, v79
	v_or3_b32 v79, v182, v89, v79
.LBB6_4291:                             ;   in Loop: Header=BB6_4010 Depth=4
	s_or_b32 exec_lo, exec_lo, s37
	s_delay_alu instid0(VALU_DEP_1) | instskip(NEXT) | instid1(VALU_DEP_1)
	v_dual_max_f32 v182, v79, v79 :: v_dual_max_f32 v79, v88, v88
	v_min_f32_e32 v88, v79, v182
.LBB6_4292:                             ;   in Loop: Header=BB6_4010 Depth=4
	s_waitcnt vmcnt(22) lgkmcnt(22)
	s_delay_alu instid0(VALU_DEP_1) | instskip(NEXT) | instid1(VALU_DEP_1)
	v_and_b32_e32 v182, 0x7f800000, v88
	v_cmp_ne_u32_e32 vcc_lo, 0x7f800000, v182
	v_mov_b32_e32 v182, 0x80
	s_and_saveexec_b32 s37, vcc_lo
	s_cbranch_execz .LBB6_4300
; %bb.4293:                             ;   in Loop: Header=BB6_4010 Depth=4
	v_mov_b32_e32 v182, 0
	s_mov_b32 s38, exec_lo
	v_cmpx_ne_u32_e32 0, v88
	s_cbranch_execz .LBB6_4299
; %bb.4294:                             ;   in Loop: Header=BB6_4010 Depth=4
	v_bfe_u32 v182, v88, 23, 8
	v_and_b32_e32 v79, 0x7fffff, v88
	s_delay_alu instid0(VALU_DEP_2) | instskip(SKIP_1) | instid1(VALU_DEP_3)
	v_sub_nc_u32_e32 v89, 0x78, v182
	v_cmp_gt_u32_e32 vcc_lo, 0x79, v182
	v_or_b32_e32 v90, 0x800000, v79
	s_delay_alu instid0(VALU_DEP_3) | instskip(SKIP_2) | instid1(VALU_DEP_3)
	v_cndmask_b32_e32 v89, 0, v89, vcc_lo
	v_cmp_eq_u32_e32 vcc_lo, 0, v182
	v_add_nc_u32_e32 v182, 0xffffff89, v182
	v_cndmask_b32_e64 v89, v89, 0x77, vcc_lo
	v_cndmask_b32_e32 v79, v90, v79, vcc_lo
	s_delay_alu instid0(VALU_DEP_3) | instskip(NEXT) | instid1(VALU_DEP_3)
	v_cndmask_b32_e64 v182, v182, 0xffffff8a, vcc_lo
	v_lshl_add_u32 v90, 0x100000, v89, -1
	s_delay_alu instid0(VALU_DEP_3) | instskip(SKIP_1) | instid1(VALU_DEP_4)
	v_lshrrev_b32_e32 v91, v89, v79
	v_lshlrev_b32_e64 v93, v89, 0x80000
	v_add_nc_u32_e32 v89, v89, v182
	s_delay_alu instid0(VALU_DEP_4) | instskip(NEXT) | instid1(VALU_DEP_4)
	v_and_b32_e32 v79, v90, v79
	v_bfe_u32 v92, v91, 20, 1
	s_delay_alu instid0(VALU_DEP_2) | instskip(NEXT) | instid1(VALU_DEP_2)
	v_cmp_eq_u32_e64 s13, v79, v93
	v_add_nc_u32_e32 v90, -1, v92
	s_delay_alu instid0(VALU_DEP_1) | instskip(SKIP_2) | instid1(VALU_DEP_2)
	v_cndmask_b32_e64 v79, 0, v90, s13
	v_lshrrev_b32_e32 v90, 23, v91
	s_mov_b32 s13, exec_lo
	v_add_nc_u32_e32 v79, v79, v91
	s_delay_alu instid0(VALU_DEP_2) | instskip(NEXT) | instid1(VALU_DEP_2)
	v_xor_b32_e32 v90, 1, v90
	v_and_b32_e32 v182, 0xfffff, v79
	s_delay_alu instid0(VALU_DEP_1) | instskip(NEXT) | instid1(VALU_DEP_3)
	v_add_nc_u32_e32 v79, v182, v91
                                        ; implicit-def: $vgpr182
	v_cmpx_ne_u32_e64 v89, v90
	s_xor_b32 s13, exec_lo, s13
; %bb.4295:                             ;   in Loop: Header=BB6_4010 Depth=4
	s_delay_alu instid0(VALU_DEP_2) | instskip(SKIP_2) | instid1(VALU_DEP_2)
	v_cmp_lt_u32_e32 vcc_lo, 0xffffff, v79
	v_sub_nc_u32_e32 v182, v89, v90
	v_cndmask_b32_e64 v89, 0, 1, vcc_lo
	v_add_co_ci_u32_e32 v182, vcc_lo, 0, v182, vcc_lo
	s_delay_alu instid0(VALU_DEP_2)
	v_lshrrev_b32_e32 v79, v89, v79
; %bb.4296:                             ;   in Loop: Header=BB6_4010 Depth=4
	s_and_not1_saveexec_b32 s13, s13
; %bb.4297:                             ;   in Loop: Header=BB6_4010 Depth=4
	s_delay_alu instid0(VALU_DEP_1)
	v_bfe_u32 v182, v79, 23, 1
; %bb.4298:                             ;   in Loop: Header=BB6_4010 Depth=4
	s_or_b32 exec_lo, exec_lo, s13
	v_lshrrev_b32_e32 v79, 20, v79
	s_delay_alu instid0(VALU_DEP_2) | instskip(SKIP_2) | instid1(VALU_DEP_2)
	v_cmp_gt_i32_e32 vcc_lo, 16, v182
	v_lshrrev_b32_e32 v88, 24, v88
	v_min_i32_e32 v89, 15, v182
	v_dual_cndmask_b32 v79, 7, v79 :: v_dual_and_b32 v88, 0x80, v88
	s_delay_alu instid0(VALU_DEP_1) | instskip(SKIP_1) | instid1(VALU_DEP_2)
	v_or_b32_e32 v182, v182, v79
	v_and_b32_e32 v90, 7, v79
	v_cmp_ne_u32_e32 vcc_lo, 0, v182
	v_lshlrev_b32_e32 v89, 3, v89
	s_delay_alu instid0(VALU_DEP_1) | instskip(NEXT) | instid1(VALU_DEP_1)
	v_or3_b32 v79, v89, v88, v90
	v_cndmask_b32_e32 v182, 0, v79, vcc_lo
.LBB6_4299:                             ;   in Loop: Header=BB6_4010 Depth=4
	s_or_b32 exec_lo, exec_lo, s38
.LBB6_4300:                             ;   in Loop: Header=BB6_4010 Depth=4
	s_delay_alu instid0(SALU_CYCLE_1) | instskip(NEXT) | instid1(SALU_CYCLE_1)
	s_or_b32 exec_lo, exec_lo, s37
	s_and_not1_b32 vcc_lo, exec_lo, s35
	s_cbranch_vccnz .LBB6_4310
; %bb.4301:                             ;   in Loop: Header=BB6_4010 Depth=4
	v_and_b32_e32 v88, 0xff, v78
	s_mov_b32 s13, 0
	s_mov_b32 s38, exec_lo
                                        ; implicit-def: $sgpr37
	s_delay_alu instid0(VALU_DEP_1)
	v_cmpx_lt_i16_e32 0x7f, v88
	s_xor_b32 s38, exec_lo, s38
	s_cbranch_execnz .LBB6_5096
; %bb.4302:                             ;   in Loop: Header=BB6_4010 Depth=4
	s_or_saveexec_b32 s38, s38
	v_mov_b32_e32 v79, s37
	s_xor_b32 exec_lo, exec_lo, s38
	s_cbranch_execnz .LBB6_5099
.LBB6_4303:                             ;   in Loop: Header=BB6_4010 Depth=4
	s_or_b32 exec_lo, exec_lo, s38
	s_and_saveexec_b32 s37, s13
	s_cbranch_execz .LBB6_4305
.LBB6_4304:                             ;   in Loop: Header=BB6_4010 Depth=4
	v_lshrrev_b16 v90, 3, v78
	v_lshlrev_b32_e32 v91, 24, v78
	s_delay_alu instid0(VALU_DEP_2) | instskip(NEXT) | instid1(VALU_DEP_1)
	v_and_b32_e32 v90, 15, v90
	v_cmp_eq_u32_e32 vcc_lo, 0, v90
	v_and_b32_e32 v79, 7, v78
	s_delay_alu instid0(VALU_DEP_1) | instskip(NEXT) | instid1(VALU_DEP_1)
	v_clz_i32_u32_e32 v88, v79
	v_min_u32_e32 v88, 32, v88
	s_delay_alu instid0(VALU_DEP_1) | instskip(SKIP_1) | instid1(VALU_DEP_1)
	v_subrev_nc_u32_e32 v89, 28, v88
	v_sub_nc_u32_e32 v88, 29, v88
	v_dual_cndmask_b32 v88, v90, v88 :: v_dual_lshlrev_b32 v89, v89, v78
	s_delay_alu instid0(VALU_DEP_1) | instskip(NEXT) | instid1(VALU_DEP_2)
	v_and_b32_e32 v89, 7, v89
	v_lshl_add_u32 v88, v88, 23, 0x3b800000
	s_delay_alu instid0(VALU_DEP_2) | instskip(SKIP_1) | instid1(VALU_DEP_2)
	v_cndmask_b32_e32 v79, v79, v89, vcc_lo
	v_and_b32_e32 v89, 0x80000000, v91
	v_lshlrev_b32_e32 v79, 20, v79
	s_delay_alu instid0(VALU_DEP_1)
	v_or3_b32 v79, v89, v88, v79
.LBB6_4305:                             ;   in Loop: Header=BB6_4010 Depth=4
	s_or_b32 exec_lo, exec_lo, s37
	s_waitcnt vmcnt(21) lgkmcnt(21)
	v_and_b32_e32 v89, 0xff, v41
	s_mov_b32 s13, 0
	s_mov_b32 s38, exec_lo
                                        ; implicit-def: $sgpr37
	s_delay_alu instid0(VALU_DEP_1)
	v_cmpx_lt_i16_e32 0x7f, v89
	s_xor_b32 s38, exec_lo, s38
	s_cbranch_execnz .LBB6_5100
; %bb.4306:                             ;   in Loop: Header=BB6_4010 Depth=4
	s_or_saveexec_b32 s38, s38
	v_mov_b32_e32 v88, s37
	s_xor_b32 exec_lo, exec_lo, s38
	s_cbranch_execnz .LBB6_5103
.LBB6_4307:                             ;   in Loop: Header=BB6_4010 Depth=4
	s_or_b32 exec_lo, exec_lo, s38
	s_and_saveexec_b32 s37, s13
	s_cbranch_execz .LBB6_4309
.LBB6_4308:                             ;   in Loop: Header=BB6_4010 Depth=4
	v_and_b32_e32 v88, 7, v41
	v_lshrrev_b16 v91, 3, v41
	v_lshlrev_b32_e32 v92, 24, v41
	s_delay_alu instid0(VALU_DEP_3) | instskip(NEXT) | instid1(VALU_DEP_1)
	v_clz_i32_u32_e32 v89, v88
	v_min_u32_e32 v89, 32, v89
	s_delay_alu instid0(VALU_DEP_1) | instskip(SKIP_1) | instid1(VALU_DEP_2)
	v_subrev_nc_u32_e32 v90, 28, v89
	v_sub_nc_u32_e32 v89, 29, v89
	v_lshlrev_b32_e32 v90, v90, v41
	s_delay_alu instid0(VALU_DEP_1) | instskip(SKIP_1) | instid1(VALU_DEP_1)
	v_and_b32_e32 v90, 7, v90
	v_and_b32_e32 v91, 15, v91
	v_cmp_eq_u32_e32 vcc_lo, 0, v91
	s_delay_alu instid0(VALU_DEP_3) | instskip(SKIP_1) | instid1(VALU_DEP_2)
	v_dual_cndmask_b32 v88, v88, v90 :: v_dual_cndmask_b32 v89, v91, v89
	v_and_b32_e32 v90, 0x80000000, v92
	v_lshlrev_b32_e32 v88, 20, v88
	s_delay_alu instid0(VALU_DEP_3) | instskip(NEXT) | instid1(VALU_DEP_1)
	v_lshl_add_u32 v89, v89, 23, 0x3b800000
	v_or3_b32 v88, v90, v89, v88
.LBB6_4309:                             ;   in Loop: Header=BB6_4010 Depth=4
	s_or_b32 exec_lo, exec_lo, s37
	s_delay_alu instid0(VALU_DEP_1) | instskip(SKIP_1) | instid1(VALU_DEP_1)
	v_dual_max_f32 v88, v88, v88 :: v_dual_max_f32 v79, v79, v79
	s_mov_b32 s13, 0
	v_max_f32_e32 v79, v79, v88
	s_branch .LBB6_4311
.LBB6_4310:                             ;   in Loop: Header=BB6_4010 Depth=4
	s_mov_b32 s13, -1
                                        ; implicit-def: $vgpr79
.LBB6_4311:                             ;   in Loop: Header=BB6_4010 Depth=4
	s_delay_alu instid0(SALU_CYCLE_1)
	s_and_b32 vcc_lo, exec_lo, s13
	s_cbranch_vccz .LBB6_4321
; %bb.4312:                             ;   in Loop: Header=BB6_4010 Depth=4
	v_and_b32_e32 v88, 0xff, v78
	s_mov_b32 s13, 0
	s_mov_b32 s38, exec_lo
                                        ; implicit-def: $sgpr37
	s_delay_alu instid0(VALU_DEP_1)
	v_cmpx_lt_i16_e32 0x7f, v88
	s_xor_b32 s38, exec_lo, s38
	s_cbranch_execnz .LBB6_5104
; %bb.4313:                             ;   in Loop: Header=BB6_4010 Depth=4
	s_or_saveexec_b32 s38, s38
	v_mov_b32_e32 v79, s37
	s_xor_b32 exec_lo, exec_lo, s38
	s_cbranch_execnz .LBB6_5107
.LBB6_4314:                             ;   in Loop: Header=BB6_4010 Depth=4
	s_or_b32 exec_lo, exec_lo, s38
	s_and_saveexec_b32 s37, s13
	s_cbranch_execz .LBB6_4316
.LBB6_4315:                             ;   in Loop: Header=BB6_4010 Depth=4
	v_lshrrev_b16 v90, 3, v78
	s_delay_alu instid0(VALU_DEP_1) | instskip(NEXT) | instid1(VALU_DEP_1)
	v_and_b32_e32 v90, 15, v90
	v_cmp_eq_u32_e32 vcc_lo, 0, v90
	v_and_b32_e32 v79, 7, v78
	s_delay_alu instid0(VALU_DEP_1) | instskip(NEXT) | instid1(VALU_DEP_1)
	v_clz_i32_u32_e32 v88, v79
	v_min_u32_e32 v88, 32, v88
	s_delay_alu instid0(VALU_DEP_1) | instskip(SKIP_1) | instid1(VALU_DEP_1)
	v_subrev_nc_u32_e32 v89, 28, v88
	v_sub_nc_u32_e32 v88, 29, v88
	v_dual_cndmask_b32 v88, v90, v88 :: v_dual_lshlrev_b32 v89, v89, v78
	v_lshlrev_b32_e32 v78, 24, v78
	s_delay_alu instid0(VALU_DEP_2) | instskip(NEXT) | instid1(VALU_DEP_3)
	v_and_b32_e32 v89, 7, v89
	v_lshl_add_u32 v88, v88, 23, 0x3b800000
	s_delay_alu instid0(VALU_DEP_2) | instskip(NEXT) | instid1(VALU_DEP_1)
	v_dual_cndmask_b32 v79, v79, v89 :: v_dual_and_b32 v78, 0x80000000, v78
	v_lshlrev_b32_e32 v79, 20, v79
	s_delay_alu instid0(VALU_DEP_1)
	v_or3_b32 v79, v78, v88, v79
.LBB6_4316:                             ;   in Loop: Header=BB6_4010 Depth=4
	s_or_b32 exec_lo, exec_lo, s37
	s_waitcnt vmcnt(21) lgkmcnt(21)
	v_and_b32_e32 v88, 0xff, v41
	s_mov_b32 s13, 0
	s_mov_b32 s38, exec_lo
                                        ; implicit-def: $sgpr37
	s_delay_alu instid0(VALU_DEP_1)
	v_cmpx_lt_i16_e32 0x7f, v88
	s_xor_b32 s38, exec_lo, s38
	s_cbranch_execnz .LBB6_5108
; %bb.4317:                             ;   in Loop: Header=BB6_4010 Depth=4
	s_or_saveexec_b32 s38, s38
	v_mov_b32_e32 v78, s37
	s_xor_b32 exec_lo, exec_lo, s38
	s_cbranch_execnz .LBB6_5111
.LBB6_4318:                             ;   in Loop: Header=BB6_4010 Depth=4
	s_or_b32 exec_lo, exec_lo, s38
	s_and_saveexec_b32 s37, s13
	s_cbranch_execz .LBB6_4320
.LBB6_4319:                             ;   in Loop: Header=BB6_4010 Depth=4
	v_and_b32_e32 v78, 7, v41
	v_lshrrev_b16 v90, 3, v41
	s_delay_alu instid0(VALU_DEP_2) | instskip(NEXT) | instid1(VALU_DEP_2)
	v_clz_i32_u32_e32 v88, v78
	v_and_b32_e32 v90, 15, v90
	s_delay_alu instid0(VALU_DEP_2) | instskip(NEXT) | instid1(VALU_DEP_2)
	v_min_u32_e32 v88, 32, v88
	v_cmp_eq_u32_e32 vcc_lo, 0, v90
	s_delay_alu instid0(VALU_DEP_2) | instskip(SKIP_1) | instid1(VALU_DEP_1)
	v_subrev_nc_u32_e32 v89, 28, v88
	v_sub_nc_u32_e32 v88, 29, v88
	v_dual_cndmask_b32 v88, v90, v88 :: v_dual_lshlrev_b32 v89, v89, v41
	v_lshlrev_b32_e32 v41, 24, v41
	s_delay_alu instid0(VALU_DEP_2) | instskip(NEXT) | instid1(VALU_DEP_3)
	v_and_b32_e32 v89, 7, v89
	v_lshl_add_u32 v88, v88, 23, 0x3b800000
	s_delay_alu instid0(VALU_DEP_3) | instskip(NEXT) | instid1(VALU_DEP_3)
	v_and_b32_e32 v41, 0x80000000, v41
	v_cndmask_b32_e32 v78, v78, v89, vcc_lo
	s_delay_alu instid0(VALU_DEP_1) | instskip(NEXT) | instid1(VALU_DEP_1)
	v_lshlrev_b32_e32 v78, 20, v78
	v_or3_b32 v78, v41, v88, v78
.LBB6_4320:                             ;   in Loop: Header=BB6_4010 Depth=4
	s_or_b32 exec_lo, exec_lo, s37
	s_delay_alu instid0(VALU_DEP_1) | instskip(NEXT) | instid1(VALU_DEP_1)
	v_dual_max_f32 v41, v78, v78 :: v_dual_max_f32 v78, v79, v79
	v_min_f32_e32 v79, v78, v41
.LBB6_4321:                             ;   in Loop: Header=BB6_4010 Depth=4
	s_waitcnt vmcnt(21) lgkmcnt(21)
	s_delay_alu instid0(VALU_DEP_1) | instskip(NEXT) | instid1(VALU_DEP_1)
	v_and_b32_e32 v41, 0x7f800000, v79
	v_cmp_ne_u32_e32 vcc_lo, 0x7f800000, v41
	v_mov_b32_e32 v41, 0x80
	s_and_saveexec_b32 s37, vcc_lo
	s_cbranch_execz .LBB6_4329
; %bb.4322:                             ;   in Loop: Header=BB6_4010 Depth=4
	v_mov_b32_e32 v41, 0
	s_mov_b32 s38, exec_lo
	v_cmpx_ne_u32_e32 0, v79
	s_cbranch_execz .LBB6_4328
; %bb.4323:                             ;   in Loop: Header=BB6_4010 Depth=4
	v_bfe_u32 v41, v79, 23, 8
	v_and_b32_e32 v78, 0x7fffff, v79
	s_delay_alu instid0(VALU_DEP_2) | instskip(SKIP_1) | instid1(VALU_DEP_3)
	v_sub_nc_u32_e32 v88, 0x78, v41
	v_cmp_gt_u32_e32 vcc_lo, 0x79, v41
	v_or_b32_e32 v89, 0x800000, v78
	s_delay_alu instid0(VALU_DEP_3) | instskip(SKIP_2) | instid1(VALU_DEP_3)
	v_cndmask_b32_e32 v88, 0, v88, vcc_lo
	v_cmp_eq_u32_e32 vcc_lo, 0, v41
	v_add_nc_u32_e32 v41, 0xffffff89, v41
	v_cndmask_b32_e64 v88, v88, 0x77, vcc_lo
	v_cndmask_b32_e32 v78, v89, v78, vcc_lo
	s_delay_alu instid0(VALU_DEP_3) | instskip(NEXT) | instid1(VALU_DEP_3)
	v_cndmask_b32_e64 v41, v41, 0xffffff8a, vcc_lo
	v_lshl_add_u32 v89, 0x100000, v88, -1
	s_delay_alu instid0(VALU_DEP_3) | instskip(SKIP_1) | instid1(VALU_DEP_4)
	v_lshrrev_b32_e32 v90, v88, v78
	v_lshlrev_b32_e64 v92, v88, 0x80000
	v_add_nc_u32_e32 v88, v88, v41
	s_delay_alu instid0(VALU_DEP_4) | instskip(NEXT) | instid1(VALU_DEP_4)
	v_and_b32_e32 v78, v89, v78
	v_bfe_u32 v91, v90, 20, 1
	s_delay_alu instid0(VALU_DEP_2) | instskip(NEXT) | instid1(VALU_DEP_2)
	v_cmp_eq_u32_e64 s13, v78, v92
	v_add_nc_u32_e32 v89, -1, v91
	s_delay_alu instid0(VALU_DEP_1) | instskip(SKIP_2) | instid1(VALU_DEP_2)
	v_cndmask_b32_e64 v78, 0, v89, s13
	v_lshrrev_b32_e32 v89, 23, v90
	s_mov_b32 s13, exec_lo
	v_add_nc_u32_e32 v78, v78, v90
	s_delay_alu instid0(VALU_DEP_2) | instskip(NEXT) | instid1(VALU_DEP_2)
	v_xor_b32_e32 v89, 1, v89
	v_and_b32_e32 v41, 0xfffff, v78
	s_delay_alu instid0(VALU_DEP_1) | instskip(NEXT) | instid1(VALU_DEP_3)
	v_add_nc_u32_e32 v78, v41, v90
                                        ; implicit-def: $vgpr41
	v_cmpx_ne_u32_e64 v88, v89
	s_xor_b32 s13, exec_lo, s13
; %bb.4324:                             ;   in Loop: Header=BB6_4010 Depth=4
	s_delay_alu instid0(VALU_DEP_2) | instskip(SKIP_2) | instid1(VALU_DEP_2)
	v_cmp_lt_u32_e32 vcc_lo, 0xffffff, v78
	v_sub_nc_u32_e32 v41, v88, v89
	v_cndmask_b32_e64 v88, 0, 1, vcc_lo
	v_add_co_ci_u32_e32 v41, vcc_lo, 0, v41, vcc_lo
	s_delay_alu instid0(VALU_DEP_2)
	v_lshrrev_b32_e32 v78, v88, v78
; %bb.4325:                             ;   in Loop: Header=BB6_4010 Depth=4
	s_and_not1_saveexec_b32 s13, s13
; %bb.4326:                             ;   in Loop: Header=BB6_4010 Depth=4
	s_delay_alu instid0(VALU_DEP_1)
	v_bfe_u32 v41, v78, 23, 1
; %bb.4327:                             ;   in Loop: Header=BB6_4010 Depth=4
	s_or_b32 exec_lo, exec_lo, s13
	v_lshrrev_b32_e32 v78, 20, v78
	s_delay_alu instid0(VALU_DEP_2) | instskip(SKIP_2) | instid1(VALU_DEP_2)
	v_cmp_gt_i32_e32 vcc_lo, 16, v41
	v_lshrrev_b32_e32 v79, 24, v79
	v_min_i32_e32 v88, 15, v41
	v_dual_cndmask_b32 v78, 7, v78 :: v_dual_and_b32 v79, 0x80, v79
	s_delay_alu instid0(VALU_DEP_1) | instskip(SKIP_1) | instid1(VALU_DEP_2)
	v_or_b32_e32 v41, v41, v78
	v_and_b32_e32 v89, 7, v78
	v_cmp_ne_u32_e32 vcc_lo, 0, v41
	v_lshlrev_b32_e32 v88, 3, v88
	s_delay_alu instid0(VALU_DEP_1) | instskip(NEXT) | instid1(VALU_DEP_1)
	v_or3_b32 v78, v88, v79, v89
	v_cndmask_b32_e32 v41, 0, v78, vcc_lo
.LBB6_4328:                             ;   in Loop: Header=BB6_4010 Depth=4
	s_or_b32 exec_lo, exec_lo, s38
.LBB6_4329:                             ;   in Loop: Header=BB6_4010 Depth=4
	s_delay_alu instid0(SALU_CYCLE_1) | instskip(NEXT) | instid1(SALU_CYCLE_1)
	s_or_b32 exec_lo, exec_lo, s37
	s_and_not1_b32 vcc_lo, exec_lo, s35
	s_cbranch_vccnz .LBB6_4339
; %bb.4330:                             ;   in Loop: Header=BB6_4010 Depth=4
	v_and_b32_e32 v79, 0xff, v77
	s_mov_b32 s13, 0
	s_mov_b32 s38, exec_lo
                                        ; implicit-def: $sgpr37
	s_delay_alu instid0(VALU_DEP_1)
	v_cmpx_lt_i16_e32 0x7f, v79
	s_xor_b32 s38, exec_lo, s38
	s_cbranch_execnz .LBB6_5112
; %bb.4331:                             ;   in Loop: Header=BB6_4010 Depth=4
	s_or_saveexec_b32 s38, s38
	v_mov_b32_e32 v78, s37
	s_xor_b32 exec_lo, exec_lo, s38
	s_cbranch_execnz .LBB6_5115
.LBB6_4332:                             ;   in Loop: Header=BB6_4010 Depth=4
	s_or_b32 exec_lo, exec_lo, s38
	s_and_saveexec_b32 s37, s13
	s_cbranch_execz .LBB6_4334
.LBB6_4333:                             ;   in Loop: Header=BB6_4010 Depth=4
	v_lshrrev_b16 v89, 3, v77
	v_lshlrev_b32_e32 v90, 24, v77
	s_delay_alu instid0(VALU_DEP_2) | instskip(NEXT) | instid1(VALU_DEP_1)
	v_and_b32_e32 v89, 15, v89
	v_cmp_eq_u32_e32 vcc_lo, 0, v89
	v_and_b32_e32 v78, 7, v77
	s_delay_alu instid0(VALU_DEP_1) | instskip(NEXT) | instid1(VALU_DEP_1)
	v_clz_i32_u32_e32 v79, v78
	v_min_u32_e32 v79, 32, v79
	s_delay_alu instid0(VALU_DEP_1) | instskip(SKIP_1) | instid1(VALU_DEP_1)
	v_subrev_nc_u32_e32 v88, 28, v79
	v_sub_nc_u32_e32 v79, 29, v79
	v_dual_cndmask_b32 v79, v89, v79 :: v_dual_lshlrev_b32 v88, v88, v77
	s_delay_alu instid0(VALU_DEP_1) | instskip(NEXT) | instid1(VALU_DEP_2)
	v_and_b32_e32 v88, 7, v88
	v_lshl_add_u32 v79, v79, 23, 0x3b800000
	s_delay_alu instid0(VALU_DEP_2) | instskip(SKIP_1) | instid1(VALU_DEP_2)
	v_cndmask_b32_e32 v78, v78, v88, vcc_lo
	v_and_b32_e32 v88, 0x80000000, v90
	v_lshlrev_b32_e32 v78, 20, v78
	s_delay_alu instid0(VALU_DEP_1)
	v_or3_b32 v78, v88, v79, v78
.LBB6_4334:                             ;   in Loop: Header=BB6_4010 Depth=4
	s_or_b32 exec_lo, exec_lo, s37
	s_waitcnt vmcnt(20) lgkmcnt(20)
	v_and_b32_e32 v88, 0xff, v44
	s_mov_b32 s13, 0
	s_mov_b32 s38, exec_lo
                                        ; implicit-def: $sgpr37
	s_delay_alu instid0(VALU_DEP_1)
	v_cmpx_lt_i16_e32 0x7f, v88
	s_xor_b32 s38, exec_lo, s38
	s_cbranch_execnz .LBB6_5116
; %bb.4335:                             ;   in Loop: Header=BB6_4010 Depth=4
	s_or_saveexec_b32 s38, s38
	v_mov_b32_e32 v79, s37
	s_xor_b32 exec_lo, exec_lo, s38
	s_cbranch_execnz .LBB6_5119
.LBB6_4336:                             ;   in Loop: Header=BB6_4010 Depth=4
	s_or_b32 exec_lo, exec_lo, s38
	s_and_saveexec_b32 s37, s13
	s_cbranch_execz .LBB6_4338
.LBB6_4337:                             ;   in Loop: Header=BB6_4010 Depth=4
	v_and_b32_e32 v79, 7, v44
	v_lshrrev_b16 v90, 3, v44
	v_lshlrev_b32_e32 v91, 24, v44
	s_delay_alu instid0(VALU_DEP_3) | instskip(NEXT) | instid1(VALU_DEP_1)
	v_clz_i32_u32_e32 v88, v79
	v_min_u32_e32 v88, 32, v88
	s_delay_alu instid0(VALU_DEP_1) | instskip(SKIP_1) | instid1(VALU_DEP_2)
	v_subrev_nc_u32_e32 v89, 28, v88
	v_sub_nc_u32_e32 v88, 29, v88
	v_lshlrev_b32_e32 v89, v89, v44
	s_delay_alu instid0(VALU_DEP_1) | instskip(SKIP_1) | instid1(VALU_DEP_1)
	v_and_b32_e32 v89, 7, v89
	v_and_b32_e32 v90, 15, v90
	v_cmp_eq_u32_e32 vcc_lo, 0, v90
	s_delay_alu instid0(VALU_DEP_3) | instskip(SKIP_1) | instid1(VALU_DEP_2)
	v_dual_cndmask_b32 v79, v79, v89 :: v_dual_cndmask_b32 v88, v90, v88
	v_and_b32_e32 v89, 0x80000000, v91
	v_lshlrev_b32_e32 v79, 20, v79
	s_delay_alu instid0(VALU_DEP_3) | instskip(NEXT) | instid1(VALU_DEP_1)
	v_lshl_add_u32 v88, v88, 23, 0x3b800000
	v_or3_b32 v79, v89, v88, v79
.LBB6_4338:                             ;   in Loop: Header=BB6_4010 Depth=4
	s_or_b32 exec_lo, exec_lo, s37
	s_delay_alu instid0(VALU_DEP_1) | instskip(SKIP_1) | instid1(VALU_DEP_1)
	v_dual_max_f32 v79, v79, v79 :: v_dual_max_f32 v78, v78, v78
	s_mov_b32 s13, 0
	v_max_f32_e32 v78, v78, v79
	s_branch .LBB6_4340
.LBB6_4339:                             ;   in Loop: Header=BB6_4010 Depth=4
	s_mov_b32 s13, -1
                                        ; implicit-def: $vgpr78
.LBB6_4340:                             ;   in Loop: Header=BB6_4010 Depth=4
	s_delay_alu instid0(SALU_CYCLE_1)
	s_and_b32 vcc_lo, exec_lo, s13
	s_cbranch_vccz .LBB6_4350
; %bb.4341:                             ;   in Loop: Header=BB6_4010 Depth=4
	v_and_b32_e32 v79, 0xff, v77
	s_mov_b32 s13, 0
	s_mov_b32 s38, exec_lo
                                        ; implicit-def: $sgpr37
	s_delay_alu instid0(VALU_DEP_1)
	v_cmpx_lt_i16_e32 0x7f, v79
	s_xor_b32 s38, exec_lo, s38
	s_cbranch_execnz .LBB6_5120
; %bb.4342:                             ;   in Loop: Header=BB6_4010 Depth=4
	s_or_saveexec_b32 s38, s38
	v_mov_b32_e32 v78, s37
	s_xor_b32 exec_lo, exec_lo, s38
	s_cbranch_execnz .LBB6_5123
.LBB6_4343:                             ;   in Loop: Header=BB6_4010 Depth=4
	s_or_b32 exec_lo, exec_lo, s38
	s_and_saveexec_b32 s37, s13
	s_cbranch_execz .LBB6_4345
.LBB6_4344:                             ;   in Loop: Header=BB6_4010 Depth=4
	v_lshrrev_b16 v89, 3, v77
	s_delay_alu instid0(VALU_DEP_1) | instskip(NEXT) | instid1(VALU_DEP_1)
	v_and_b32_e32 v89, 15, v89
	v_cmp_eq_u32_e32 vcc_lo, 0, v89
	v_and_b32_e32 v78, 7, v77
	s_delay_alu instid0(VALU_DEP_1) | instskip(NEXT) | instid1(VALU_DEP_1)
	v_clz_i32_u32_e32 v79, v78
	v_min_u32_e32 v79, 32, v79
	s_delay_alu instid0(VALU_DEP_1) | instskip(SKIP_1) | instid1(VALU_DEP_1)
	v_subrev_nc_u32_e32 v88, 28, v79
	v_sub_nc_u32_e32 v79, 29, v79
	v_dual_cndmask_b32 v79, v89, v79 :: v_dual_lshlrev_b32 v88, v88, v77
	v_lshlrev_b32_e32 v77, 24, v77
	s_delay_alu instid0(VALU_DEP_2) | instskip(NEXT) | instid1(VALU_DEP_3)
	v_and_b32_e32 v88, 7, v88
	v_lshl_add_u32 v79, v79, 23, 0x3b800000
	s_delay_alu instid0(VALU_DEP_2) | instskip(NEXT) | instid1(VALU_DEP_1)
	v_dual_cndmask_b32 v78, v78, v88 :: v_dual_and_b32 v77, 0x80000000, v77
	v_lshlrev_b32_e32 v78, 20, v78
	s_delay_alu instid0(VALU_DEP_1)
	v_or3_b32 v78, v77, v79, v78
.LBB6_4345:                             ;   in Loop: Header=BB6_4010 Depth=4
	s_or_b32 exec_lo, exec_lo, s37
	s_waitcnt vmcnt(20) lgkmcnt(20)
	v_and_b32_e32 v79, 0xff, v44
	s_mov_b32 s13, 0
	s_mov_b32 s38, exec_lo
                                        ; implicit-def: $sgpr37
	s_delay_alu instid0(VALU_DEP_1)
	v_cmpx_lt_i16_e32 0x7f, v79
	s_xor_b32 s38, exec_lo, s38
	s_cbranch_execnz .LBB6_5124
; %bb.4346:                             ;   in Loop: Header=BB6_4010 Depth=4
	s_or_saveexec_b32 s38, s38
	v_mov_b32_e32 v77, s37
	s_xor_b32 exec_lo, exec_lo, s38
	s_cbranch_execnz .LBB6_5127
.LBB6_4347:                             ;   in Loop: Header=BB6_4010 Depth=4
	s_or_b32 exec_lo, exec_lo, s38
	s_and_saveexec_b32 s37, s13
	s_cbranch_execz .LBB6_4349
.LBB6_4348:                             ;   in Loop: Header=BB6_4010 Depth=4
	v_and_b32_e32 v77, 7, v44
	v_lshrrev_b16 v89, 3, v44
	s_delay_alu instid0(VALU_DEP_2) | instskip(NEXT) | instid1(VALU_DEP_2)
	v_clz_i32_u32_e32 v79, v77
	v_and_b32_e32 v89, 15, v89
	s_delay_alu instid0(VALU_DEP_2) | instskip(NEXT) | instid1(VALU_DEP_2)
	v_min_u32_e32 v79, 32, v79
	v_cmp_eq_u32_e32 vcc_lo, 0, v89
	s_delay_alu instid0(VALU_DEP_2) | instskip(SKIP_1) | instid1(VALU_DEP_1)
	v_subrev_nc_u32_e32 v88, 28, v79
	v_sub_nc_u32_e32 v79, 29, v79
	v_dual_cndmask_b32 v79, v89, v79 :: v_dual_lshlrev_b32 v88, v88, v44
	v_lshlrev_b32_e32 v44, 24, v44
	s_delay_alu instid0(VALU_DEP_2) | instskip(NEXT) | instid1(VALU_DEP_3)
	v_and_b32_e32 v88, 7, v88
	v_lshl_add_u32 v79, v79, 23, 0x3b800000
	s_delay_alu instid0(VALU_DEP_3) | instskip(NEXT) | instid1(VALU_DEP_3)
	v_and_b32_e32 v44, 0x80000000, v44
	v_cndmask_b32_e32 v77, v77, v88, vcc_lo
	s_delay_alu instid0(VALU_DEP_1) | instskip(NEXT) | instid1(VALU_DEP_1)
	v_lshlrev_b32_e32 v77, 20, v77
	v_or3_b32 v77, v44, v79, v77
.LBB6_4349:                             ;   in Loop: Header=BB6_4010 Depth=4
	s_or_b32 exec_lo, exec_lo, s37
	s_delay_alu instid0(VALU_DEP_1) | instskip(NEXT) | instid1(VALU_DEP_1)
	v_dual_max_f32 v44, v77, v77 :: v_dual_max_f32 v77, v78, v78
	v_min_f32_e32 v78, v77, v44
.LBB6_4350:                             ;   in Loop: Header=BB6_4010 Depth=4
	s_waitcnt vmcnt(20) lgkmcnt(20)
	s_delay_alu instid0(VALU_DEP_1) | instskip(NEXT) | instid1(VALU_DEP_1)
	v_and_b32_e32 v44, 0x7f800000, v78
	v_cmp_ne_u32_e32 vcc_lo, 0x7f800000, v44
	v_mov_b32_e32 v44, 0x80
	s_and_saveexec_b32 s37, vcc_lo
	s_cbranch_execz .LBB6_4358
; %bb.4351:                             ;   in Loop: Header=BB6_4010 Depth=4
	v_mov_b32_e32 v44, 0
	s_mov_b32 s38, exec_lo
	v_cmpx_ne_u32_e32 0, v78
	s_cbranch_execz .LBB6_4357
; %bb.4352:                             ;   in Loop: Header=BB6_4010 Depth=4
	v_bfe_u32 v44, v78, 23, 8
	v_and_b32_e32 v77, 0x7fffff, v78
	s_delay_alu instid0(VALU_DEP_2) | instskip(SKIP_1) | instid1(VALU_DEP_3)
	v_sub_nc_u32_e32 v79, 0x78, v44
	v_cmp_gt_u32_e32 vcc_lo, 0x79, v44
	v_or_b32_e32 v88, 0x800000, v77
	s_delay_alu instid0(VALU_DEP_3) | instskip(SKIP_2) | instid1(VALU_DEP_3)
	v_cndmask_b32_e32 v79, 0, v79, vcc_lo
	v_cmp_eq_u32_e32 vcc_lo, 0, v44
	v_add_nc_u32_e32 v44, 0xffffff89, v44
	v_cndmask_b32_e64 v79, v79, 0x77, vcc_lo
	v_cndmask_b32_e32 v77, v88, v77, vcc_lo
	s_delay_alu instid0(VALU_DEP_3) | instskip(NEXT) | instid1(VALU_DEP_3)
	v_cndmask_b32_e64 v44, v44, 0xffffff8a, vcc_lo
	v_lshl_add_u32 v88, 0x100000, v79, -1
	s_delay_alu instid0(VALU_DEP_3) | instskip(SKIP_1) | instid1(VALU_DEP_4)
	v_lshrrev_b32_e32 v89, v79, v77
	v_lshlrev_b32_e64 v91, v79, 0x80000
	v_add_nc_u32_e32 v79, v79, v44
	s_delay_alu instid0(VALU_DEP_4) | instskip(NEXT) | instid1(VALU_DEP_4)
	v_and_b32_e32 v77, v88, v77
	v_bfe_u32 v90, v89, 20, 1
	s_delay_alu instid0(VALU_DEP_2) | instskip(NEXT) | instid1(VALU_DEP_2)
	v_cmp_eq_u32_e64 s13, v77, v91
	v_add_nc_u32_e32 v88, -1, v90
	s_delay_alu instid0(VALU_DEP_1) | instskip(SKIP_2) | instid1(VALU_DEP_2)
	v_cndmask_b32_e64 v77, 0, v88, s13
	v_lshrrev_b32_e32 v88, 23, v89
	s_mov_b32 s13, exec_lo
	v_add_nc_u32_e32 v77, v77, v89
	s_delay_alu instid0(VALU_DEP_2) | instskip(NEXT) | instid1(VALU_DEP_2)
	v_xor_b32_e32 v88, 1, v88
	v_and_b32_e32 v44, 0xfffff, v77
	s_delay_alu instid0(VALU_DEP_1) | instskip(NEXT) | instid1(VALU_DEP_3)
	v_add_nc_u32_e32 v77, v44, v89
                                        ; implicit-def: $vgpr44
	v_cmpx_ne_u32_e64 v79, v88
	s_xor_b32 s13, exec_lo, s13
; %bb.4353:                             ;   in Loop: Header=BB6_4010 Depth=4
	s_delay_alu instid0(VALU_DEP_2) | instskip(SKIP_2) | instid1(VALU_DEP_2)
	v_cmp_lt_u32_e32 vcc_lo, 0xffffff, v77
	v_sub_nc_u32_e32 v44, v79, v88
	v_cndmask_b32_e64 v79, 0, 1, vcc_lo
	v_add_co_ci_u32_e32 v44, vcc_lo, 0, v44, vcc_lo
	s_delay_alu instid0(VALU_DEP_2)
	v_lshrrev_b32_e32 v77, v79, v77
; %bb.4354:                             ;   in Loop: Header=BB6_4010 Depth=4
	s_and_not1_saveexec_b32 s13, s13
; %bb.4355:                             ;   in Loop: Header=BB6_4010 Depth=4
	s_delay_alu instid0(VALU_DEP_1)
	v_bfe_u32 v44, v77, 23, 1
; %bb.4356:                             ;   in Loop: Header=BB6_4010 Depth=4
	s_or_b32 exec_lo, exec_lo, s13
	v_lshrrev_b32_e32 v77, 20, v77
	s_delay_alu instid0(VALU_DEP_2) | instskip(SKIP_2) | instid1(VALU_DEP_2)
	v_cmp_gt_i32_e32 vcc_lo, 16, v44
	v_lshrrev_b32_e32 v78, 24, v78
	v_min_i32_e32 v79, 15, v44
	v_dual_cndmask_b32 v77, 7, v77 :: v_dual_and_b32 v78, 0x80, v78
	s_delay_alu instid0(VALU_DEP_1) | instskip(SKIP_1) | instid1(VALU_DEP_2)
	v_or_b32_e32 v44, v44, v77
	v_and_b32_e32 v88, 7, v77
	v_cmp_ne_u32_e32 vcc_lo, 0, v44
	v_lshlrev_b32_e32 v79, 3, v79
	s_delay_alu instid0(VALU_DEP_1) | instskip(NEXT) | instid1(VALU_DEP_1)
	v_or3_b32 v77, v79, v78, v88
	v_cndmask_b32_e32 v44, 0, v77, vcc_lo
.LBB6_4357:                             ;   in Loop: Header=BB6_4010 Depth=4
	s_or_b32 exec_lo, exec_lo, s38
.LBB6_4358:                             ;   in Loop: Header=BB6_4010 Depth=4
	s_delay_alu instid0(SALU_CYCLE_1) | instskip(NEXT) | instid1(SALU_CYCLE_1)
	s_or_b32 exec_lo, exec_lo, s37
	s_and_not1_b32 vcc_lo, exec_lo, s35
	s_cbranch_vccnz .LBB6_4368
; %bb.4359:                             ;   in Loop: Header=BB6_4010 Depth=4
	v_and_b32_e32 v78, 0xff, v76
	s_mov_b32 s13, 0
	s_mov_b32 s38, exec_lo
                                        ; implicit-def: $sgpr37
	s_delay_alu instid0(VALU_DEP_1)
	v_cmpx_lt_i16_e32 0x7f, v78
	s_xor_b32 s38, exec_lo, s38
	s_cbranch_execnz .LBB6_5128
; %bb.4360:                             ;   in Loop: Header=BB6_4010 Depth=4
	s_or_saveexec_b32 s38, s38
	v_mov_b32_e32 v77, s37
	s_xor_b32 exec_lo, exec_lo, s38
	s_cbranch_execnz .LBB6_5131
.LBB6_4361:                             ;   in Loop: Header=BB6_4010 Depth=4
	s_or_b32 exec_lo, exec_lo, s38
	s_and_saveexec_b32 s37, s13
	s_cbranch_execz .LBB6_4363
.LBB6_4362:                             ;   in Loop: Header=BB6_4010 Depth=4
	v_lshrrev_b16 v88, 3, v76
	v_lshlrev_b32_e32 v89, 24, v76
	s_delay_alu instid0(VALU_DEP_2) | instskip(NEXT) | instid1(VALU_DEP_1)
	v_and_b32_e32 v88, 15, v88
	v_cmp_eq_u32_e32 vcc_lo, 0, v88
	v_and_b32_e32 v77, 7, v76
	s_delay_alu instid0(VALU_DEP_1) | instskip(NEXT) | instid1(VALU_DEP_1)
	v_clz_i32_u32_e32 v78, v77
	v_min_u32_e32 v78, 32, v78
	s_delay_alu instid0(VALU_DEP_1) | instskip(SKIP_1) | instid1(VALU_DEP_1)
	v_subrev_nc_u32_e32 v79, 28, v78
	v_sub_nc_u32_e32 v78, 29, v78
	v_dual_cndmask_b32 v78, v88, v78 :: v_dual_lshlrev_b32 v79, v79, v76
	s_delay_alu instid0(VALU_DEP_1) | instskip(NEXT) | instid1(VALU_DEP_2)
	v_and_b32_e32 v79, 7, v79
	v_lshl_add_u32 v78, v78, 23, 0x3b800000
	s_delay_alu instid0(VALU_DEP_2) | instskip(SKIP_1) | instid1(VALU_DEP_2)
	v_cndmask_b32_e32 v77, v77, v79, vcc_lo
	v_and_b32_e32 v79, 0x80000000, v89
	v_lshlrev_b32_e32 v77, 20, v77
	s_delay_alu instid0(VALU_DEP_1)
	v_or3_b32 v77, v79, v78, v77
.LBB6_4363:                             ;   in Loop: Header=BB6_4010 Depth=4
	s_or_b32 exec_lo, exec_lo, s37
	s_waitcnt vmcnt(19) lgkmcnt(19)
	v_and_b32_e32 v79, 0xff, v47
	s_mov_b32 s13, 0
	s_mov_b32 s38, exec_lo
                                        ; implicit-def: $sgpr37
	s_delay_alu instid0(VALU_DEP_1)
	v_cmpx_lt_i16_e32 0x7f, v79
	s_xor_b32 s38, exec_lo, s38
	s_cbranch_execnz .LBB6_5132
; %bb.4364:                             ;   in Loop: Header=BB6_4010 Depth=4
	s_or_saveexec_b32 s38, s38
	v_mov_b32_e32 v78, s37
	s_xor_b32 exec_lo, exec_lo, s38
	s_cbranch_execnz .LBB6_5135
.LBB6_4365:                             ;   in Loop: Header=BB6_4010 Depth=4
	s_or_b32 exec_lo, exec_lo, s38
	s_and_saveexec_b32 s37, s13
	s_cbranch_execz .LBB6_4367
.LBB6_4366:                             ;   in Loop: Header=BB6_4010 Depth=4
	v_and_b32_e32 v78, 7, v47
	v_lshrrev_b16 v89, 3, v47
	v_lshlrev_b32_e32 v90, 24, v47
	s_delay_alu instid0(VALU_DEP_3) | instskip(NEXT) | instid1(VALU_DEP_1)
	v_clz_i32_u32_e32 v79, v78
	v_min_u32_e32 v79, 32, v79
	s_delay_alu instid0(VALU_DEP_1) | instskip(SKIP_1) | instid1(VALU_DEP_2)
	v_subrev_nc_u32_e32 v88, 28, v79
	v_sub_nc_u32_e32 v79, 29, v79
	v_lshlrev_b32_e32 v88, v88, v47
	s_delay_alu instid0(VALU_DEP_1) | instskip(SKIP_1) | instid1(VALU_DEP_1)
	v_and_b32_e32 v88, 7, v88
	v_and_b32_e32 v89, 15, v89
	v_cmp_eq_u32_e32 vcc_lo, 0, v89
	s_delay_alu instid0(VALU_DEP_3) | instskip(SKIP_1) | instid1(VALU_DEP_2)
	v_dual_cndmask_b32 v78, v78, v88 :: v_dual_cndmask_b32 v79, v89, v79
	v_and_b32_e32 v88, 0x80000000, v90
	v_lshlrev_b32_e32 v78, 20, v78
	s_delay_alu instid0(VALU_DEP_3) | instskip(NEXT) | instid1(VALU_DEP_1)
	v_lshl_add_u32 v79, v79, 23, 0x3b800000
	v_or3_b32 v78, v88, v79, v78
.LBB6_4367:                             ;   in Loop: Header=BB6_4010 Depth=4
	s_or_b32 exec_lo, exec_lo, s37
	s_delay_alu instid0(VALU_DEP_1) | instskip(SKIP_1) | instid1(VALU_DEP_1)
	v_dual_max_f32 v78, v78, v78 :: v_dual_max_f32 v77, v77, v77
	s_mov_b32 s13, 0
	v_max_f32_e32 v77, v77, v78
	s_branch .LBB6_4369
.LBB6_4368:                             ;   in Loop: Header=BB6_4010 Depth=4
	s_mov_b32 s13, -1
                                        ; implicit-def: $vgpr77
.LBB6_4369:                             ;   in Loop: Header=BB6_4010 Depth=4
	s_delay_alu instid0(SALU_CYCLE_1)
	s_and_b32 vcc_lo, exec_lo, s13
	s_cbranch_vccz .LBB6_4379
; %bb.4370:                             ;   in Loop: Header=BB6_4010 Depth=4
	v_and_b32_e32 v78, 0xff, v76
	s_mov_b32 s13, 0
	s_mov_b32 s38, exec_lo
                                        ; implicit-def: $sgpr37
	s_delay_alu instid0(VALU_DEP_1)
	v_cmpx_lt_i16_e32 0x7f, v78
	s_xor_b32 s38, exec_lo, s38
	s_cbranch_execnz .LBB6_5136
; %bb.4371:                             ;   in Loop: Header=BB6_4010 Depth=4
	s_or_saveexec_b32 s38, s38
	v_mov_b32_e32 v77, s37
	s_xor_b32 exec_lo, exec_lo, s38
	s_cbranch_execnz .LBB6_5139
.LBB6_4372:                             ;   in Loop: Header=BB6_4010 Depth=4
	s_or_b32 exec_lo, exec_lo, s38
	s_and_saveexec_b32 s37, s13
	s_cbranch_execz .LBB6_4374
.LBB6_4373:                             ;   in Loop: Header=BB6_4010 Depth=4
	v_lshrrev_b16 v88, 3, v76
	s_delay_alu instid0(VALU_DEP_1) | instskip(NEXT) | instid1(VALU_DEP_1)
	v_and_b32_e32 v88, 15, v88
	v_cmp_eq_u32_e32 vcc_lo, 0, v88
	v_and_b32_e32 v77, 7, v76
	s_delay_alu instid0(VALU_DEP_1) | instskip(NEXT) | instid1(VALU_DEP_1)
	v_clz_i32_u32_e32 v78, v77
	v_min_u32_e32 v78, 32, v78
	s_delay_alu instid0(VALU_DEP_1) | instskip(SKIP_1) | instid1(VALU_DEP_1)
	v_subrev_nc_u32_e32 v79, 28, v78
	v_sub_nc_u32_e32 v78, 29, v78
	v_dual_cndmask_b32 v78, v88, v78 :: v_dual_lshlrev_b32 v79, v79, v76
	v_lshlrev_b32_e32 v76, 24, v76
	s_delay_alu instid0(VALU_DEP_2) | instskip(NEXT) | instid1(VALU_DEP_3)
	v_and_b32_e32 v79, 7, v79
	v_lshl_add_u32 v78, v78, 23, 0x3b800000
	s_delay_alu instid0(VALU_DEP_2) | instskip(NEXT) | instid1(VALU_DEP_1)
	v_dual_cndmask_b32 v77, v77, v79 :: v_dual_and_b32 v76, 0x80000000, v76
	v_lshlrev_b32_e32 v77, 20, v77
	s_delay_alu instid0(VALU_DEP_1)
	v_or3_b32 v77, v76, v78, v77
.LBB6_4374:                             ;   in Loop: Header=BB6_4010 Depth=4
	s_or_b32 exec_lo, exec_lo, s37
	s_waitcnt vmcnt(19) lgkmcnt(19)
	v_and_b32_e32 v78, 0xff, v47
	s_mov_b32 s13, 0
	s_mov_b32 s38, exec_lo
                                        ; implicit-def: $sgpr37
	s_delay_alu instid0(VALU_DEP_1)
	v_cmpx_lt_i16_e32 0x7f, v78
	s_xor_b32 s38, exec_lo, s38
	s_cbranch_execnz .LBB6_5140
; %bb.4375:                             ;   in Loop: Header=BB6_4010 Depth=4
	s_or_saveexec_b32 s38, s38
	v_mov_b32_e32 v76, s37
	s_xor_b32 exec_lo, exec_lo, s38
	s_cbranch_execnz .LBB6_5143
.LBB6_4376:                             ;   in Loop: Header=BB6_4010 Depth=4
	s_or_b32 exec_lo, exec_lo, s38
	s_and_saveexec_b32 s37, s13
	s_cbranch_execz .LBB6_4378
.LBB6_4377:                             ;   in Loop: Header=BB6_4010 Depth=4
	v_and_b32_e32 v76, 7, v47
	v_lshrrev_b16 v88, 3, v47
	s_delay_alu instid0(VALU_DEP_2) | instskip(NEXT) | instid1(VALU_DEP_2)
	v_clz_i32_u32_e32 v78, v76
	v_and_b32_e32 v88, 15, v88
	s_delay_alu instid0(VALU_DEP_2) | instskip(NEXT) | instid1(VALU_DEP_2)
	v_min_u32_e32 v78, 32, v78
	v_cmp_eq_u32_e32 vcc_lo, 0, v88
	s_delay_alu instid0(VALU_DEP_2) | instskip(SKIP_1) | instid1(VALU_DEP_1)
	v_subrev_nc_u32_e32 v79, 28, v78
	v_sub_nc_u32_e32 v78, 29, v78
	v_dual_cndmask_b32 v78, v88, v78 :: v_dual_lshlrev_b32 v79, v79, v47
	v_lshlrev_b32_e32 v47, 24, v47
	s_delay_alu instid0(VALU_DEP_2) | instskip(NEXT) | instid1(VALU_DEP_3)
	v_and_b32_e32 v79, 7, v79
	v_lshl_add_u32 v78, v78, 23, 0x3b800000
	s_delay_alu instid0(VALU_DEP_3) | instskip(NEXT) | instid1(VALU_DEP_3)
	v_and_b32_e32 v47, 0x80000000, v47
	v_cndmask_b32_e32 v76, v76, v79, vcc_lo
	s_delay_alu instid0(VALU_DEP_1) | instskip(NEXT) | instid1(VALU_DEP_1)
	v_lshlrev_b32_e32 v76, 20, v76
	v_or3_b32 v76, v47, v78, v76
.LBB6_4378:                             ;   in Loop: Header=BB6_4010 Depth=4
	s_or_b32 exec_lo, exec_lo, s37
	s_delay_alu instid0(VALU_DEP_1) | instskip(NEXT) | instid1(VALU_DEP_1)
	v_dual_max_f32 v47, v76, v76 :: v_dual_max_f32 v76, v77, v77
	v_min_f32_e32 v77, v76, v47
.LBB6_4379:                             ;   in Loop: Header=BB6_4010 Depth=4
	s_waitcnt vmcnt(19) lgkmcnt(19)
	s_delay_alu instid0(VALU_DEP_1) | instskip(NEXT) | instid1(VALU_DEP_1)
	v_and_b32_e32 v47, 0x7f800000, v77
	v_cmp_ne_u32_e32 vcc_lo, 0x7f800000, v47
	v_mov_b32_e32 v47, 0x80
	s_and_saveexec_b32 s37, vcc_lo
	s_cbranch_execz .LBB6_4387
; %bb.4380:                             ;   in Loop: Header=BB6_4010 Depth=4
	v_mov_b32_e32 v47, 0
	s_mov_b32 s38, exec_lo
	v_cmpx_ne_u32_e32 0, v77
	s_cbranch_execz .LBB6_4386
; %bb.4381:                             ;   in Loop: Header=BB6_4010 Depth=4
	v_bfe_u32 v47, v77, 23, 8
	v_and_b32_e32 v76, 0x7fffff, v77
	s_delay_alu instid0(VALU_DEP_2) | instskip(SKIP_1) | instid1(VALU_DEP_3)
	v_sub_nc_u32_e32 v78, 0x78, v47
	v_cmp_gt_u32_e32 vcc_lo, 0x79, v47
	v_or_b32_e32 v79, 0x800000, v76
	s_delay_alu instid0(VALU_DEP_3) | instskip(SKIP_2) | instid1(VALU_DEP_3)
	v_cndmask_b32_e32 v78, 0, v78, vcc_lo
	v_cmp_eq_u32_e32 vcc_lo, 0, v47
	v_add_nc_u32_e32 v47, 0xffffff89, v47
	v_cndmask_b32_e64 v78, v78, 0x77, vcc_lo
	v_cndmask_b32_e32 v76, v79, v76, vcc_lo
	s_delay_alu instid0(VALU_DEP_3) | instskip(NEXT) | instid1(VALU_DEP_3)
	v_cndmask_b32_e64 v47, v47, 0xffffff8a, vcc_lo
	v_lshl_add_u32 v79, 0x100000, v78, -1
	s_delay_alu instid0(VALU_DEP_3) | instskip(SKIP_1) | instid1(VALU_DEP_4)
	v_lshrrev_b32_e32 v88, v78, v76
	v_lshlrev_b32_e64 v90, v78, 0x80000
	v_add_nc_u32_e32 v78, v78, v47
	s_delay_alu instid0(VALU_DEP_4) | instskip(NEXT) | instid1(VALU_DEP_4)
	v_and_b32_e32 v76, v79, v76
	v_bfe_u32 v89, v88, 20, 1
	s_delay_alu instid0(VALU_DEP_2) | instskip(NEXT) | instid1(VALU_DEP_2)
	v_cmp_eq_u32_e64 s13, v76, v90
	v_add_nc_u32_e32 v79, -1, v89
	s_delay_alu instid0(VALU_DEP_1) | instskip(SKIP_2) | instid1(VALU_DEP_2)
	v_cndmask_b32_e64 v76, 0, v79, s13
	v_lshrrev_b32_e32 v79, 23, v88
	s_mov_b32 s13, exec_lo
	v_add_nc_u32_e32 v76, v76, v88
	s_delay_alu instid0(VALU_DEP_2) | instskip(NEXT) | instid1(VALU_DEP_2)
	v_xor_b32_e32 v79, 1, v79
	v_and_b32_e32 v47, 0xfffff, v76
	s_delay_alu instid0(VALU_DEP_1) | instskip(NEXT) | instid1(VALU_DEP_3)
	v_add_nc_u32_e32 v76, v47, v88
                                        ; implicit-def: $vgpr47
	v_cmpx_ne_u32_e64 v78, v79
	s_xor_b32 s13, exec_lo, s13
; %bb.4382:                             ;   in Loop: Header=BB6_4010 Depth=4
	s_delay_alu instid0(VALU_DEP_2) | instskip(SKIP_2) | instid1(VALU_DEP_2)
	v_cmp_lt_u32_e32 vcc_lo, 0xffffff, v76
	v_sub_nc_u32_e32 v47, v78, v79
	v_cndmask_b32_e64 v78, 0, 1, vcc_lo
	v_add_co_ci_u32_e32 v47, vcc_lo, 0, v47, vcc_lo
	s_delay_alu instid0(VALU_DEP_2)
	v_lshrrev_b32_e32 v76, v78, v76
; %bb.4383:                             ;   in Loop: Header=BB6_4010 Depth=4
	s_and_not1_saveexec_b32 s13, s13
; %bb.4384:                             ;   in Loop: Header=BB6_4010 Depth=4
	s_delay_alu instid0(VALU_DEP_1)
	v_bfe_u32 v47, v76, 23, 1
; %bb.4385:                             ;   in Loop: Header=BB6_4010 Depth=4
	s_or_b32 exec_lo, exec_lo, s13
	v_lshrrev_b32_e32 v76, 20, v76
	s_delay_alu instid0(VALU_DEP_2) | instskip(SKIP_2) | instid1(VALU_DEP_2)
	v_cmp_gt_i32_e32 vcc_lo, 16, v47
	v_lshrrev_b32_e32 v77, 24, v77
	v_min_i32_e32 v78, 15, v47
	v_dual_cndmask_b32 v76, 7, v76 :: v_dual_and_b32 v77, 0x80, v77
	s_delay_alu instid0(VALU_DEP_1) | instskip(SKIP_1) | instid1(VALU_DEP_2)
	v_or_b32_e32 v47, v47, v76
	v_and_b32_e32 v79, 7, v76
	v_cmp_ne_u32_e32 vcc_lo, 0, v47
	v_lshlrev_b32_e32 v78, 3, v78
	s_delay_alu instid0(VALU_DEP_1) | instskip(NEXT) | instid1(VALU_DEP_1)
	v_or3_b32 v76, v78, v77, v79
	v_cndmask_b32_e32 v47, 0, v76, vcc_lo
.LBB6_4386:                             ;   in Loop: Header=BB6_4010 Depth=4
	s_or_b32 exec_lo, exec_lo, s38
.LBB6_4387:                             ;   in Loop: Header=BB6_4010 Depth=4
	s_delay_alu instid0(SALU_CYCLE_1) | instskip(NEXT) | instid1(SALU_CYCLE_1)
	s_or_b32 exec_lo, exec_lo, s37
	s_and_not1_b32 vcc_lo, exec_lo, s35
	s_cbranch_vccnz .LBB6_4397
; %bb.4388:                             ;   in Loop: Header=BB6_4010 Depth=4
	v_and_b32_e32 v77, 0xff, v75
	s_mov_b32 s13, 0
	s_mov_b32 s38, exec_lo
                                        ; implicit-def: $sgpr37
	s_delay_alu instid0(VALU_DEP_1)
	v_cmpx_lt_i16_e32 0x7f, v77
	s_xor_b32 s38, exec_lo, s38
	s_cbranch_execnz .LBB6_5144
; %bb.4389:                             ;   in Loop: Header=BB6_4010 Depth=4
	s_or_saveexec_b32 s38, s38
	v_mov_b32_e32 v76, s37
	s_xor_b32 exec_lo, exec_lo, s38
	s_cbranch_execnz .LBB6_5147
.LBB6_4390:                             ;   in Loop: Header=BB6_4010 Depth=4
	s_or_b32 exec_lo, exec_lo, s38
	s_and_saveexec_b32 s37, s13
	s_cbranch_execz .LBB6_4392
.LBB6_4391:                             ;   in Loop: Header=BB6_4010 Depth=4
	v_lshrrev_b16 v79, 3, v75
	v_lshlrev_b32_e32 v88, 24, v75
	s_delay_alu instid0(VALU_DEP_2) | instskip(NEXT) | instid1(VALU_DEP_1)
	v_and_b32_e32 v79, 15, v79
	v_cmp_eq_u32_e32 vcc_lo, 0, v79
	v_and_b32_e32 v76, 7, v75
	s_delay_alu instid0(VALU_DEP_1) | instskip(NEXT) | instid1(VALU_DEP_1)
	v_clz_i32_u32_e32 v77, v76
	v_min_u32_e32 v77, 32, v77
	s_delay_alu instid0(VALU_DEP_1) | instskip(SKIP_1) | instid1(VALU_DEP_1)
	v_subrev_nc_u32_e32 v78, 28, v77
	v_sub_nc_u32_e32 v77, 29, v77
	v_dual_cndmask_b32 v77, v79, v77 :: v_dual_lshlrev_b32 v78, v78, v75
	s_delay_alu instid0(VALU_DEP_1) | instskip(NEXT) | instid1(VALU_DEP_2)
	v_and_b32_e32 v78, 7, v78
	v_lshl_add_u32 v77, v77, 23, 0x3b800000
	s_delay_alu instid0(VALU_DEP_2) | instskip(SKIP_1) | instid1(VALU_DEP_2)
	v_cndmask_b32_e32 v76, v76, v78, vcc_lo
	v_and_b32_e32 v78, 0x80000000, v88
	v_lshlrev_b32_e32 v76, 20, v76
	s_delay_alu instid0(VALU_DEP_1)
	v_or3_b32 v76, v78, v77, v76
.LBB6_4392:                             ;   in Loop: Header=BB6_4010 Depth=4
	s_or_b32 exec_lo, exec_lo, s37
	s_waitcnt vmcnt(18) lgkmcnt(18)
	v_and_b32_e32 v78, 0xff, v58
	s_mov_b32 s13, 0
	s_mov_b32 s38, exec_lo
                                        ; implicit-def: $sgpr37
	s_delay_alu instid0(VALU_DEP_1)
	v_cmpx_lt_i16_e32 0x7f, v78
	s_xor_b32 s38, exec_lo, s38
	s_cbranch_execnz .LBB6_5148
; %bb.4393:                             ;   in Loop: Header=BB6_4010 Depth=4
	s_or_saveexec_b32 s38, s38
	v_mov_b32_e32 v77, s37
	s_xor_b32 exec_lo, exec_lo, s38
	s_cbranch_execnz .LBB6_5151
.LBB6_4394:                             ;   in Loop: Header=BB6_4010 Depth=4
	s_or_b32 exec_lo, exec_lo, s38
	s_and_saveexec_b32 s37, s13
	s_cbranch_execz .LBB6_4396
.LBB6_4395:                             ;   in Loop: Header=BB6_4010 Depth=4
	v_and_b32_e32 v77, 7, v58
	v_lshrrev_b16 v88, 3, v58
	v_lshlrev_b32_e32 v89, 24, v58
	s_delay_alu instid0(VALU_DEP_3) | instskip(NEXT) | instid1(VALU_DEP_1)
	v_clz_i32_u32_e32 v78, v77
	v_min_u32_e32 v78, 32, v78
	s_delay_alu instid0(VALU_DEP_1) | instskip(SKIP_1) | instid1(VALU_DEP_2)
	v_subrev_nc_u32_e32 v79, 28, v78
	v_sub_nc_u32_e32 v78, 29, v78
	v_lshlrev_b32_e32 v79, v79, v58
	s_delay_alu instid0(VALU_DEP_1) | instskip(SKIP_1) | instid1(VALU_DEP_1)
	v_and_b32_e32 v79, 7, v79
	v_and_b32_e32 v88, 15, v88
	v_cmp_eq_u32_e32 vcc_lo, 0, v88
	s_delay_alu instid0(VALU_DEP_3) | instskip(SKIP_1) | instid1(VALU_DEP_2)
	v_dual_cndmask_b32 v77, v77, v79 :: v_dual_cndmask_b32 v78, v88, v78
	v_and_b32_e32 v79, 0x80000000, v89
	v_lshlrev_b32_e32 v77, 20, v77
	s_delay_alu instid0(VALU_DEP_3) | instskip(NEXT) | instid1(VALU_DEP_1)
	v_lshl_add_u32 v78, v78, 23, 0x3b800000
	v_or3_b32 v77, v79, v78, v77
.LBB6_4396:                             ;   in Loop: Header=BB6_4010 Depth=4
	s_or_b32 exec_lo, exec_lo, s37
	s_delay_alu instid0(VALU_DEP_1) | instskip(SKIP_1) | instid1(VALU_DEP_1)
	v_dual_max_f32 v77, v77, v77 :: v_dual_max_f32 v76, v76, v76
	s_mov_b32 s13, 0
	v_max_f32_e32 v76, v76, v77
	s_branch .LBB6_4398
.LBB6_4397:                             ;   in Loop: Header=BB6_4010 Depth=4
	s_mov_b32 s13, -1
                                        ; implicit-def: $vgpr76
.LBB6_4398:                             ;   in Loop: Header=BB6_4010 Depth=4
	s_delay_alu instid0(SALU_CYCLE_1)
	s_and_b32 vcc_lo, exec_lo, s13
	s_cbranch_vccz .LBB6_4408
; %bb.4399:                             ;   in Loop: Header=BB6_4010 Depth=4
	v_and_b32_e32 v77, 0xff, v75
	s_mov_b32 s13, 0
	s_mov_b32 s38, exec_lo
                                        ; implicit-def: $sgpr37
	s_delay_alu instid0(VALU_DEP_1)
	v_cmpx_lt_i16_e32 0x7f, v77
	s_xor_b32 s38, exec_lo, s38
	s_cbranch_execnz .LBB6_5152
; %bb.4400:                             ;   in Loop: Header=BB6_4010 Depth=4
	s_or_saveexec_b32 s38, s38
	v_mov_b32_e32 v76, s37
	s_xor_b32 exec_lo, exec_lo, s38
	s_cbranch_execnz .LBB6_5155
.LBB6_4401:                             ;   in Loop: Header=BB6_4010 Depth=4
	s_or_b32 exec_lo, exec_lo, s38
	s_and_saveexec_b32 s37, s13
	s_cbranch_execz .LBB6_4403
.LBB6_4402:                             ;   in Loop: Header=BB6_4010 Depth=4
	v_lshrrev_b16 v79, 3, v75
	s_delay_alu instid0(VALU_DEP_1) | instskip(NEXT) | instid1(VALU_DEP_1)
	v_and_b32_e32 v79, 15, v79
	v_cmp_eq_u32_e32 vcc_lo, 0, v79
	v_and_b32_e32 v76, 7, v75
	s_delay_alu instid0(VALU_DEP_1) | instskip(NEXT) | instid1(VALU_DEP_1)
	v_clz_i32_u32_e32 v77, v76
	v_min_u32_e32 v77, 32, v77
	s_delay_alu instid0(VALU_DEP_1) | instskip(SKIP_1) | instid1(VALU_DEP_1)
	v_subrev_nc_u32_e32 v78, 28, v77
	v_sub_nc_u32_e32 v77, 29, v77
	v_dual_cndmask_b32 v77, v79, v77 :: v_dual_lshlrev_b32 v78, v78, v75
	v_lshlrev_b32_e32 v75, 24, v75
	s_delay_alu instid0(VALU_DEP_2) | instskip(NEXT) | instid1(VALU_DEP_3)
	v_and_b32_e32 v78, 7, v78
	v_lshl_add_u32 v77, v77, 23, 0x3b800000
	s_delay_alu instid0(VALU_DEP_2) | instskip(NEXT) | instid1(VALU_DEP_1)
	v_dual_cndmask_b32 v76, v76, v78 :: v_dual_and_b32 v75, 0x80000000, v75
	v_lshlrev_b32_e32 v76, 20, v76
	s_delay_alu instid0(VALU_DEP_1)
	v_or3_b32 v76, v75, v77, v76
.LBB6_4403:                             ;   in Loop: Header=BB6_4010 Depth=4
	s_or_b32 exec_lo, exec_lo, s37
	s_waitcnt vmcnt(18) lgkmcnt(18)
	v_and_b32_e32 v77, 0xff, v58
	s_mov_b32 s13, 0
	s_mov_b32 s38, exec_lo
                                        ; implicit-def: $sgpr37
	s_delay_alu instid0(VALU_DEP_1)
	v_cmpx_lt_i16_e32 0x7f, v77
	s_xor_b32 s38, exec_lo, s38
	s_cbranch_execnz .LBB6_5156
; %bb.4404:                             ;   in Loop: Header=BB6_4010 Depth=4
	s_or_saveexec_b32 s38, s38
	v_mov_b32_e32 v75, s37
	s_xor_b32 exec_lo, exec_lo, s38
	s_cbranch_execnz .LBB6_5159
.LBB6_4405:                             ;   in Loop: Header=BB6_4010 Depth=4
	s_or_b32 exec_lo, exec_lo, s38
	s_and_saveexec_b32 s37, s13
	s_cbranch_execz .LBB6_4407
.LBB6_4406:                             ;   in Loop: Header=BB6_4010 Depth=4
	v_and_b32_e32 v75, 7, v58
	v_lshrrev_b16 v79, 3, v58
	s_delay_alu instid0(VALU_DEP_2) | instskip(NEXT) | instid1(VALU_DEP_2)
	v_clz_i32_u32_e32 v77, v75
	v_and_b32_e32 v79, 15, v79
	s_delay_alu instid0(VALU_DEP_2) | instskip(NEXT) | instid1(VALU_DEP_2)
	v_min_u32_e32 v77, 32, v77
	v_cmp_eq_u32_e32 vcc_lo, 0, v79
	s_delay_alu instid0(VALU_DEP_2) | instskip(SKIP_1) | instid1(VALU_DEP_1)
	v_subrev_nc_u32_e32 v78, 28, v77
	v_sub_nc_u32_e32 v77, 29, v77
	v_dual_cndmask_b32 v77, v79, v77 :: v_dual_lshlrev_b32 v78, v78, v58
	v_lshlrev_b32_e32 v58, 24, v58
	s_delay_alu instid0(VALU_DEP_2) | instskip(NEXT) | instid1(VALU_DEP_3)
	v_and_b32_e32 v78, 7, v78
	v_lshl_add_u32 v77, v77, 23, 0x3b800000
	s_delay_alu instid0(VALU_DEP_3) | instskip(NEXT) | instid1(VALU_DEP_3)
	v_and_b32_e32 v58, 0x80000000, v58
	v_cndmask_b32_e32 v75, v75, v78, vcc_lo
	s_delay_alu instid0(VALU_DEP_1) | instskip(NEXT) | instid1(VALU_DEP_1)
	v_lshlrev_b32_e32 v75, 20, v75
	v_or3_b32 v75, v58, v77, v75
.LBB6_4407:                             ;   in Loop: Header=BB6_4010 Depth=4
	s_or_b32 exec_lo, exec_lo, s37
	s_delay_alu instid0(VALU_DEP_1) | instskip(NEXT) | instid1(VALU_DEP_1)
	v_dual_max_f32 v58, v75, v75 :: v_dual_max_f32 v75, v76, v76
	v_min_f32_e32 v76, v75, v58
.LBB6_4408:                             ;   in Loop: Header=BB6_4010 Depth=4
	s_waitcnt vmcnt(18) lgkmcnt(18)
	s_delay_alu instid0(VALU_DEP_1) | instskip(NEXT) | instid1(VALU_DEP_1)
	v_and_b32_e32 v58, 0x7f800000, v76
	v_cmp_ne_u32_e32 vcc_lo, 0x7f800000, v58
	v_mov_b32_e32 v58, 0x80
	s_and_saveexec_b32 s37, vcc_lo
	s_cbranch_execz .LBB6_4416
; %bb.4409:                             ;   in Loop: Header=BB6_4010 Depth=4
	v_mov_b32_e32 v58, 0
	s_mov_b32 s38, exec_lo
	v_cmpx_ne_u32_e32 0, v76
	s_cbranch_execz .LBB6_4415
; %bb.4410:                             ;   in Loop: Header=BB6_4010 Depth=4
	v_bfe_u32 v58, v76, 23, 8
	v_and_b32_e32 v75, 0x7fffff, v76
	s_delay_alu instid0(VALU_DEP_2) | instskip(SKIP_1) | instid1(VALU_DEP_3)
	v_sub_nc_u32_e32 v77, 0x78, v58
	v_cmp_gt_u32_e32 vcc_lo, 0x79, v58
	v_or_b32_e32 v78, 0x800000, v75
	s_delay_alu instid0(VALU_DEP_3) | instskip(SKIP_2) | instid1(VALU_DEP_3)
	v_cndmask_b32_e32 v77, 0, v77, vcc_lo
	v_cmp_eq_u32_e32 vcc_lo, 0, v58
	v_add_nc_u32_e32 v58, 0xffffff89, v58
	v_cndmask_b32_e64 v77, v77, 0x77, vcc_lo
	v_cndmask_b32_e32 v75, v78, v75, vcc_lo
	s_delay_alu instid0(VALU_DEP_3) | instskip(NEXT) | instid1(VALU_DEP_3)
	v_cndmask_b32_e64 v58, v58, 0xffffff8a, vcc_lo
	v_lshl_add_u32 v78, 0x100000, v77, -1
	s_delay_alu instid0(VALU_DEP_3) | instskip(SKIP_1) | instid1(VALU_DEP_4)
	v_lshrrev_b32_e32 v79, v77, v75
	v_lshlrev_b32_e64 v89, v77, 0x80000
	v_add_nc_u32_e32 v77, v77, v58
	s_delay_alu instid0(VALU_DEP_4) | instskip(NEXT) | instid1(VALU_DEP_4)
	v_and_b32_e32 v75, v78, v75
	v_bfe_u32 v88, v79, 20, 1
	s_delay_alu instid0(VALU_DEP_2) | instskip(NEXT) | instid1(VALU_DEP_2)
	v_cmp_eq_u32_e64 s13, v75, v89
	v_add_nc_u32_e32 v78, -1, v88
	s_delay_alu instid0(VALU_DEP_1) | instskip(SKIP_2) | instid1(VALU_DEP_2)
	v_cndmask_b32_e64 v75, 0, v78, s13
	v_lshrrev_b32_e32 v78, 23, v79
	s_mov_b32 s13, exec_lo
	v_add_nc_u32_e32 v75, v75, v79
	s_delay_alu instid0(VALU_DEP_2) | instskip(NEXT) | instid1(VALU_DEP_2)
	v_xor_b32_e32 v78, 1, v78
	v_and_b32_e32 v58, 0xfffff, v75
	s_delay_alu instid0(VALU_DEP_1) | instskip(NEXT) | instid1(VALU_DEP_3)
	v_add_nc_u32_e32 v75, v58, v79
                                        ; implicit-def: $vgpr58
	v_cmpx_ne_u32_e64 v77, v78
	s_xor_b32 s13, exec_lo, s13
; %bb.4411:                             ;   in Loop: Header=BB6_4010 Depth=4
	s_delay_alu instid0(VALU_DEP_2) | instskip(SKIP_2) | instid1(VALU_DEP_2)
	v_cmp_lt_u32_e32 vcc_lo, 0xffffff, v75
	v_sub_nc_u32_e32 v58, v77, v78
	v_cndmask_b32_e64 v77, 0, 1, vcc_lo
	v_add_co_ci_u32_e32 v58, vcc_lo, 0, v58, vcc_lo
	s_delay_alu instid0(VALU_DEP_2)
	v_lshrrev_b32_e32 v75, v77, v75
; %bb.4412:                             ;   in Loop: Header=BB6_4010 Depth=4
	s_and_not1_saveexec_b32 s13, s13
; %bb.4413:                             ;   in Loop: Header=BB6_4010 Depth=4
	s_delay_alu instid0(VALU_DEP_1)
	v_bfe_u32 v58, v75, 23, 1
; %bb.4414:                             ;   in Loop: Header=BB6_4010 Depth=4
	s_or_b32 exec_lo, exec_lo, s13
	v_lshrrev_b32_e32 v75, 20, v75
	s_delay_alu instid0(VALU_DEP_2) | instskip(SKIP_2) | instid1(VALU_DEP_2)
	v_cmp_gt_i32_e32 vcc_lo, 16, v58
	v_lshrrev_b32_e32 v76, 24, v76
	v_min_i32_e32 v77, 15, v58
	v_dual_cndmask_b32 v75, 7, v75 :: v_dual_and_b32 v76, 0x80, v76
	s_delay_alu instid0(VALU_DEP_1) | instskip(SKIP_1) | instid1(VALU_DEP_2)
	v_or_b32_e32 v58, v58, v75
	v_and_b32_e32 v78, 7, v75
	v_cmp_ne_u32_e32 vcc_lo, 0, v58
	v_lshlrev_b32_e32 v77, 3, v77
	s_delay_alu instid0(VALU_DEP_1) | instskip(NEXT) | instid1(VALU_DEP_1)
	v_or3_b32 v75, v77, v76, v78
	v_cndmask_b32_e32 v58, 0, v75, vcc_lo
.LBB6_4415:                             ;   in Loop: Header=BB6_4010 Depth=4
	s_or_b32 exec_lo, exec_lo, s38
.LBB6_4416:                             ;   in Loop: Header=BB6_4010 Depth=4
	s_delay_alu instid0(SALU_CYCLE_1) | instskip(NEXT) | instid1(SALU_CYCLE_1)
	s_or_b32 exec_lo, exec_lo, s37
	s_and_not1_b32 vcc_lo, exec_lo, s35
	s_cbranch_vccnz .LBB6_4426
; %bb.4417:                             ;   in Loop: Header=BB6_4010 Depth=4
	v_and_b32_e32 v76, 0xff, v74
	s_mov_b32 s13, 0
	s_mov_b32 s38, exec_lo
                                        ; implicit-def: $sgpr37
	s_delay_alu instid0(VALU_DEP_1)
	v_cmpx_lt_i16_e32 0x7f, v76
	s_xor_b32 s38, exec_lo, s38
	s_cbranch_execnz .LBB6_5160
; %bb.4418:                             ;   in Loop: Header=BB6_4010 Depth=4
	s_or_saveexec_b32 s38, s38
	v_mov_b32_e32 v75, s37
	s_xor_b32 exec_lo, exec_lo, s38
	s_cbranch_execnz .LBB6_5163
.LBB6_4419:                             ;   in Loop: Header=BB6_4010 Depth=4
	s_or_b32 exec_lo, exec_lo, s38
	s_and_saveexec_b32 s37, s13
	s_cbranch_execz .LBB6_4421
.LBB6_4420:                             ;   in Loop: Header=BB6_4010 Depth=4
	v_lshrrev_b16 v78, 3, v74
	v_lshlrev_b32_e32 v79, 24, v74
	s_delay_alu instid0(VALU_DEP_2) | instskip(NEXT) | instid1(VALU_DEP_1)
	v_and_b32_e32 v78, 15, v78
	v_cmp_eq_u32_e32 vcc_lo, 0, v78
	v_and_b32_e32 v75, 7, v74
	s_delay_alu instid0(VALU_DEP_1) | instskip(NEXT) | instid1(VALU_DEP_1)
	v_clz_i32_u32_e32 v76, v75
	v_min_u32_e32 v76, 32, v76
	s_delay_alu instid0(VALU_DEP_1) | instskip(SKIP_1) | instid1(VALU_DEP_1)
	v_subrev_nc_u32_e32 v77, 28, v76
	v_sub_nc_u32_e32 v76, 29, v76
	v_dual_cndmask_b32 v76, v78, v76 :: v_dual_lshlrev_b32 v77, v77, v74
	s_delay_alu instid0(VALU_DEP_1) | instskip(NEXT) | instid1(VALU_DEP_2)
	v_and_b32_e32 v77, 7, v77
	v_lshl_add_u32 v76, v76, 23, 0x3b800000
	s_delay_alu instid0(VALU_DEP_2) | instskip(SKIP_1) | instid1(VALU_DEP_2)
	v_cndmask_b32_e32 v75, v75, v77, vcc_lo
	v_and_b32_e32 v77, 0x80000000, v79
	v_lshlrev_b32_e32 v75, 20, v75
	s_delay_alu instid0(VALU_DEP_1)
	v_or3_b32 v75, v77, v76, v75
.LBB6_4421:                             ;   in Loop: Header=BB6_4010 Depth=4
	s_or_b32 exec_lo, exec_lo, s37
	s_waitcnt vmcnt(17) lgkmcnt(17)
	v_and_b32_e32 v77, 0xff, v61
	s_mov_b32 s13, 0
	s_mov_b32 s38, exec_lo
                                        ; implicit-def: $sgpr37
	s_delay_alu instid0(VALU_DEP_1)
	v_cmpx_lt_i16_e32 0x7f, v77
	s_xor_b32 s38, exec_lo, s38
	s_cbranch_execnz .LBB6_5164
; %bb.4422:                             ;   in Loop: Header=BB6_4010 Depth=4
	s_or_saveexec_b32 s38, s38
	v_mov_b32_e32 v76, s37
	s_xor_b32 exec_lo, exec_lo, s38
	s_cbranch_execnz .LBB6_5167
.LBB6_4423:                             ;   in Loop: Header=BB6_4010 Depth=4
	s_or_b32 exec_lo, exec_lo, s38
	s_and_saveexec_b32 s37, s13
	s_cbranch_execz .LBB6_4425
.LBB6_4424:                             ;   in Loop: Header=BB6_4010 Depth=4
	v_and_b32_e32 v76, 7, v61
	v_lshrrev_b16 v79, 3, v61
	v_lshlrev_b32_e32 v88, 24, v61
	s_delay_alu instid0(VALU_DEP_3) | instskip(NEXT) | instid1(VALU_DEP_1)
	v_clz_i32_u32_e32 v77, v76
	v_min_u32_e32 v77, 32, v77
	s_delay_alu instid0(VALU_DEP_1) | instskip(SKIP_1) | instid1(VALU_DEP_2)
	v_subrev_nc_u32_e32 v78, 28, v77
	v_sub_nc_u32_e32 v77, 29, v77
	v_lshlrev_b32_e32 v78, v78, v61
	s_delay_alu instid0(VALU_DEP_1) | instskip(SKIP_1) | instid1(VALU_DEP_1)
	v_and_b32_e32 v78, 7, v78
	v_and_b32_e32 v79, 15, v79
	v_cmp_eq_u32_e32 vcc_lo, 0, v79
	s_delay_alu instid0(VALU_DEP_3) | instskip(SKIP_1) | instid1(VALU_DEP_2)
	v_dual_cndmask_b32 v76, v76, v78 :: v_dual_cndmask_b32 v77, v79, v77
	v_and_b32_e32 v78, 0x80000000, v88
	v_lshlrev_b32_e32 v76, 20, v76
	s_delay_alu instid0(VALU_DEP_3) | instskip(NEXT) | instid1(VALU_DEP_1)
	v_lshl_add_u32 v77, v77, 23, 0x3b800000
	v_or3_b32 v76, v78, v77, v76
.LBB6_4425:                             ;   in Loop: Header=BB6_4010 Depth=4
	s_or_b32 exec_lo, exec_lo, s37
	s_delay_alu instid0(VALU_DEP_1) | instskip(SKIP_1) | instid1(VALU_DEP_1)
	v_dual_max_f32 v76, v76, v76 :: v_dual_max_f32 v75, v75, v75
	s_mov_b32 s13, 0
	v_max_f32_e32 v75, v75, v76
	s_branch .LBB6_4427
.LBB6_4426:                             ;   in Loop: Header=BB6_4010 Depth=4
	s_mov_b32 s13, -1
                                        ; implicit-def: $vgpr75
.LBB6_4427:                             ;   in Loop: Header=BB6_4010 Depth=4
	s_delay_alu instid0(SALU_CYCLE_1)
	s_and_b32 vcc_lo, exec_lo, s13
	s_cbranch_vccz .LBB6_4437
; %bb.4428:                             ;   in Loop: Header=BB6_4010 Depth=4
	v_and_b32_e32 v76, 0xff, v74
	s_mov_b32 s13, 0
	s_mov_b32 s38, exec_lo
                                        ; implicit-def: $sgpr37
	s_delay_alu instid0(VALU_DEP_1)
	v_cmpx_lt_i16_e32 0x7f, v76
	s_xor_b32 s38, exec_lo, s38
	s_cbranch_execnz .LBB6_5168
; %bb.4429:                             ;   in Loop: Header=BB6_4010 Depth=4
	s_or_saveexec_b32 s38, s38
	v_mov_b32_e32 v75, s37
	s_xor_b32 exec_lo, exec_lo, s38
	s_cbranch_execnz .LBB6_5171
.LBB6_4430:                             ;   in Loop: Header=BB6_4010 Depth=4
	s_or_b32 exec_lo, exec_lo, s38
	s_and_saveexec_b32 s37, s13
	s_cbranch_execz .LBB6_4432
.LBB6_4431:                             ;   in Loop: Header=BB6_4010 Depth=4
	v_lshrrev_b16 v78, 3, v74
	s_delay_alu instid0(VALU_DEP_1) | instskip(NEXT) | instid1(VALU_DEP_1)
	v_and_b32_e32 v78, 15, v78
	v_cmp_eq_u32_e32 vcc_lo, 0, v78
	v_and_b32_e32 v75, 7, v74
	s_delay_alu instid0(VALU_DEP_1) | instskip(NEXT) | instid1(VALU_DEP_1)
	v_clz_i32_u32_e32 v76, v75
	v_min_u32_e32 v76, 32, v76
	s_delay_alu instid0(VALU_DEP_1) | instskip(SKIP_1) | instid1(VALU_DEP_1)
	v_subrev_nc_u32_e32 v77, 28, v76
	v_sub_nc_u32_e32 v76, 29, v76
	v_dual_cndmask_b32 v76, v78, v76 :: v_dual_lshlrev_b32 v77, v77, v74
	v_lshlrev_b32_e32 v74, 24, v74
	s_delay_alu instid0(VALU_DEP_2) | instskip(NEXT) | instid1(VALU_DEP_3)
	v_and_b32_e32 v77, 7, v77
	v_lshl_add_u32 v76, v76, 23, 0x3b800000
	s_delay_alu instid0(VALU_DEP_2) | instskip(NEXT) | instid1(VALU_DEP_1)
	v_dual_cndmask_b32 v75, v75, v77 :: v_dual_and_b32 v74, 0x80000000, v74
	v_lshlrev_b32_e32 v75, 20, v75
	s_delay_alu instid0(VALU_DEP_1)
	v_or3_b32 v75, v74, v76, v75
.LBB6_4432:                             ;   in Loop: Header=BB6_4010 Depth=4
	s_or_b32 exec_lo, exec_lo, s37
	s_waitcnt vmcnt(17) lgkmcnt(17)
	v_and_b32_e32 v76, 0xff, v61
	s_mov_b32 s13, 0
	s_mov_b32 s38, exec_lo
                                        ; implicit-def: $sgpr37
	s_delay_alu instid0(VALU_DEP_1)
	v_cmpx_lt_i16_e32 0x7f, v76
	s_xor_b32 s38, exec_lo, s38
	s_cbranch_execnz .LBB6_5172
; %bb.4433:                             ;   in Loop: Header=BB6_4010 Depth=4
	s_or_saveexec_b32 s38, s38
	v_mov_b32_e32 v74, s37
	s_xor_b32 exec_lo, exec_lo, s38
	s_cbranch_execnz .LBB6_5175
.LBB6_4434:                             ;   in Loop: Header=BB6_4010 Depth=4
	s_or_b32 exec_lo, exec_lo, s38
	s_and_saveexec_b32 s37, s13
	s_cbranch_execz .LBB6_4436
.LBB6_4435:                             ;   in Loop: Header=BB6_4010 Depth=4
	v_and_b32_e32 v74, 7, v61
	v_lshrrev_b16 v78, 3, v61
	s_delay_alu instid0(VALU_DEP_2) | instskip(NEXT) | instid1(VALU_DEP_2)
	v_clz_i32_u32_e32 v76, v74
	v_and_b32_e32 v78, 15, v78
	s_delay_alu instid0(VALU_DEP_2) | instskip(NEXT) | instid1(VALU_DEP_2)
	v_min_u32_e32 v76, 32, v76
	v_cmp_eq_u32_e32 vcc_lo, 0, v78
	s_delay_alu instid0(VALU_DEP_2) | instskip(SKIP_1) | instid1(VALU_DEP_1)
	v_subrev_nc_u32_e32 v77, 28, v76
	v_sub_nc_u32_e32 v76, 29, v76
	v_dual_cndmask_b32 v76, v78, v76 :: v_dual_lshlrev_b32 v77, v77, v61
	v_lshlrev_b32_e32 v61, 24, v61
	s_delay_alu instid0(VALU_DEP_2) | instskip(NEXT) | instid1(VALU_DEP_3)
	v_and_b32_e32 v77, 7, v77
	v_lshl_add_u32 v76, v76, 23, 0x3b800000
	s_delay_alu instid0(VALU_DEP_3) | instskip(NEXT) | instid1(VALU_DEP_3)
	v_and_b32_e32 v61, 0x80000000, v61
	v_cndmask_b32_e32 v74, v74, v77, vcc_lo
	s_delay_alu instid0(VALU_DEP_1) | instskip(NEXT) | instid1(VALU_DEP_1)
	v_lshlrev_b32_e32 v74, 20, v74
	v_or3_b32 v74, v61, v76, v74
.LBB6_4436:                             ;   in Loop: Header=BB6_4010 Depth=4
	s_or_b32 exec_lo, exec_lo, s37
	s_delay_alu instid0(VALU_DEP_1) | instskip(NEXT) | instid1(VALU_DEP_1)
	v_dual_max_f32 v61, v74, v74 :: v_dual_max_f32 v74, v75, v75
	v_min_f32_e32 v75, v74, v61
.LBB6_4437:                             ;   in Loop: Header=BB6_4010 Depth=4
	s_waitcnt vmcnt(17) lgkmcnt(17)
	s_delay_alu instid0(VALU_DEP_1) | instskip(NEXT) | instid1(VALU_DEP_1)
	v_and_b32_e32 v61, 0x7f800000, v75
	v_cmp_ne_u32_e32 vcc_lo, 0x7f800000, v61
	v_mov_b32_e32 v61, 0x80
	s_and_saveexec_b32 s37, vcc_lo
	s_cbranch_execz .LBB6_4445
; %bb.4438:                             ;   in Loop: Header=BB6_4010 Depth=4
	v_mov_b32_e32 v61, 0
	s_mov_b32 s38, exec_lo
	v_cmpx_ne_u32_e32 0, v75
	s_cbranch_execz .LBB6_4444
; %bb.4439:                             ;   in Loop: Header=BB6_4010 Depth=4
	v_bfe_u32 v61, v75, 23, 8
	v_and_b32_e32 v74, 0x7fffff, v75
	s_delay_alu instid0(VALU_DEP_2) | instskip(SKIP_1) | instid1(VALU_DEP_3)
	v_sub_nc_u32_e32 v76, 0x78, v61
	v_cmp_gt_u32_e32 vcc_lo, 0x79, v61
	v_or_b32_e32 v77, 0x800000, v74
	s_delay_alu instid0(VALU_DEP_3) | instskip(SKIP_2) | instid1(VALU_DEP_3)
	v_cndmask_b32_e32 v76, 0, v76, vcc_lo
	v_cmp_eq_u32_e32 vcc_lo, 0, v61
	v_add_nc_u32_e32 v61, 0xffffff89, v61
	v_cndmask_b32_e64 v76, v76, 0x77, vcc_lo
	v_cndmask_b32_e32 v74, v77, v74, vcc_lo
	s_delay_alu instid0(VALU_DEP_3) | instskip(NEXT) | instid1(VALU_DEP_3)
	v_cndmask_b32_e64 v61, v61, 0xffffff8a, vcc_lo
	v_lshl_add_u32 v77, 0x100000, v76, -1
	s_delay_alu instid0(VALU_DEP_3) | instskip(SKIP_1) | instid1(VALU_DEP_4)
	v_lshrrev_b32_e32 v78, v76, v74
	v_lshlrev_b32_e64 v88, v76, 0x80000
	v_add_nc_u32_e32 v76, v76, v61
	s_delay_alu instid0(VALU_DEP_4) | instskip(NEXT) | instid1(VALU_DEP_4)
	v_and_b32_e32 v74, v77, v74
	v_bfe_u32 v79, v78, 20, 1
	s_delay_alu instid0(VALU_DEP_2) | instskip(NEXT) | instid1(VALU_DEP_2)
	v_cmp_eq_u32_e64 s13, v74, v88
	v_add_nc_u32_e32 v77, -1, v79
	s_delay_alu instid0(VALU_DEP_1) | instskip(SKIP_2) | instid1(VALU_DEP_2)
	v_cndmask_b32_e64 v74, 0, v77, s13
	v_lshrrev_b32_e32 v77, 23, v78
	s_mov_b32 s13, exec_lo
	v_add_nc_u32_e32 v74, v74, v78
	s_delay_alu instid0(VALU_DEP_2) | instskip(NEXT) | instid1(VALU_DEP_2)
	v_xor_b32_e32 v77, 1, v77
	v_and_b32_e32 v61, 0xfffff, v74
	s_delay_alu instid0(VALU_DEP_1) | instskip(NEXT) | instid1(VALU_DEP_3)
	v_add_nc_u32_e32 v74, v61, v78
                                        ; implicit-def: $vgpr61
	v_cmpx_ne_u32_e64 v76, v77
	s_xor_b32 s13, exec_lo, s13
; %bb.4440:                             ;   in Loop: Header=BB6_4010 Depth=4
	s_delay_alu instid0(VALU_DEP_2) | instskip(SKIP_2) | instid1(VALU_DEP_2)
	v_cmp_lt_u32_e32 vcc_lo, 0xffffff, v74
	v_sub_nc_u32_e32 v61, v76, v77
	v_cndmask_b32_e64 v76, 0, 1, vcc_lo
	v_add_co_ci_u32_e32 v61, vcc_lo, 0, v61, vcc_lo
	s_delay_alu instid0(VALU_DEP_2)
	v_lshrrev_b32_e32 v74, v76, v74
; %bb.4441:                             ;   in Loop: Header=BB6_4010 Depth=4
	s_and_not1_saveexec_b32 s13, s13
; %bb.4442:                             ;   in Loop: Header=BB6_4010 Depth=4
	s_delay_alu instid0(VALU_DEP_1)
	v_bfe_u32 v61, v74, 23, 1
; %bb.4443:                             ;   in Loop: Header=BB6_4010 Depth=4
	s_or_b32 exec_lo, exec_lo, s13
	v_lshrrev_b32_e32 v74, 20, v74
	s_delay_alu instid0(VALU_DEP_2) | instskip(SKIP_2) | instid1(VALU_DEP_2)
	v_cmp_gt_i32_e32 vcc_lo, 16, v61
	v_lshrrev_b32_e32 v75, 24, v75
	v_min_i32_e32 v76, 15, v61
	v_dual_cndmask_b32 v74, 7, v74 :: v_dual_and_b32 v75, 0x80, v75
	s_delay_alu instid0(VALU_DEP_1) | instskip(SKIP_1) | instid1(VALU_DEP_2)
	v_or_b32_e32 v61, v61, v74
	v_and_b32_e32 v77, 7, v74
	v_cmp_ne_u32_e32 vcc_lo, 0, v61
	v_lshlrev_b32_e32 v76, 3, v76
	s_delay_alu instid0(VALU_DEP_1) | instskip(NEXT) | instid1(VALU_DEP_1)
	v_or3_b32 v74, v76, v75, v77
	v_cndmask_b32_e32 v61, 0, v74, vcc_lo
.LBB6_4444:                             ;   in Loop: Header=BB6_4010 Depth=4
	s_or_b32 exec_lo, exec_lo, s38
.LBB6_4445:                             ;   in Loop: Header=BB6_4010 Depth=4
	s_delay_alu instid0(SALU_CYCLE_1) | instskip(NEXT) | instid1(SALU_CYCLE_1)
	s_or_b32 exec_lo, exec_lo, s37
	s_and_not1_b32 vcc_lo, exec_lo, s35
	s_cbranch_vccnz .LBB6_4455
; %bb.4446:                             ;   in Loop: Header=BB6_4010 Depth=4
	v_and_b32_e32 v75, 0xff, v73
	s_mov_b32 s13, 0
	s_mov_b32 s38, exec_lo
                                        ; implicit-def: $sgpr37
	s_delay_alu instid0(VALU_DEP_1)
	v_cmpx_lt_i16_e32 0x7f, v75
	s_xor_b32 s38, exec_lo, s38
	s_cbranch_execnz .LBB6_5176
; %bb.4447:                             ;   in Loop: Header=BB6_4010 Depth=4
	s_or_saveexec_b32 s38, s38
	v_mov_b32_e32 v74, s37
	s_xor_b32 exec_lo, exec_lo, s38
	s_cbranch_execnz .LBB6_5179
.LBB6_4448:                             ;   in Loop: Header=BB6_4010 Depth=4
	s_or_b32 exec_lo, exec_lo, s38
	s_and_saveexec_b32 s37, s13
	s_cbranch_execz .LBB6_4450
.LBB6_4449:                             ;   in Loop: Header=BB6_4010 Depth=4
	v_lshrrev_b16 v77, 3, v73
	v_lshlrev_b32_e32 v78, 24, v73
	s_delay_alu instid0(VALU_DEP_2) | instskip(NEXT) | instid1(VALU_DEP_1)
	v_and_b32_e32 v77, 15, v77
	v_cmp_eq_u32_e32 vcc_lo, 0, v77
	v_and_b32_e32 v74, 7, v73
	s_delay_alu instid0(VALU_DEP_1) | instskip(NEXT) | instid1(VALU_DEP_1)
	v_clz_i32_u32_e32 v75, v74
	v_min_u32_e32 v75, 32, v75
	s_delay_alu instid0(VALU_DEP_1) | instskip(SKIP_1) | instid1(VALU_DEP_1)
	v_subrev_nc_u32_e32 v76, 28, v75
	v_sub_nc_u32_e32 v75, 29, v75
	v_dual_cndmask_b32 v75, v77, v75 :: v_dual_lshlrev_b32 v76, v76, v73
	s_delay_alu instid0(VALU_DEP_1) | instskip(NEXT) | instid1(VALU_DEP_2)
	v_and_b32_e32 v76, 7, v76
	v_lshl_add_u32 v75, v75, 23, 0x3b800000
	s_delay_alu instid0(VALU_DEP_2) | instskip(SKIP_1) | instid1(VALU_DEP_2)
	v_cndmask_b32_e32 v74, v74, v76, vcc_lo
	v_and_b32_e32 v76, 0x80000000, v78
	v_lshlrev_b32_e32 v74, 20, v74
	s_delay_alu instid0(VALU_DEP_1)
	v_or3_b32 v74, v76, v75, v74
.LBB6_4450:                             ;   in Loop: Header=BB6_4010 Depth=4
	s_or_b32 exec_lo, exec_lo, s37
	s_waitcnt vmcnt(16) lgkmcnt(16)
	v_and_b32_e32 v76, 0xff, v72
	s_mov_b32 s13, 0
	s_mov_b32 s38, exec_lo
                                        ; implicit-def: $sgpr37
	s_delay_alu instid0(VALU_DEP_1)
	v_cmpx_lt_i16_e32 0x7f, v76
	s_xor_b32 s38, exec_lo, s38
	s_cbranch_execnz .LBB6_5180
; %bb.4451:                             ;   in Loop: Header=BB6_4010 Depth=4
	s_or_saveexec_b32 s38, s38
	v_mov_b32_e32 v75, s37
	s_xor_b32 exec_lo, exec_lo, s38
	s_cbranch_execnz .LBB6_5183
.LBB6_4452:                             ;   in Loop: Header=BB6_4010 Depth=4
	s_or_b32 exec_lo, exec_lo, s38
	s_and_saveexec_b32 s37, s13
	s_cbranch_execz .LBB6_4454
.LBB6_4453:                             ;   in Loop: Header=BB6_4010 Depth=4
	v_and_b32_e32 v75, 7, v72
	v_lshrrev_b16 v78, 3, v72
	v_lshlrev_b32_e32 v79, 24, v72
	s_delay_alu instid0(VALU_DEP_3) | instskip(NEXT) | instid1(VALU_DEP_1)
	v_clz_i32_u32_e32 v76, v75
	v_min_u32_e32 v76, 32, v76
	s_delay_alu instid0(VALU_DEP_1) | instskip(SKIP_1) | instid1(VALU_DEP_2)
	v_subrev_nc_u32_e32 v77, 28, v76
	v_sub_nc_u32_e32 v76, 29, v76
	v_lshlrev_b32_e32 v77, v77, v72
	s_delay_alu instid0(VALU_DEP_1) | instskip(SKIP_1) | instid1(VALU_DEP_1)
	v_and_b32_e32 v77, 7, v77
	v_and_b32_e32 v78, 15, v78
	v_cmp_eq_u32_e32 vcc_lo, 0, v78
	s_delay_alu instid0(VALU_DEP_3) | instskip(SKIP_1) | instid1(VALU_DEP_2)
	v_dual_cndmask_b32 v75, v75, v77 :: v_dual_cndmask_b32 v76, v78, v76
	v_and_b32_e32 v77, 0x80000000, v79
	v_lshlrev_b32_e32 v75, 20, v75
	s_delay_alu instid0(VALU_DEP_3) | instskip(NEXT) | instid1(VALU_DEP_1)
	v_lshl_add_u32 v76, v76, 23, 0x3b800000
	v_or3_b32 v75, v77, v76, v75
.LBB6_4454:                             ;   in Loop: Header=BB6_4010 Depth=4
	s_or_b32 exec_lo, exec_lo, s37
	s_delay_alu instid0(VALU_DEP_1) | instskip(SKIP_1) | instid1(VALU_DEP_1)
	v_dual_max_f32 v75, v75, v75 :: v_dual_max_f32 v74, v74, v74
	s_mov_b32 s13, 0
	v_max_f32_e32 v74, v74, v75
	s_branch .LBB6_4456
.LBB6_4455:                             ;   in Loop: Header=BB6_4010 Depth=4
	s_mov_b32 s13, -1
                                        ; implicit-def: $vgpr74
.LBB6_4456:                             ;   in Loop: Header=BB6_4010 Depth=4
	s_delay_alu instid0(SALU_CYCLE_1)
	s_and_b32 vcc_lo, exec_lo, s13
	s_cbranch_vccz .LBB6_4466
; %bb.4457:                             ;   in Loop: Header=BB6_4010 Depth=4
	v_and_b32_e32 v75, 0xff, v73
	s_mov_b32 s13, 0
	s_mov_b32 s38, exec_lo
                                        ; implicit-def: $sgpr37
	s_delay_alu instid0(VALU_DEP_1)
	v_cmpx_lt_i16_e32 0x7f, v75
	s_xor_b32 s38, exec_lo, s38
	s_cbranch_execnz .LBB6_5184
; %bb.4458:                             ;   in Loop: Header=BB6_4010 Depth=4
	s_or_saveexec_b32 s38, s38
	v_mov_b32_e32 v74, s37
	s_xor_b32 exec_lo, exec_lo, s38
	s_cbranch_execnz .LBB6_5187
.LBB6_4459:                             ;   in Loop: Header=BB6_4010 Depth=4
	s_or_b32 exec_lo, exec_lo, s38
	s_and_saveexec_b32 s37, s13
	s_cbranch_execz .LBB6_4461
.LBB6_4460:                             ;   in Loop: Header=BB6_4010 Depth=4
	v_lshrrev_b16 v77, 3, v73
	s_delay_alu instid0(VALU_DEP_1) | instskip(NEXT) | instid1(VALU_DEP_1)
	v_and_b32_e32 v77, 15, v77
	v_cmp_eq_u32_e32 vcc_lo, 0, v77
	v_and_b32_e32 v74, 7, v73
	s_delay_alu instid0(VALU_DEP_1) | instskip(NEXT) | instid1(VALU_DEP_1)
	v_clz_i32_u32_e32 v75, v74
	v_min_u32_e32 v75, 32, v75
	s_delay_alu instid0(VALU_DEP_1) | instskip(SKIP_1) | instid1(VALU_DEP_1)
	v_subrev_nc_u32_e32 v76, 28, v75
	v_sub_nc_u32_e32 v75, 29, v75
	v_dual_cndmask_b32 v75, v77, v75 :: v_dual_lshlrev_b32 v76, v76, v73
	v_lshlrev_b32_e32 v73, 24, v73
	s_delay_alu instid0(VALU_DEP_2) | instskip(NEXT) | instid1(VALU_DEP_3)
	v_and_b32_e32 v76, 7, v76
	v_lshl_add_u32 v75, v75, 23, 0x3b800000
	s_delay_alu instid0(VALU_DEP_2) | instskip(NEXT) | instid1(VALU_DEP_1)
	v_dual_cndmask_b32 v74, v74, v76 :: v_dual_and_b32 v73, 0x80000000, v73
	v_lshlrev_b32_e32 v74, 20, v74
	s_delay_alu instid0(VALU_DEP_1)
	v_or3_b32 v74, v73, v75, v74
.LBB6_4461:                             ;   in Loop: Header=BB6_4010 Depth=4
	s_or_b32 exec_lo, exec_lo, s37
	s_waitcnt vmcnt(16) lgkmcnt(16)
	v_and_b32_e32 v75, 0xff, v72
	s_mov_b32 s13, 0
	s_mov_b32 s38, exec_lo
                                        ; implicit-def: $sgpr37
	s_delay_alu instid0(VALU_DEP_1)
	v_cmpx_lt_i16_e32 0x7f, v75
	s_xor_b32 s38, exec_lo, s38
	s_cbranch_execnz .LBB6_5188
; %bb.4462:                             ;   in Loop: Header=BB6_4010 Depth=4
	s_or_saveexec_b32 s38, s38
	v_mov_b32_e32 v73, s37
	s_xor_b32 exec_lo, exec_lo, s38
	s_cbranch_execnz .LBB6_5191
.LBB6_4463:                             ;   in Loop: Header=BB6_4010 Depth=4
	s_or_b32 exec_lo, exec_lo, s38
	s_and_saveexec_b32 s37, s13
	s_cbranch_execz .LBB6_4465
.LBB6_4464:                             ;   in Loop: Header=BB6_4010 Depth=4
	v_and_b32_e32 v73, 7, v72
	v_lshrrev_b16 v77, 3, v72
	s_delay_alu instid0(VALU_DEP_2) | instskip(NEXT) | instid1(VALU_DEP_2)
	v_clz_i32_u32_e32 v75, v73
	v_and_b32_e32 v77, 15, v77
	s_delay_alu instid0(VALU_DEP_2) | instskip(NEXT) | instid1(VALU_DEP_2)
	v_min_u32_e32 v75, 32, v75
	v_cmp_eq_u32_e32 vcc_lo, 0, v77
	s_delay_alu instid0(VALU_DEP_2) | instskip(SKIP_1) | instid1(VALU_DEP_1)
	v_subrev_nc_u32_e32 v76, 28, v75
	v_sub_nc_u32_e32 v75, 29, v75
	v_dual_cndmask_b32 v75, v77, v75 :: v_dual_lshlrev_b32 v76, v76, v72
	v_lshlrev_b32_e32 v72, 24, v72
	s_delay_alu instid0(VALU_DEP_2) | instskip(NEXT) | instid1(VALU_DEP_3)
	v_and_b32_e32 v76, 7, v76
	v_lshl_add_u32 v75, v75, 23, 0x3b800000
	s_delay_alu instid0(VALU_DEP_3) | instskip(NEXT) | instid1(VALU_DEP_3)
	v_and_b32_e32 v72, 0x80000000, v72
	v_cndmask_b32_e32 v73, v73, v76, vcc_lo
	s_delay_alu instid0(VALU_DEP_1) | instskip(NEXT) | instid1(VALU_DEP_1)
	v_lshlrev_b32_e32 v73, 20, v73
	v_or3_b32 v73, v72, v75, v73
.LBB6_4465:                             ;   in Loop: Header=BB6_4010 Depth=4
	s_or_b32 exec_lo, exec_lo, s37
	s_delay_alu instid0(VALU_DEP_1) | instskip(NEXT) | instid1(VALU_DEP_1)
	v_dual_max_f32 v72, v73, v73 :: v_dual_max_f32 v73, v74, v74
	v_min_f32_e32 v74, v73, v72
.LBB6_4466:                             ;   in Loop: Header=BB6_4010 Depth=4
	s_waitcnt vmcnt(16) lgkmcnt(16)
	s_delay_alu instid0(VALU_DEP_1) | instskip(NEXT) | instid1(VALU_DEP_1)
	v_and_b32_e32 v72, 0x7f800000, v74
	v_cmp_ne_u32_e32 vcc_lo, 0x7f800000, v72
	v_mov_b32_e32 v72, 0x80
	s_and_saveexec_b32 s37, vcc_lo
	s_cbranch_execz .LBB6_4474
; %bb.4467:                             ;   in Loop: Header=BB6_4010 Depth=4
	v_mov_b32_e32 v72, 0
	s_mov_b32 s38, exec_lo
	v_cmpx_ne_u32_e32 0, v74
	s_cbranch_execz .LBB6_4473
; %bb.4468:                             ;   in Loop: Header=BB6_4010 Depth=4
	v_bfe_u32 v72, v74, 23, 8
	v_and_b32_e32 v73, 0x7fffff, v74
	s_delay_alu instid0(VALU_DEP_2) | instskip(SKIP_1) | instid1(VALU_DEP_3)
	v_sub_nc_u32_e32 v75, 0x78, v72
	v_cmp_gt_u32_e32 vcc_lo, 0x79, v72
	v_or_b32_e32 v76, 0x800000, v73
	s_delay_alu instid0(VALU_DEP_3) | instskip(SKIP_2) | instid1(VALU_DEP_3)
	v_cndmask_b32_e32 v75, 0, v75, vcc_lo
	v_cmp_eq_u32_e32 vcc_lo, 0, v72
	v_add_nc_u32_e32 v72, 0xffffff89, v72
	v_cndmask_b32_e64 v75, v75, 0x77, vcc_lo
	v_cndmask_b32_e32 v73, v76, v73, vcc_lo
	s_delay_alu instid0(VALU_DEP_3) | instskip(NEXT) | instid1(VALU_DEP_3)
	v_cndmask_b32_e64 v72, v72, 0xffffff8a, vcc_lo
	v_lshl_add_u32 v76, 0x100000, v75, -1
	s_delay_alu instid0(VALU_DEP_3) | instskip(SKIP_1) | instid1(VALU_DEP_4)
	v_lshrrev_b32_e32 v77, v75, v73
	v_lshlrev_b32_e64 v79, v75, 0x80000
	v_add_nc_u32_e32 v75, v75, v72
	s_delay_alu instid0(VALU_DEP_4) | instskip(NEXT) | instid1(VALU_DEP_4)
	v_and_b32_e32 v73, v76, v73
	v_bfe_u32 v78, v77, 20, 1
	s_delay_alu instid0(VALU_DEP_2) | instskip(NEXT) | instid1(VALU_DEP_2)
	v_cmp_eq_u32_e64 s13, v73, v79
	v_add_nc_u32_e32 v76, -1, v78
	s_delay_alu instid0(VALU_DEP_1) | instskip(SKIP_2) | instid1(VALU_DEP_2)
	v_cndmask_b32_e64 v73, 0, v76, s13
	v_lshrrev_b32_e32 v76, 23, v77
	s_mov_b32 s13, exec_lo
	v_add_nc_u32_e32 v73, v73, v77
	s_delay_alu instid0(VALU_DEP_2) | instskip(NEXT) | instid1(VALU_DEP_2)
	v_xor_b32_e32 v76, 1, v76
	v_and_b32_e32 v72, 0xfffff, v73
	s_delay_alu instid0(VALU_DEP_1) | instskip(NEXT) | instid1(VALU_DEP_3)
	v_add_nc_u32_e32 v73, v72, v77
                                        ; implicit-def: $vgpr72
	v_cmpx_ne_u32_e64 v75, v76
	s_xor_b32 s13, exec_lo, s13
; %bb.4469:                             ;   in Loop: Header=BB6_4010 Depth=4
	s_delay_alu instid0(VALU_DEP_2) | instskip(SKIP_2) | instid1(VALU_DEP_2)
	v_cmp_lt_u32_e32 vcc_lo, 0xffffff, v73
	v_sub_nc_u32_e32 v72, v75, v76
	v_cndmask_b32_e64 v75, 0, 1, vcc_lo
	v_add_co_ci_u32_e32 v72, vcc_lo, 0, v72, vcc_lo
	s_delay_alu instid0(VALU_DEP_2)
	v_lshrrev_b32_e32 v73, v75, v73
; %bb.4470:                             ;   in Loop: Header=BB6_4010 Depth=4
	s_and_not1_saveexec_b32 s13, s13
; %bb.4471:                             ;   in Loop: Header=BB6_4010 Depth=4
	s_delay_alu instid0(VALU_DEP_1)
	v_bfe_u32 v72, v73, 23, 1
; %bb.4472:                             ;   in Loop: Header=BB6_4010 Depth=4
	s_or_b32 exec_lo, exec_lo, s13
	v_lshrrev_b32_e32 v73, 20, v73
	s_delay_alu instid0(VALU_DEP_2) | instskip(SKIP_2) | instid1(VALU_DEP_2)
	v_cmp_gt_i32_e32 vcc_lo, 16, v72
	v_lshrrev_b32_e32 v74, 24, v74
	v_min_i32_e32 v75, 15, v72
	v_dual_cndmask_b32 v73, 7, v73 :: v_dual_and_b32 v74, 0x80, v74
	s_delay_alu instid0(VALU_DEP_1) | instskip(SKIP_1) | instid1(VALU_DEP_2)
	v_or_b32_e32 v72, v72, v73
	v_and_b32_e32 v76, 7, v73
	v_cmp_ne_u32_e32 vcc_lo, 0, v72
	v_lshlrev_b32_e32 v75, 3, v75
	s_delay_alu instid0(VALU_DEP_1) | instskip(NEXT) | instid1(VALU_DEP_1)
	v_or3_b32 v73, v75, v74, v76
	v_cndmask_b32_e32 v72, 0, v73, vcc_lo
.LBB6_4473:                             ;   in Loop: Header=BB6_4010 Depth=4
	s_or_b32 exec_lo, exec_lo, s38
.LBB6_4474:                             ;   in Loop: Header=BB6_4010 Depth=4
	s_delay_alu instid0(SALU_CYCLE_1) | instskip(NEXT) | instid1(SALU_CYCLE_1)
	s_or_b32 exec_lo, exec_lo, s37
	s_and_not1_b32 vcc_lo, exec_lo, s35
	s_cbranch_vccnz .LBB6_4484
; %bb.4475:                             ;   in Loop: Header=BB6_4010 Depth=4
	v_and_b32_e32 v74, 0xff, v63
	s_mov_b32 s13, 0
	s_mov_b32 s38, exec_lo
                                        ; implicit-def: $sgpr37
	s_delay_alu instid0(VALU_DEP_1)
	v_cmpx_lt_i16_e32 0x7f, v74
	s_xor_b32 s38, exec_lo, s38
	s_cbranch_execnz .LBB6_5192
; %bb.4476:                             ;   in Loop: Header=BB6_4010 Depth=4
	s_or_saveexec_b32 s38, s38
	v_mov_b32_e32 v73, s37
	s_xor_b32 exec_lo, exec_lo, s38
	s_cbranch_execnz .LBB6_5195
.LBB6_4477:                             ;   in Loop: Header=BB6_4010 Depth=4
	s_or_b32 exec_lo, exec_lo, s38
	s_and_saveexec_b32 s37, s13
	s_cbranch_execz .LBB6_4479
.LBB6_4478:                             ;   in Loop: Header=BB6_4010 Depth=4
	v_lshrrev_b16 v76, 3, v63
	v_lshlrev_b32_e32 v77, 24, v63
	s_delay_alu instid0(VALU_DEP_2) | instskip(NEXT) | instid1(VALU_DEP_1)
	v_and_b32_e32 v76, 15, v76
	v_cmp_eq_u32_e32 vcc_lo, 0, v76
	v_and_b32_e32 v73, 7, v63
	s_delay_alu instid0(VALU_DEP_1) | instskip(NEXT) | instid1(VALU_DEP_1)
	v_clz_i32_u32_e32 v74, v73
	v_min_u32_e32 v74, 32, v74
	s_delay_alu instid0(VALU_DEP_1) | instskip(SKIP_1) | instid1(VALU_DEP_1)
	v_subrev_nc_u32_e32 v75, 28, v74
	v_sub_nc_u32_e32 v74, 29, v74
	v_dual_cndmask_b32 v74, v76, v74 :: v_dual_lshlrev_b32 v75, v75, v63
	s_delay_alu instid0(VALU_DEP_1) | instskip(NEXT) | instid1(VALU_DEP_2)
	v_and_b32_e32 v75, 7, v75
	v_lshl_add_u32 v74, v74, 23, 0x3b800000
	s_delay_alu instid0(VALU_DEP_2) | instskip(SKIP_1) | instid1(VALU_DEP_2)
	v_cndmask_b32_e32 v73, v73, v75, vcc_lo
	v_and_b32_e32 v75, 0x80000000, v77
	v_lshlrev_b32_e32 v73, 20, v73
	s_delay_alu instid0(VALU_DEP_1)
	v_or3_b32 v73, v75, v74, v73
.LBB6_4479:                             ;   in Loop: Header=BB6_4010 Depth=4
	s_or_b32 exec_lo, exec_lo, s37
	s_waitcnt vmcnt(15) lgkmcnt(15)
	v_and_b32_e32 v75, 0xff, v62
	s_mov_b32 s13, 0
	s_mov_b32 s38, exec_lo
                                        ; implicit-def: $sgpr37
	s_delay_alu instid0(VALU_DEP_1)
	v_cmpx_lt_i16_e32 0x7f, v75
	s_xor_b32 s38, exec_lo, s38
	s_cbranch_execnz .LBB6_5196
; %bb.4480:                             ;   in Loop: Header=BB6_4010 Depth=4
	s_or_saveexec_b32 s38, s38
	v_mov_b32_e32 v74, s37
	s_xor_b32 exec_lo, exec_lo, s38
	s_cbranch_execnz .LBB6_5199
.LBB6_4481:                             ;   in Loop: Header=BB6_4010 Depth=4
	s_or_b32 exec_lo, exec_lo, s38
	s_and_saveexec_b32 s37, s13
	s_cbranch_execz .LBB6_4483
.LBB6_4482:                             ;   in Loop: Header=BB6_4010 Depth=4
	v_lshrrev_b16 v77, 3, v62
	v_lshlrev_b32_e32 v78, 24, v62
	s_delay_alu instid0(VALU_DEP_2) | instskip(NEXT) | instid1(VALU_DEP_1)
	v_and_b32_e32 v77, 15, v77
	v_cmp_eq_u32_e32 vcc_lo, 0, v77
	v_and_b32_e32 v74, 7, v62
	s_delay_alu instid0(VALU_DEP_1) | instskip(NEXT) | instid1(VALU_DEP_1)
	v_clz_i32_u32_e32 v75, v74
	v_min_u32_e32 v75, 32, v75
	s_delay_alu instid0(VALU_DEP_1) | instskip(SKIP_1) | instid1(VALU_DEP_1)
	v_subrev_nc_u32_e32 v76, 28, v75
	v_sub_nc_u32_e32 v75, 29, v75
	v_dual_cndmask_b32 v75, v77, v75 :: v_dual_lshlrev_b32 v76, v76, v62
	s_delay_alu instid0(VALU_DEP_1) | instskip(NEXT) | instid1(VALU_DEP_2)
	v_and_b32_e32 v76, 7, v76
	v_lshl_add_u32 v75, v75, 23, 0x3b800000
	s_delay_alu instid0(VALU_DEP_2) | instskip(SKIP_1) | instid1(VALU_DEP_2)
	v_cndmask_b32_e32 v74, v74, v76, vcc_lo
	v_and_b32_e32 v76, 0x80000000, v78
	v_lshlrev_b32_e32 v74, 20, v74
	s_delay_alu instid0(VALU_DEP_1)
	v_or3_b32 v74, v76, v75, v74
.LBB6_4483:                             ;   in Loop: Header=BB6_4010 Depth=4
	s_or_b32 exec_lo, exec_lo, s37
	s_delay_alu instid0(VALU_DEP_1) | instskip(SKIP_1) | instid1(VALU_DEP_1)
	v_dual_max_f32 v74, v74, v74 :: v_dual_max_f32 v73, v73, v73
	s_mov_b32 s13, 0
	v_max_f32_e32 v73, v73, v74
	s_branch .LBB6_4485
.LBB6_4484:                             ;   in Loop: Header=BB6_4010 Depth=4
	s_mov_b32 s13, -1
                                        ; implicit-def: $vgpr73
.LBB6_4485:                             ;   in Loop: Header=BB6_4010 Depth=4
	s_delay_alu instid0(SALU_CYCLE_1)
	s_and_b32 vcc_lo, exec_lo, s13
	s_cbranch_vccz .LBB6_4495
; %bb.4486:                             ;   in Loop: Header=BB6_4010 Depth=4
	v_and_b32_e32 v74, 0xff, v63
	s_mov_b32 s13, 0
	s_mov_b32 s38, exec_lo
                                        ; implicit-def: $sgpr37
	s_delay_alu instid0(VALU_DEP_1)
	v_cmpx_lt_i16_e32 0x7f, v74
	s_xor_b32 s38, exec_lo, s38
	s_cbranch_execnz .LBB6_5200
; %bb.4487:                             ;   in Loop: Header=BB6_4010 Depth=4
	s_or_saveexec_b32 s38, s38
	v_mov_b32_e32 v73, s37
	s_xor_b32 exec_lo, exec_lo, s38
	s_cbranch_execnz .LBB6_5203
.LBB6_4488:                             ;   in Loop: Header=BB6_4010 Depth=4
	s_or_b32 exec_lo, exec_lo, s38
	s_and_saveexec_b32 s37, s13
	s_cbranch_execz .LBB6_4490
.LBB6_4489:                             ;   in Loop: Header=BB6_4010 Depth=4
	v_lshrrev_b16 v76, 3, v63
	s_delay_alu instid0(VALU_DEP_1) | instskip(NEXT) | instid1(VALU_DEP_1)
	v_and_b32_e32 v76, 15, v76
	v_cmp_eq_u32_e32 vcc_lo, 0, v76
	v_and_b32_e32 v73, 7, v63
	s_delay_alu instid0(VALU_DEP_1) | instskip(NEXT) | instid1(VALU_DEP_1)
	v_clz_i32_u32_e32 v74, v73
	v_min_u32_e32 v74, 32, v74
	s_delay_alu instid0(VALU_DEP_1) | instskip(SKIP_1) | instid1(VALU_DEP_1)
	v_subrev_nc_u32_e32 v75, 28, v74
	v_sub_nc_u32_e32 v74, 29, v74
	v_dual_cndmask_b32 v74, v76, v74 :: v_dual_lshlrev_b32 v75, v75, v63
	v_lshlrev_b32_e32 v63, 24, v63
	s_delay_alu instid0(VALU_DEP_2) | instskip(NEXT) | instid1(VALU_DEP_3)
	v_and_b32_e32 v75, 7, v75
	v_lshl_add_u32 v74, v74, 23, 0x3b800000
	s_delay_alu instid0(VALU_DEP_3) | instskip(NEXT) | instid1(VALU_DEP_3)
	v_and_b32_e32 v63, 0x80000000, v63
	v_cndmask_b32_e32 v73, v73, v75, vcc_lo
	s_delay_alu instid0(VALU_DEP_1) | instskip(NEXT) | instid1(VALU_DEP_1)
	v_lshlrev_b32_e32 v73, 20, v73
	v_or3_b32 v73, v63, v74, v73
.LBB6_4490:                             ;   in Loop: Header=BB6_4010 Depth=4
	s_or_b32 exec_lo, exec_lo, s37
	s_waitcnt vmcnt(15) lgkmcnt(15)
	v_and_b32_e32 v74, 0xff, v62
	s_mov_b32 s13, 0
	s_mov_b32 s38, exec_lo
                                        ; implicit-def: $sgpr37
	s_delay_alu instid0(VALU_DEP_1)
	v_cmpx_lt_i16_e32 0x7f, v74
	s_xor_b32 s38, exec_lo, s38
	s_cbranch_execnz .LBB6_5204
; %bb.4491:                             ;   in Loop: Header=BB6_4010 Depth=4
	s_or_saveexec_b32 s38, s38
	v_mov_b32_e32 v63, s37
	s_xor_b32 exec_lo, exec_lo, s38
	s_cbranch_execnz .LBB6_5207
.LBB6_4492:                             ;   in Loop: Header=BB6_4010 Depth=4
	s_or_b32 exec_lo, exec_lo, s38
	s_and_saveexec_b32 s37, s13
	s_cbranch_execz .LBB6_4494
.LBB6_4493:                             ;   in Loop: Header=BB6_4010 Depth=4
	v_and_b32_e32 v63, 7, v62
	v_lshrrev_b16 v76, 3, v62
	s_delay_alu instid0(VALU_DEP_2) | instskip(NEXT) | instid1(VALU_DEP_1)
	v_clz_i32_u32_e32 v74, v63
	v_min_u32_e32 v74, 32, v74
	s_delay_alu instid0(VALU_DEP_1) | instskip(SKIP_1) | instid1(VALU_DEP_2)
	v_subrev_nc_u32_e32 v75, 28, v74
	v_sub_nc_u32_e32 v74, 29, v74
	v_lshlrev_b32_e32 v75, v75, v62
	v_lshlrev_b32_e32 v62, 24, v62
	s_delay_alu instid0(VALU_DEP_2) | instskip(SKIP_1) | instid1(VALU_DEP_3)
	v_and_b32_e32 v75, 7, v75
	v_and_b32_e32 v76, 15, v76
	;; [unrolled: 1-line block ×3, first 2 shown]
	s_delay_alu instid0(VALU_DEP_2) | instskip(NEXT) | instid1(VALU_DEP_4)
	v_cmp_eq_u32_e32 vcc_lo, 0, v76
	v_dual_cndmask_b32 v63, v63, v75 :: v_dual_cndmask_b32 v74, v76, v74
	s_delay_alu instid0(VALU_DEP_1) | instskip(NEXT) | instid1(VALU_DEP_2)
	v_lshlrev_b32_e32 v63, 20, v63
	v_lshl_add_u32 v74, v74, 23, 0x3b800000
	s_delay_alu instid0(VALU_DEP_1)
	v_or3_b32 v63, v62, v74, v63
.LBB6_4494:                             ;   in Loop: Header=BB6_4010 Depth=4
	s_or_b32 exec_lo, exec_lo, s37
	s_delay_alu instid0(VALU_DEP_1) | instskip(NEXT) | instid1(VALU_DEP_1)
	v_dual_max_f32 v62, v63, v63 :: v_dual_max_f32 v63, v73, v73
	v_min_f32_e32 v73, v63, v62
.LBB6_4495:                             ;   in Loop: Header=BB6_4010 Depth=4
	s_waitcnt vmcnt(15) lgkmcnt(15)
	s_delay_alu instid0(VALU_DEP_1) | instskip(NEXT) | instid1(VALU_DEP_1)
	v_and_b32_e32 v62, 0x7f800000, v73
	v_cmp_ne_u32_e32 vcc_lo, 0x7f800000, v62
	v_mov_b32_e32 v62, 0x80
	s_and_saveexec_b32 s37, vcc_lo
	s_cbranch_execz .LBB6_4503
; %bb.4496:                             ;   in Loop: Header=BB6_4010 Depth=4
	v_mov_b32_e32 v62, 0
	s_mov_b32 s38, exec_lo
	v_cmpx_ne_u32_e32 0, v73
	s_cbranch_execz .LBB6_4502
; %bb.4497:                             ;   in Loop: Header=BB6_4010 Depth=4
	v_bfe_u32 v62, v73, 23, 8
	s_delay_alu instid0(VALU_DEP_1) | instskip(SKIP_1) | instid1(VALU_DEP_2)
	v_sub_nc_u32_e32 v74, 0x78, v62
	v_cmp_gt_u32_e32 vcc_lo, 0x79, v62
	v_dual_cndmask_b32 v74, 0, v74 :: v_dual_and_b32 v63, 0x7fffff, v73
	s_delay_alu instid0(VALU_DEP_1) | instskip(SKIP_2) | instid1(VALU_DEP_4)
	v_or_b32_e32 v75, 0x800000, v63
	v_cmp_eq_u32_e32 vcc_lo, 0, v62
	v_add_nc_u32_e32 v62, 0xffffff89, v62
	v_cndmask_b32_e64 v74, v74, 0x77, vcc_lo
	s_delay_alu instid0(VALU_DEP_4) | instskip(NEXT) | instid1(VALU_DEP_3)
	v_cndmask_b32_e32 v63, v75, v63, vcc_lo
	v_cndmask_b32_e64 v62, v62, 0xffffff8a, vcc_lo
	s_delay_alu instid0(VALU_DEP_3) | instskip(NEXT) | instid1(VALU_DEP_3)
	v_lshl_add_u32 v75, 0x100000, v74, -1
	v_lshrrev_b32_e32 v76, v74, v63
	v_lshlrev_b32_e64 v78, v74, 0x80000
	s_delay_alu instid0(VALU_DEP_4) | instskip(NEXT) | instid1(VALU_DEP_4)
	v_add_nc_u32_e32 v74, v74, v62
	v_and_b32_e32 v63, v75, v63
	s_delay_alu instid0(VALU_DEP_4) | instskip(NEXT) | instid1(VALU_DEP_2)
	v_bfe_u32 v77, v76, 20, 1
	v_cmp_eq_u32_e64 s13, v63, v78
	s_delay_alu instid0(VALU_DEP_2) | instskip(NEXT) | instid1(VALU_DEP_1)
	v_add_nc_u32_e32 v75, -1, v77
	v_cndmask_b32_e64 v63, 0, v75, s13
	v_lshrrev_b32_e32 v75, 23, v76
	s_mov_b32 s13, exec_lo
	s_delay_alu instid0(VALU_DEP_2) | instskip(NEXT) | instid1(VALU_DEP_2)
	v_add_nc_u32_e32 v63, v63, v76
	v_xor_b32_e32 v75, 1, v75
	s_delay_alu instid0(VALU_DEP_2) | instskip(NEXT) | instid1(VALU_DEP_1)
	v_and_b32_e32 v62, 0xfffff, v63
	v_add_nc_u32_e32 v63, v62, v76
                                        ; implicit-def: $vgpr62
	s_delay_alu instid0(VALU_DEP_3)
	v_cmpx_ne_u32_e64 v74, v75
	s_xor_b32 s13, exec_lo, s13
; %bb.4498:                             ;   in Loop: Header=BB6_4010 Depth=4
	s_delay_alu instid0(VALU_DEP_2) | instskip(SKIP_2) | instid1(VALU_DEP_2)
	v_cmp_lt_u32_e32 vcc_lo, 0xffffff, v63
	v_sub_nc_u32_e32 v62, v74, v75
	v_cndmask_b32_e64 v74, 0, 1, vcc_lo
	v_add_co_ci_u32_e32 v62, vcc_lo, 0, v62, vcc_lo
	s_delay_alu instid0(VALU_DEP_2)
	v_lshrrev_b32_e32 v63, v74, v63
; %bb.4499:                             ;   in Loop: Header=BB6_4010 Depth=4
	s_and_not1_saveexec_b32 s13, s13
; %bb.4500:                             ;   in Loop: Header=BB6_4010 Depth=4
	s_delay_alu instid0(VALU_DEP_1)
	v_bfe_u32 v62, v63, 23, 1
; %bb.4501:                             ;   in Loop: Header=BB6_4010 Depth=4
	s_or_b32 exec_lo, exec_lo, s13
	v_lshrrev_b32_e32 v63, 20, v63
	s_delay_alu instid0(VALU_DEP_2) | instskip(SKIP_2) | instid1(VALU_DEP_2)
	v_cmp_gt_i32_e32 vcc_lo, 16, v62
	v_min_i32_e32 v74, 15, v62
	v_lshrrev_b32_e32 v73, 24, v73
	v_dual_cndmask_b32 v63, 7, v63 :: v_dual_lshlrev_b32 v74, 3, v74
	s_delay_alu instid0(VALU_DEP_1) | instskip(SKIP_1) | instid1(VALU_DEP_2)
	v_or_b32_e32 v62, v62, v63
	v_and_b32_e32 v75, 7, v63
	v_cmp_ne_u32_e32 vcc_lo, 0, v62
	v_and_b32_e32 v73, 0x80, v73
	s_delay_alu instid0(VALU_DEP_1) | instskip(NEXT) | instid1(VALU_DEP_1)
	v_or3_b32 v63, v74, v73, v75
	v_cndmask_b32_e32 v62, 0, v63, vcc_lo
.LBB6_4502:                             ;   in Loop: Header=BB6_4010 Depth=4
	s_or_b32 exec_lo, exec_lo, s38
.LBB6_4503:                             ;   in Loop: Header=BB6_4010 Depth=4
	s_delay_alu instid0(SALU_CYCLE_1) | instskip(NEXT) | instid1(SALU_CYCLE_1)
	s_or_b32 exec_lo, exec_lo, s37
	s_and_not1_b32 vcc_lo, exec_lo, s35
	s_cbranch_vccnz .LBB6_4513
; %bb.4504:                             ;   in Loop: Header=BB6_4010 Depth=4
	v_and_b32_e32 v73, 0xff, v60
	s_mov_b32 s13, 0
	s_mov_b32 s38, exec_lo
                                        ; implicit-def: $sgpr37
	s_delay_alu instid0(VALU_DEP_1)
	v_cmpx_lt_i16_e32 0x7f, v73
	s_xor_b32 s38, exec_lo, s38
	s_cbranch_execnz .LBB6_5208
; %bb.4505:                             ;   in Loop: Header=BB6_4010 Depth=4
	s_or_saveexec_b32 s38, s38
	v_mov_b32_e32 v63, s37
	s_xor_b32 exec_lo, exec_lo, s38
	s_cbranch_execnz .LBB6_5211
.LBB6_4506:                             ;   in Loop: Header=BB6_4010 Depth=4
	s_or_b32 exec_lo, exec_lo, s38
	s_and_saveexec_b32 s37, s13
	s_cbranch_execz .LBB6_4508
.LBB6_4507:                             ;   in Loop: Header=BB6_4010 Depth=4
	v_and_b32_e32 v63, 7, v60
	v_lshrrev_b16 v75, 3, v60
	s_delay_alu instid0(VALU_DEP_2) | instskip(NEXT) | instid1(VALU_DEP_2)
	v_clz_i32_u32_e32 v73, v63
	v_and_b32_e32 v75, 15, v75
	s_delay_alu instid0(VALU_DEP_2) | instskip(NEXT) | instid1(VALU_DEP_2)
	v_min_u32_e32 v73, 32, v73
	v_cmp_eq_u32_e32 vcc_lo, 0, v75
	s_delay_alu instid0(VALU_DEP_2) | instskip(SKIP_1) | instid1(VALU_DEP_1)
	v_subrev_nc_u32_e32 v74, 28, v73
	v_sub_nc_u32_e32 v73, 29, v73
	v_dual_cndmask_b32 v73, v75, v73 :: v_dual_lshlrev_b32 v74, v74, v60
	s_delay_alu instid0(VALU_DEP_1) | instskip(SKIP_1) | instid1(VALU_DEP_3)
	v_and_b32_e32 v74, 7, v74
	v_lshlrev_b32_e32 v76, 24, v60
	v_lshl_add_u32 v73, v73, 23, 0x3b800000
	s_delay_alu instid0(VALU_DEP_2) | instskip(NEXT) | instid1(VALU_DEP_1)
	v_dual_cndmask_b32 v63, v63, v74 :: v_dual_and_b32 v74, 0x80000000, v76
	v_lshlrev_b32_e32 v63, 20, v63
	s_delay_alu instid0(VALU_DEP_1)
	v_or3_b32 v63, v74, v73, v63
.LBB6_4508:                             ;   in Loop: Header=BB6_4010 Depth=4
	s_or_b32 exec_lo, exec_lo, s37
	s_waitcnt vmcnt(14) lgkmcnt(14)
	v_and_b32_e32 v74, 0xff, v59
	s_mov_b32 s13, 0
	s_mov_b32 s38, exec_lo
                                        ; implicit-def: $sgpr37
	s_delay_alu instid0(VALU_DEP_1)
	v_cmpx_lt_i16_e32 0x7f, v74
	s_xor_b32 s38, exec_lo, s38
	s_cbranch_execnz .LBB6_5212
; %bb.4509:                             ;   in Loop: Header=BB6_4010 Depth=4
	s_or_saveexec_b32 s38, s38
	v_mov_b32_e32 v73, s37
	s_xor_b32 exec_lo, exec_lo, s38
	s_cbranch_execnz .LBB6_5215
.LBB6_4510:                             ;   in Loop: Header=BB6_4010 Depth=4
	s_or_b32 exec_lo, exec_lo, s38
	s_and_saveexec_b32 s37, s13
	s_cbranch_execz .LBB6_4512
.LBB6_4511:                             ;   in Loop: Header=BB6_4010 Depth=4
	v_lshrrev_b16 v76, 3, v59
	v_lshlrev_b32_e32 v77, 24, v59
	s_delay_alu instid0(VALU_DEP_2) | instskip(NEXT) | instid1(VALU_DEP_1)
	v_and_b32_e32 v76, 15, v76
	v_cmp_eq_u32_e32 vcc_lo, 0, v76
	v_and_b32_e32 v73, 7, v59
	s_delay_alu instid0(VALU_DEP_1) | instskip(NEXT) | instid1(VALU_DEP_1)
	v_clz_i32_u32_e32 v74, v73
	v_min_u32_e32 v74, 32, v74
	s_delay_alu instid0(VALU_DEP_1) | instskip(SKIP_1) | instid1(VALU_DEP_1)
	v_subrev_nc_u32_e32 v75, 28, v74
	v_sub_nc_u32_e32 v74, 29, v74
	v_dual_cndmask_b32 v74, v76, v74 :: v_dual_lshlrev_b32 v75, v75, v59
	s_delay_alu instid0(VALU_DEP_1) | instskip(NEXT) | instid1(VALU_DEP_2)
	v_and_b32_e32 v75, 7, v75
	v_lshl_add_u32 v74, v74, 23, 0x3b800000
	s_delay_alu instid0(VALU_DEP_2) | instskip(SKIP_1) | instid1(VALU_DEP_2)
	v_cndmask_b32_e32 v73, v73, v75, vcc_lo
	v_and_b32_e32 v75, 0x80000000, v77
	v_lshlrev_b32_e32 v73, 20, v73
	s_delay_alu instid0(VALU_DEP_1)
	v_or3_b32 v73, v75, v74, v73
.LBB6_4512:                             ;   in Loop: Header=BB6_4010 Depth=4
	s_or_b32 exec_lo, exec_lo, s37
	s_delay_alu instid0(VALU_DEP_1) | instskip(SKIP_2) | instid1(VALU_DEP_1)
	v_max_f32_e32 v73, v73, v73
	v_max_f32_e32 v63, v63, v63
	s_mov_b32 s13, 0
	v_max_f32_e32 v63, v63, v73
	s_branch .LBB6_4514
.LBB6_4513:                             ;   in Loop: Header=BB6_4010 Depth=4
	s_mov_b32 s13, -1
                                        ; implicit-def: $vgpr63
.LBB6_4514:                             ;   in Loop: Header=BB6_4010 Depth=4
	s_delay_alu instid0(SALU_CYCLE_1)
	s_and_b32 vcc_lo, exec_lo, s13
	s_cbranch_vccz .LBB6_4524
; %bb.4515:                             ;   in Loop: Header=BB6_4010 Depth=4
	v_and_b32_e32 v73, 0xff, v60
	s_mov_b32 s13, 0
	s_mov_b32 s38, exec_lo
                                        ; implicit-def: $sgpr37
	s_delay_alu instid0(VALU_DEP_1)
	v_cmpx_lt_i16_e32 0x7f, v73
	s_xor_b32 s38, exec_lo, s38
	s_cbranch_execnz .LBB6_5216
; %bb.4516:                             ;   in Loop: Header=BB6_4010 Depth=4
	s_or_saveexec_b32 s38, s38
	v_mov_b32_e32 v63, s37
	s_xor_b32 exec_lo, exec_lo, s38
	s_cbranch_execnz .LBB6_5219
.LBB6_4517:                             ;   in Loop: Header=BB6_4010 Depth=4
	s_or_b32 exec_lo, exec_lo, s38
	s_and_saveexec_b32 s37, s13
	s_cbranch_execz .LBB6_4519
.LBB6_4518:                             ;   in Loop: Header=BB6_4010 Depth=4
	v_and_b32_e32 v63, 7, v60
	v_lshrrev_b16 v75, 3, v60
	s_delay_alu instid0(VALU_DEP_2) | instskip(NEXT) | instid1(VALU_DEP_2)
	v_clz_i32_u32_e32 v73, v63
	v_and_b32_e32 v75, 15, v75
	s_delay_alu instid0(VALU_DEP_2) | instskip(NEXT) | instid1(VALU_DEP_2)
	v_min_u32_e32 v73, 32, v73
	v_cmp_eq_u32_e32 vcc_lo, 0, v75
	s_delay_alu instid0(VALU_DEP_2) | instskip(SKIP_1) | instid1(VALU_DEP_1)
	v_subrev_nc_u32_e32 v74, 28, v73
	v_sub_nc_u32_e32 v73, 29, v73
	v_dual_cndmask_b32 v73, v75, v73 :: v_dual_lshlrev_b32 v74, v74, v60
	s_delay_alu instid0(VALU_DEP_1) | instskip(SKIP_1) | instid1(VALU_DEP_3)
	v_and_b32_e32 v74, 7, v74
	v_lshlrev_b32_e32 v60, 24, v60
	v_lshl_add_u32 v73, v73, 23, 0x3b800000
	s_delay_alu instid0(VALU_DEP_2) | instskip(NEXT) | instid1(VALU_DEP_1)
	v_dual_cndmask_b32 v63, v63, v74 :: v_dual_and_b32 v60, 0x80000000, v60
	v_lshlrev_b32_e32 v63, 20, v63
	s_delay_alu instid0(VALU_DEP_1)
	v_or3_b32 v63, v60, v73, v63
.LBB6_4519:                             ;   in Loop: Header=BB6_4010 Depth=4
	s_or_b32 exec_lo, exec_lo, s37
	s_waitcnt vmcnt(14) lgkmcnt(14)
	v_and_b32_e32 v73, 0xff, v59
	s_mov_b32 s13, 0
	s_mov_b32 s38, exec_lo
                                        ; implicit-def: $sgpr37
	s_delay_alu instid0(VALU_DEP_1)
	v_cmpx_lt_i16_e32 0x7f, v73
	s_xor_b32 s38, exec_lo, s38
	s_cbranch_execnz .LBB6_5220
; %bb.4520:                             ;   in Loop: Header=BB6_4010 Depth=4
	s_or_saveexec_b32 s38, s38
	v_mov_b32_e32 v60, s37
	s_xor_b32 exec_lo, exec_lo, s38
	s_cbranch_execnz .LBB6_5223
.LBB6_4521:                             ;   in Loop: Header=BB6_4010 Depth=4
	s_or_b32 exec_lo, exec_lo, s38
	s_and_saveexec_b32 s37, s13
	s_cbranch_execz .LBB6_4523
.LBB6_4522:                             ;   in Loop: Header=BB6_4010 Depth=4
	v_lshrrev_b16 v75, 3, v59
	s_delay_alu instid0(VALU_DEP_1) | instskip(NEXT) | instid1(VALU_DEP_1)
	v_and_b32_e32 v75, 15, v75
	v_cmp_eq_u32_e32 vcc_lo, 0, v75
	v_and_b32_e32 v60, 7, v59
	s_delay_alu instid0(VALU_DEP_1) | instskip(NEXT) | instid1(VALU_DEP_1)
	v_clz_i32_u32_e32 v73, v60
	v_min_u32_e32 v73, 32, v73
	s_delay_alu instid0(VALU_DEP_1) | instskip(SKIP_1) | instid1(VALU_DEP_1)
	v_subrev_nc_u32_e32 v74, 28, v73
	v_sub_nc_u32_e32 v73, 29, v73
	v_dual_cndmask_b32 v73, v75, v73 :: v_dual_lshlrev_b32 v74, v74, v59
	v_lshlrev_b32_e32 v59, 24, v59
	s_delay_alu instid0(VALU_DEP_2) | instskip(NEXT) | instid1(VALU_DEP_3)
	v_and_b32_e32 v74, 7, v74
	v_lshl_add_u32 v73, v73, 23, 0x3b800000
	s_delay_alu instid0(VALU_DEP_2) | instskip(NEXT) | instid1(VALU_DEP_1)
	v_dual_cndmask_b32 v60, v60, v74 :: v_dual_and_b32 v59, 0x80000000, v59
	v_lshlrev_b32_e32 v60, 20, v60
	s_delay_alu instid0(VALU_DEP_1)
	v_or3_b32 v60, v59, v73, v60
.LBB6_4523:                             ;   in Loop: Header=BB6_4010 Depth=4
	s_or_b32 exec_lo, exec_lo, s37
	s_delay_alu instid0(VALU_DEP_1) | instskip(NEXT) | instid1(VALU_DEP_1)
	v_dual_max_f32 v59, v60, v60 :: v_dual_max_f32 v60, v63, v63
	v_min_f32_e32 v63, v60, v59
.LBB6_4524:                             ;   in Loop: Header=BB6_4010 Depth=4
	s_waitcnt vmcnt(14) lgkmcnt(14)
	s_delay_alu instid0(VALU_DEP_1) | instskip(NEXT) | instid1(VALU_DEP_1)
	v_and_b32_e32 v59, 0x7f800000, v63
	v_cmp_ne_u32_e32 vcc_lo, 0x7f800000, v59
	v_mov_b32_e32 v59, 0x80
	s_and_saveexec_b32 s37, vcc_lo
	s_cbranch_execz .LBB6_4532
; %bb.4525:                             ;   in Loop: Header=BB6_4010 Depth=4
	v_mov_b32_e32 v59, 0
	s_mov_b32 s38, exec_lo
	v_cmpx_ne_u32_e32 0, v63
	s_cbranch_execz .LBB6_4531
; %bb.4526:                             ;   in Loop: Header=BB6_4010 Depth=4
	v_bfe_u32 v59, v63, 23, 8
	s_delay_alu instid0(VALU_DEP_1) | instskip(SKIP_1) | instid1(VALU_DEP_2)
	v_sub_nc_u32_e32 v73, 0x78, v59
	v_cmp_gt_u32_e32 vcc_lo, 0x79, v59
	v_dual_cndmask_b32 v73, 0, v73 :: v_dual_and_b32 v60, 0x7fffff, v63
	s_delay_alu instid0(VALU_DEP_1) | instskip(SKIP_2) | instid1(VALU_DEP_4)
	v_or_b32_e32 v74, 0x800000, v60
	v_cmp_eq_u32_e32 vcc_lo, 0, v59
	v_add_nc_u32_e32 v59, 0xffffff89, v59
	v_cndmask_b32_e64 v73, v73, 0x77, vcc_lo
	s_delay_alu instid0(VALU_DEP_4) | instskip(NEXT) | instid1(VALU_DEP_3)
	v_cndmask_b32_e32 v60, v74, v60, vcc_lo
	v_cndmask_b32_e64 v59, v59, 0xffffff8a, vcc_lo
	s_delay_alu instid0(VALU_DEP_3) | instskip(NEXT) | instid1(VALU_DEP_3)
	v_lshl_add_u32 v74, 0x100000, v73, -1
	v_lshrrev_b32_e32 v75, v73, v60
	v_lshlrev_b32_e64 v77, v73, 0x80000
	s_delay_alu instid0(VALU_DEP_4) | instskip(NEXT) | instid1(VALU_DEP_4)
	v_add_nc_u32_e32 v73, v73, v59
	v_and_b32_e32 v60, v74, v60
	s_delay_alu instid0(VALU_DEP_4) | instskip(NEXT) | instid1(VALU_DEP_2)
	v_bfe_u32 v76, v75, 20, 1
	v_cmp_eq_u32_e64 s13, v60, v77
	s_delay_alu instid0(VALU_DEP_2) | instskip(NEXT) | instid1(VALU_DEP_1)
	v_add_nc_u32_e32 v74, -1, v76
	v_cndmask_b32_e64 v60, 0, v74, s13
	v_lshrrev_b32_e32 v74, 23, v75
	s_mov_b32 s13, exec_lo
	s_delay_alu instid0(VALU_DEP_2) | instskip(NEXT) | instid1(VALU_DEP_2)
	v_add_nc_u32_e32 v60, v60, v75
	v_xor_b32_e32 v74, 1, v74
	s_delay_alu instid0(VALU_DEP_2) | instskip(NEXT) | instid1(VALU_DEP_1)
	v_and_b32_e32 v59, 0xfffff, v60
	v_add_nc_u32_e32 v60, v59, v75
                                        ; implicit-def: $vgpr59
	s_delay_alu instid0(VALU_DEP_3)
	v_cmpx_ne_u32_e64 v73, v74
	s_xor_b32 s13, exec_lo, s13
; %bb.4527:                             ;   in Loop: Header=BB6_4010 Depth=4
	s_delay_alu instid0(VALU_DEP_2) | instskip(SKIP_2) | instid1(VALU_DEP_2)
	v_cmp_lt_u32_e32 vcc_lo, 0xffffff, v60
	v_sub_nc_u32_e32 v59, v73, v74
	v_cndmask_b32_e64 v73, 0, 1, vcc_lo
	v_add_co_ci_u32_e32 v59, vcc_lo, 0, v59, vcc_lo
	s_delay_alu instid0(VALU_DEP_2)
	v_lshrrev_b32_e32 v60, v73, v60
; %bb.4528:                             ;   in Loop: Header=BB6_4010 Depth=4
	s_and_not1_saveexec_b32 s13, s13
; %bb.4529:                             ;   in Loop: Header=BB6_4010 Depth=4
	s_delay_alu instid0(VALU_DEP_1)
	v_bfe_u32 v59, v60, 23, 1
; %bb.4530:                             ;   in Loop: Header=BB6_4010 Depth=4
	s_or_b32 exec_lo, exec_lo, s13
	v_lshrrev_b32_e32 v60, 20, v60
	s_delay_alu instid0(VALU_DEP_2) | instskip(SKIP_2) | instid1(VALU_DEP_2)
	v_cmp_gt_i32_e32 vcc_lo, 16, v59
	v_lshrrev_b32_e32 v63, 24, v63
	v_min_i32_e32 v73, 15, v59
	v_dual_cndmask_b32 v60, 7, v60 :: v_dual_and_b32 v63, 0x80, v63
	s_delay_alu instid0(VALU_DEP_2) | instskip(NEXT) | instid1(VALU_DEP_2)
	v_lshlrev_b32_e32 v73, 3, v73
	v_and_b32_e32 v74, 7, v60
	v_or_b32_e32 v59, v59, v60
	s_delay_alu instid0(VALU_DEP_2) | instskip(NEXT) | instid1(VALU_DEP_2)
	v_or3_b32 v60, v73, v63, v74
	v_cmp_ne_u32_e32 vcc_lo, 0, v59
	s_delay_alu instid0(VALU_DEP_2)
	v_cndmask_b32_e32 v59, 0, v60, vcc_lo
.LBB6_4531:                             ;   in Loop: Header=BB6_4010 Depth=4
	s_or_b32 exec_lo, exec_lo, s38
.LBB6_4532:                             ;   in Loop: Header=BB6_4010 Depth=4
	s_delay_alu instid0(SALU_CYCLE_1) | instskip(NEXT) | instid1(SALU_CYCLE_1)
	s_or_b32 exec_lo, exec_lo, s37
	s_and_not1_b32 vcc_lo, exec_lo, s35
	s_cbranch_vccnz .LBB6_4542
; %bb.4533:                             ;   in Loop: Header=BB6_4010 Depth=4
	v_and_b32_e32 v63, 0xff, v57
	s_mov_b32 s13, 0
	s_mov_b32 s38, exec_lo
                                        ; implicit-def: $sgpr37
	s_delay_alu instid0(VALU_DEP_1)
	v_cmpx_lt_i16_e32 0x7f, v63
	s_xor_b32 s38, exec_lo, s38
	s_cbranch_execnz .LBB6_5224
; %bb.4534:                             ;   in Loop: Header=BB6_4010 Depth=4
	s_or_saveexec_b32 s38, s38
	v_mov_b32_e32 v60, s37
	s_xor_b32 exec_lo, exec_lo, s38
	s_cbranch_execnz .LBB6_5227
.LBB6_4535:                             ;   in Loop: Header=BB6_4010 Depth=4
	s_or_b32 exec_lo, exec_lo, s38
	s_and_saveexec_b32 s37, s13
	s_cbranch_execz .LBB6_4537
.LBB6_4536:                             ;   in Loop: Header=BB6_4010 Depth=4
	v_lshrrev_b16 v74, 3, v57
	v_lshlrev_b32_e32 v75, 24, v57
	s_delay_alu instid0(VALU_DEP_2) | instskip(NEXT) | instid1(VALU_DEP_1)
	v_and_b32_e32 v74, 15, v74
	v_cmp_eq_u32_e32 vcc_lo, 0, v74
	v_and_b32_e32 v60, 7, v57
	s_delay_alu instid0(VALU_DEP_1) | instskip(NEXT) | instid1(VALU_DEP_1)
	v_clz_i32_u32_e32 v63, v60
	v_min_u32_e32 v63, 32, v63
	s_delay_alu instid0(VALU_DEP_1) | instskip(SKIP_1) | instid1(VALU_DEP_2)
	v_subrev_nc_u32_e32 v73, 28, v63
	v_sub_nc_u32_e32 v63, 29, v63
	v_lshlrev_b32_e32 v73, v73, v57
	s_delay_alu instid0(VALU_DEP_2) | instskip(NEXT) | instid1(VALU_DEP_2)
	v_cndmask_b32_e32 v63, v74, v63, vcc_lo
	v_and_b32_e32 v73, 7, v73
	s_delay_alu instid0(VALU_DEP_2) | instskip(NEXT) | instid1(VALU_DEP_2)
	v_lshl_add_u32 v63, v63, 23, 0x3b800000
	v_dual_cndmask_b32 v60, v60, v73 :: v_dual_and_b32 v73, 0x80000000, v75
	s_delay_alu instid0(VALU_DEP_1) | instskip(NEXT) | instid1(VALU_DEP_1)
	v_lshlrev_b32_e32 v60, 20, v60
	v_or3_b32 v60, v73, v63, v60
.LBB6_4537:                             ;   in Loop: Header=BB6_4010 Depth=4
	s_or_b32 exec_lo, exec_lo, s37
	s_waitcnt vmcnt(13) lgkmcnt(13)
	v_and_b32_e32 v73, 0xff, v56
	s_mov_b32 s13, 0
	s_mov_b32 s38, exec_lo
                                        ; implicit-def: $sgpr37
	s_delay_alu instid0(VALU_DEP_1)
	v_cmpx_lt_i16_e32 0x7f, v73
	s_xor_b32 s38, exec_lo, s38
	s_cbranch_execnz .LBB6_5228
; %bb.4538:                             ;   in Loop: Header=BB6_4010 Depth=4
	s_or_saveexec_b32 s38, s38
	v_mov_b32_e32 v63, s37
	s_xor_b32 exec_lo, exec_lo, s38
	s_cbranch_execnz .LBB6_5231
.LBB6_4539:                             ;   in Loop: Header=BB6_4010 Depth=4
	s_or_b32 exec_lo, exec_lo, s38
	s_and_saveexec_b32 s37, s13
	s_cbranch_execz .LBB6_4541
.LBB6_4540:                             ;   in Loop: Header=BB6_4010 Depth=4
	v_and_b32_e32 v63, 7, v56
	v_lshrrev_b16 v75, 3, v56
	s_delay_alu instid0(VALU_DEP_2) | instskip(NEXT) | instid1(VALU_DEP_2)
	v_clz_i32_u32_e32 v73, v63
	v_and_b32_e32 v75, 15, v75
	s_delay_alu instid0(VALU_DEP_2) | instskip(NEXT) | instid1(VALU_DEP_2)
	v_min_u32_e32 v73, 32, v73
	v_cmp_eq_u32_e32 vcc_lo, 0, v75
	s_delay_alu instid0(VALU_DEP_2) | instskip(SKIP_1) | instid1(VALU_DEP_1)
	v_subrev_nc_u32_e32 v74, 28, v73
	v_sub_nc_u32_e32 v73, 29, v73
	v_dual_cndmask_b32 v73, v75, v73 :: v_dual_lshlrev_b32 v74, v74, v56
	s_delay_alu instid0(VALU_DEP_1) | instskip(SKIP_1) | instid1(VALU_DEP_3)
	v_and_b32_e32 v74, 7, v74
	v_lshlrev_b32_e32 v76, 24, v56
	v_lshl_add_u32 v73, v73, 23, 0x3b800000
	s_delay_alu instid0(VALU_DEP_2) | instskip(NEXT) | instid1(VALU_DEP_1)
	v_dual_cndmask_b32 v63, v63, v74 :: v_dual_and_b32 v74, 0x80000000, v76
	v_lshlrev_b32_e32 v63, 20, v63
	s_delay_alu instid0(VALU_DEP_1)
	v_or3_b32 v63, v74, v73, v63
.LBB6_4541:                             ;   in Loop: Header=BB6_4010 Depth=4
	s_or_b32 exec_lo, exec_lo, s37
	s_delay_alu instid0(VALU_DEP_1) | instskip(SKIP_1) | instid1(VALU_DEP_1)
	v_dual_max_f32 v63, v63, v63 :: v_dual_max_f32 v60, v60, v60
	s_mov_b32 s13, 0
	v_max_f32_e32 v60, v60, v63
	s_branch .LBB6_4543
.LBB6_4542:                             ;   in Loop: Header=BB6_4010 Depth=4
	s_mov_b32 s13, -1
                                        ; implicit-def: $vgpr60
.LBB6_4543:                             ;   in Loop: Header=BB6_4010 Depth=4
	s_delay_alu instid0(SALU_CYCLE_1)
	s_and_b32 vcc_lo, exec_lo, s13
	s_cbranch_vccz .LBB6_4553
; %bb.4544:                             ;   in Loop: Header=BB6_4010 Depth=4
	v_and_b32_e32 v63, 0xff, v57
	s_mov_b32 s13, 0
	s_mov_b32 s38, exec_lo
                                        ; implicit-def: $sgpr37
	s_delay_alu instid0(VALU_DEP_1)
	v_cmpx_lt_i16_e32 0x7f, v63
	s_xor_b32 s38, exec_lo, s38
	s_cbranch_execnz .LBB6_5232
; %bb.4545:                             ;   in Loop: Header=BB6_4010 Depth=4
	s_or_saveexec_b32 s38, s38
	v_mov_b32_e32 v60, s37
	s_xor_b32 exec_lo, exec_lo, s38
	s_cbranch_execnz .LBB6_5235
.LBB6_4546:                             ;   in Loop: Header=BB6_4010 Depth=4
	s_or_b32 exec_lo, exec_lo, s38
	s_and_saveexec_b32 s37, s13
	s_cbranch_execz .LBB6_4548
.LBB6_4547:                             ;   in Loop: Header=BB6_4010 Depth=4
	v_lshrrev_b16 v74, 3, v57
	s_delay_alu instid0(VALU_DEP_1) | instskip(NEXT) | instid1(VALU_DEP_1)
	v_and_b32_e32 v74, 15, v74
	v_cmp_eq_u32_e32 vcc_lo, 0, v74
	v_and_b32_e32 v60, 7, v57
	s_delay_alu instid0(VALU_DEP_1) | instskip(NEXT) | instid1(VALU_DEP_1)
	v_clz_i32_u32_e32 v63, v60
	v_min_u32_e32 v63, 32, v63
	s_delay_alu instid0(VALU_DEP_1) | instskip(SKIP_1) | instid1(VALU_DEP_2)
	v_subrev_nc_u32_e32 v73, 28, v63
	v_sub_nc_u32_e32 v63, 29, v63
	v_lshlrev_b32_e32 v73, v73, v57
	s_delay_alu instid0(VALU_DEP_2) | instskip(SKIP_1) | instid1(VALU_DEP_3)
	v_cndmask_b32_e32 v63, v74, v63, vcc_lo
	v_lshlrev_b32_e32 v57, 24, v57
	v_and_b32_e32 v73, 7, v73
	s_delay_alu instid0(VALU_DEP_3) | instskip(NEXT) | instid1(VALU_DEP_3)
	v_lshl_add_u32 v63, v63, 23, 0x3b800000
	v_and_b32_e32 v57, 0x80000000, v57
	s_delay_alu instid0(VALU_DEP_3) | instskip(NEXT) | instid1(VALU_DEP_1)
	v_cndmask_b32_e32 v60, v60, v73, vcc_lo
	v_lshlrev_b32_e32 v60, 20, v60
	s_delay_alu instid0(VALU_DEP_1)
	v_or3_b32 v60, v57, v63, v60
.LBB6_4548:                             ;   in Loop: Header=BB6_4010 Depth=4
	s_or_b32 exec_lo, exec_lo, s37
	s_waitcnt vmcnt(13) lgkmcnt(13)
	v_and_b32_e32 v63, 0xff, v56
	s_mov_b32 s13, 0
	s_mov_b32 s38, exec_lo
                                        ; implicit-def: $sgpr37
	s_delay_alu instid0(VALU_DEP_1)
	v_cmpx_lt_i16_e32 0x7f, v63
	s_xor_b32 s38, exec_lo, s38
	s_cbranch_execnz .LBB6_5236
; %bb.4549:                             ;   in Loop: Header=BB6_4010 Depth=4
	s_or_saveexec_b32 s38, s38
	v_mov_b32_e32 v57, s37
	s_xor_b32 exec_lo, exec_lo, s38
	s_cbranch_execnz .LBB6_5239
.LBB6_4550:                             ;   in Loop: Header=BB6_4010 Depth=4
	s_or_b32 exec_lo, exec_lo, s38
	s_and_saveexec_b32 s37, s13
	s_cbranch_execz .LBB6_4552
.LBB6_4551:                             ;   in Loop: Header=BB6_4010 Depth=4
	v_and_b32_e32 v57, 7, v56
	v_lshrrev_b16 v74, 3, v56
	s_delay_alu instid0(VALU_DEP_2) | instskip(NEXT) | instid1(VALU_DEP_1)
	v_clz_i32_u32_e32 v63, v57
	v_min_u32_e32 v63, 32, v63
	s_delay_alu instid0(VALU_DEP_1) | instskip(SKIP_1) | instid1(VALU_DEP_2)
	v_subrev_nc_u32_e32 v73, 28, v63
	v_sub_nc_u32_e32 v63, 29, v63
	v_lshlrev_b32_e32 v73, v73, v56
	s_delay_alu instid0(VALU_DEP_1) | instskip(SKIP_1) | instid1(VALU_DEP_1)
	v_and_b32_e32 v73, 7, v73
	v_and_b32_e32 v74, 15, v74
	v_cmp_eq_u32_e32 vcc_lo, 0, v74
	s_delay_alu instid0(VALU_DEP_3) | instskip(SKIP_1) | instid1(VALU_DEP_2)
	v_dual_cndmask_b32 v57, v57, v73 :: v_dual_lshlrev_b32 v56, 24, v56
	v_cndmask_b32_e32 v63, v74, v63, vcc_lo
	v_lshlrev_b32_e32 v57, 20, v57
	s_delay_alu instid0(VALU_DEP_3) | instskip(NEXT) | instid1(VALU_DEP_3)
	v_and_b32_e32 v56, 0x80000000, v56
	v_lshl_add_u32 v63, v63, 23, 0x3b800000
	s_delay_alu instid0(VALU_DEP_1)
	v_or3_b32 v57, v56, v63, v57
.LBB6_4552:                             ;   in Loop: Header=BB6_4010 Depth=4
	s_or_b32 exec_lo, exec_lo, s37
	s_delay_alu instid0(VALU_DEP_1) | instskip(NEXT) | instid1(VALU_DEP_1)
	v_dual_max_f32 v56, v57, v57 :: v_dual_max_f32 v57, v60, v60
	v_min_f32_e32 v60, v57, v56
.LBB6_4553:                             ;   in Loop: Header=BB6_4010 Depth=4
	s_waitcnt vmcnt(13) lgkmcnt(13)
	s_delay_alu instid0(VALU_DEP_1) | instskip(NEXT) | instid1(VALU_DEP_1)
	v_and_b32_e32 v56, 0x7f800000, v60
	v_cmp_ne_u32_e32 vcc_lo, 0x7f800000, v56
	v_mov_b32_e32 v56, 0x80
	s_and_saveexec_b32 s37, vcc_lo
	s_cbranch_execz .LBB6_4561
; %bb.4554:                             ;   in Loop: Header=BB6_4010 Depth=4
	v_mov_b32_e32 v56, 0
	s_mov_b32 s38, exec_lo
	v_cmpx_ne_u32_e32 0, v60
	s_cbranch_execz .LBB6_4560
; %bb.4555:                             ;   in Loop: Header=BB6_4010 Depth=4
	v_bfe_u32 v56, v60, 23, 8
	v_and_b32_e32 v57, 0x7fffff, v60
	s_delay_alu instid0(VALU_DEP_2) | instskip(SKIP_1) | instid1(VALU_DEP_3)
	v_sub_nc_u32_e32 v63, 0x78, v56
	v_cmp_gt_u32_e32 vcc_lo, 0x79, v56
	v_or_b32_e32 v73, 0x800000, v57
	s_delay_alu instid0(VALU_DEP_3) | instskip(SKIP_2) | instid1(VALU_DEP_3)
	v_cndmask_b32_e32 v63, 0, v63, vcc_lo
	v_cmp_eq_u32_e32 vcc_lo, 0, v56
	v_add_nc_u32_e32 v56, 0xffffff89, v56
	v_cndmask_b32_e64 v63, v63, 0x77, vcc_lo
	v_cndmask_b32_e32 v57, v73, v57, vcc_lo
	s_delay_alu instid0(VALU_DEP_3) | instskip(NEXT) | instid1(VALU_DEP_3)
	v_cndmask_b32_e64 v56, v56, 0xffffff8a, vcc_lo
	v_lshl_add_u32 v73, 0x100000, v63, -1
	s_delay_alu instid0(VALU_DEP_3) | instskip(SKIP_1) | instid1(VALU_DEP_4)
	v_lshrrev_b32_e32 v74, v63, v57
	v_lshlrev_b32_e64 v76, v63, 0x80000
	v_add_nc_u32_e32 v63, v63, v56
	s_delay_alu instid0(VALU_DEP_4) | instskip(NEXT) | instid1(VALU_DEP_4)
	v_and_b32_e32 v57, v73, v57
	v_bfe_u32 v75, v74, 20, 1
	s_delay_alu instid0(VALU_DEP_2) | instskip(NEXT) | instid1(VALU_DEP_2)
	v_cmp_eq_u32_e64 s13, v57, v76
	v_add_nc_u32_e32 v73, -1, v75
	s_delay_alu instid0(VALU_DEP_1) | instskip(SKIP_2) | instid1(VALU_DEP_2)
	v_cndmask_b32_e64 v57, 0, v73, s13
	v_lshrrev_b32_e32 v73, 23, v74
	s_mov_b32 s13, exec_lo
	v_add_nc_u32_e32 v57, v57, v74
	s_delay_alu instid0(VALU_DEP_2) | instskip(NEXT) | instid1(VALU_DEP_2)
	v_xor_b32_e32 v73, 1, v73
	v_and_b32_e32 v56, 0xfffff, v57
	s_delay_alu instid0(VALU_DEP_1) | instskip(NEXT) | instid1(VALU_DEP_3)
	v_add_nc_u32_e32 v57, v56, v74
                                        ; implicit-def: $vgpr56
	v_cmpx_ne_u32_e64 v63, v73
	s_xor_b32 s13, exec_lo, s13
; %bb.4556:                             ;   in Loop: Header=BB6_4010 Depth=4
	s_delay_alu instid0(VALU_DEP_2) | instskip(SKIP_2) | instid1(VALU_DEP_2)
	v_cmp_lt_u32_e32 vcc_lo, 0xffffff, v57
	v_sub_nc_u32_e32 v56, v63, v73
	v_cndmask_b32_e64 v63, 0, 1, vcc_lo
	v_add_co_ci_u32_e32 v56, vcc_lo, 0, v56, vcc_lo
	s_delay_alu instid0(VALU_DEP_2)
	v_lshrrev_b32_e32 v57, v63, v57
; %bb.4557:                             ;   in Loop: Header=BB6_4010 Depth=4
	s_and_not1_saveexec_b32 s13, s13
; %bb.4558:                             ;   in Loop: Header=BB6_4010 Depth=4
	s_delay_alu instid0(VALU_DEP_1)
	v_bfe_u32 v56, v57, 23, 1
; %bb.4559:                             ;   in Loop: Header=BB6_4010 Depth=4
	s_or_b32 exec_lo, exec_lo, s13
	v_lshrrev_b32_e32 v57, 20, v57
	s_delay_alu instid0(VALU_DEP_2) | instskip(SKIP_2) | instid1(VALU_DEP_2)
	v_cmp_gt_i32_e32 vcc_lo, 16, v56
	v_lshrrev_b32_e32 v60, 24, v60
	v_min_i32_e32 v63, 15, v56
	v_dual_cndmask_b32 v57, 7, v57 :: v_dual_and_b32 v60, 0x80, v60
	s_delay_alu instid0(VALU_DEP_1) | instskip(SKIP_1) | instid1(VALU_DEP_2)
	v_or_b32_e32 v56, v56, v57
	v_and_b32_e32 v73, 7, v57
	v_cmp_ne_u32_e32 vcc_lo, 0, v56
	v_lshlrev_b32_e32 v63, 3, v63
	s_delay_alu instid0(VALU_DEP_1) | instskip(NEXT) | instid1(VALU_DEP_1)
	v_or3_b32 v57, v63, v60, v73
	v_cndmask_b32_e32 v56, 0, v57, vcc_lo
.LBB6_4560:                             ;   in Loop: Header=BB6_4010 Depth=4
	s_or_b32 exec_lo, exec_lo, s38
.LBB6_4561:                             ;   in Loop: Header=BB6_4010 Depth=4
	s_delay_alu instid0(SALU_CYCLE_1) | instskip(NEXT) | instid1(SALU_CYCLE_1)
	s_or_b32 exec_lo, exec_lo, s37
	s_and_not1_b32 vcc_lo, exec_lo, s35
	s_cbranch_vccnz .LBB6_4571
; %bb.4562:                             ;   in Loop: Header=BB6_4010 Depth=4
	v_and_b32_e32 v60, 0xff, v46
	s_mov_b32 s13, 0
	s_mov_b32 s38, exec_lo
                                        ; implicit-def: $sgpr37
	s_delay_alu instid0(VALU_DEP_1)
	v_cmpx_lt_i16_e32 0x7f, v60
	s_xor_b32 s38, exec_lo, s38
	s_cbranch_execnz .LBB6_5240
; %bb.4563:                             ;   in Loop: Header=BB6_4010 Depth=4
	s_or_saveexec_b32 s38, s38
	v_mov_b32_e32 v57, s37
	s_xor_b32 exec_lo, exec_lo, s38
	s_cbranch_execnz .LBB6_5243
.LBB6_4564:                             ;   in Loop: Header=BB6_4010 Depth=4
	s_or_b32 exec_lo, exec_lo, s38
	s_and_saveexec_b32 s37, s13
	s_cbranch_execz .LBB6_4566
.LBB6_4565:                             ;   in Loop: Header=BB6_4010 Depth=4
	v_lshrrev_b16 v73, 3, v46
	s_delay_alu instid0(VALU_DEP_1) | instskip(NEXT) | instid1(VALU_DEP_1)
	v_and_b32_e32 v73, 15, v73
	v_cmp_eq_u32_e32 vcc_lo, 0, v73
	v_and_b32_e32 v57, 7, v46
	s_delay_alu instid0(VALU_DEP_1) | instskip(NEXT) | instid1(VALU_DEP_1)
	v_clz_i32_u32_e32 v60, v57
	v_min_u32_e32 v60, 32, v60
	s_delay_alu instid0(VALU_DEP_1) | instskip(SKIP_1) | instid1(VALU_DEP_1)
	v_subrev_nc_u32_e32 v63, 28, v60
	v_sub_nc_u32_e32 v60, 29, v60
	v_dual_cndmask_b32 v60, v73, v60 :: v_dual_lshlrev_b32 v63, v63, v46
	s_delay_alu instid0(VALU_DEP_1) | instskip(SKIP_1) | instid1(VALU_DEP_3)
	v_and_b32_e32 v63, 7, v63
	v_lshlrev_b32_e32 v74, 24, v46
	v_lshl_add_u32 v60, v60, 23, 0x3b800000
	s_delay_alu instid0(VALU_DEP_3) | instskip(NEXT) | instid1(VALU_DEP_3)
	v_cndmask_b32_e32 v57, v57, v63, vcc_lo
	v_and_b32_e32 v63, 0x80000000, v74
	s_delay_alu instid0(VALU_DEP_2) | instskip(NEXT) | instid1(VALU_DEP_1)
	v_lshlrev_b32_e32 v57, 20, v57
	v_or3_b32 v57, v63, v60, v57
.LBB6_4566:                             ;   in Loop: Header=BB6_4010 Depth=4
	s_or_b32 exec_lo, exec_lo, s37
	s_waitcnt vmcnt(12) lgkmcnt(12)
	v_and_b32_e32 v63, 0xff, v45
	s_mov_b32 s13, 0
	s_mov_b32 s38, exec_lo
                                        ; implicit-def: $sgpr37
	s_delay_alu instid0(VALU_DEP_1)
	v_cmpx_lt_i16_e32 0x7f, v63
	s_xor_b32 s38, exec_lo, s38
	s_cbranch_execnz .LBB6_5244
; %bb.4567:                             ;   in Loop: Header=BB6_4010 Depth=4
	s_or_saveexec_b32 s38, s38
	v_mov_b32_e32 v60, s37
	s_xor_b32 exec_lo, exec_lo, s38
	s_cbranch_execnz .LBB6_5247
.LBB6_4568:                             ;   in Loop: Header=BB6_4010 Depth=4
	s_or_b32 exec_lo, exec_lo, s38
	s_and_saveexec_b32 s37, s13
	s_cbranch_execz .LBB6_4570
.LBB6_4569:                             ;   in Loop: Header=BB6_4010 Depth=4
	v_lshrrev_b16 v74, 3, v45
	v_lshlrev_b32_e32 v75, 24, v45
	s_delay_alu instid0(VALU_DEP_2) | instskip(NEXT) | instid1(VALU_DEP_1)
	v_and_b32_e32 v74, 15, v74
	v_cmp_eq_u32_e32 vcc_lo, 0, v74
	v_and_b32_e32 v60, 7, v45
	s_delay_alu instid0(VALU_DEP_1) | instskip(NEXT) | instid1(VALU_DEP_1)
	v_clz_i32_u32_e32 v63, v60
	v_min_u32_e32 v63, 32, v63
	s_delay_alu instid0(VALU_DEP_1) | instskip(SKIP_1) | instid1(VALU_DEP_2)
	v_subrev_nc_u32_e32 v73, 28, v63
	v_sub_nc_u32_e32 v63, 29, v63
	v_lshlrev_b32_e32 v73, v73, v45
	s_delay_alu instid0(VALU_DEP_2) | instskip(NEXT) | instid1(VALU_DEP_2)
	v_cndmask_b32_e32 v63, v74, v63, vcc_lo
	v_and_b32_e32 v73, 7, v73
	s_delay_alu instid0(VALU_DEP_2) | instskip(NEXT) | instid1(VALU_DEP_2)
	v_lshl_add_u32 v63, v63, 23, 0x3b800000
	v_dual_cndmask_b32 v60, v60, v73 :: v_dual_and_b32 v73, 0x80000000, v75
	s_delay_alu instid0(VALU_DEP_1) | instskip(NEXT) | instid1(VALU_DEP_1)
	v_lshlrev_b32_e32 v60, 20, v60
	v_or3_b32 v60, v73, v63, v60
.LBB6_4570:                             ;   in Loop: Header=BB6_4010 Depth=4
	s_or_b32 exec_lo, exec_lo, s37
	s_delay_alu instid0(VALU_DEP_1) | instskip(SKIP_1) | instid1(VALU_DEP_1)
	v_dual_max_f32 v60, v60, v60 :: v_dual_max_f32 v57, v57, v57
	s_mov_b32 s13, 0
	v_max_f32_e32 v57, v57, v60
	s_branch .LBB6_4572
.LBB6_4571:                             ;   in Loop: Header=BB6_4010 Depth=4
	s_mov_b32 s13, -1
                                        ; implicit-def: $vgpr57
.LBB6_4572:                             ;   in Loop: Header=BB6_4010 Depth=4
	s_delay_alu instid0(SALU_CYCLE_1)
	s_and_b32 vcc_lo, exec_lo, s13
	s_cbranch_vccz .LBB6_4582
; %bb.4573:                             ;   in Loop: Header=BB6_4010 Depth=4
	v_and_b32_e32 v60, 0xff, v46
	s_mov_b32 s13, 0
	s_mov_b32 s38, exec_lo
                                        ; implicit-def: $sgpr37
	s_delay_alu instid0(VALU_DEP_1)
	v_cmpx_lt_i16_e32 0x7f, v60
	s_xor_b32 s38, exec_lo, s38
	s_cbranch_execnz .LBB6_5248
; %bb.4574:                             ;   in Loop: Header=BB6_4010 Depth=4
	s_or_saveexec_b32 s38, s38
	v_mov_b32_e32 v57, s37
	s_xor_b32 exec_lo, exec_lo, s38
	s_cbranch_execnz .LBB6_5251
.LBB6_4575:                             ;   in Loop: Header=BB6_4010 Depth=4
	s_or_b32 exec_lo, exec_lo, s38
	s_and_saveexec_b32 s37, s13
	s_cbranch_execz .LBB6_4577
.LBB6_4576:                             ;   in Loop: Header=BB6_4010 Depth=4
	v_lshrrev_b16 v73, 3, v46
	s_delay_alu instid0(VALU_DEP_1) | instskip(NEXT) | instid1(VALU_DEP_1)
	v_and_b32_e32 v73, 15, v73
	v_cmp_eq_u32_e32 vcc_lo, 0, v73
	v_and_b32_e32 v57, 7, v46
	s_delay_alu instid0(VALU_DEP_1) | instskip(NEXT) | instid1(VALU_DEP_1)
	v_clz_i32_u32_e32 v60, v57
	v_min_u32_e32 v60, 32, v60
	s_delay_alu instid0(VALU_DEP_1) | instskip(SKIP_1) | instid1(VALU_DEP_1)
	v_subrev_nc_u32_e32 v63, 28, v60
	v_sub_nc_u32_e32 v60, 29, v60
	v_dual_cndmask_b32 v60, v73, v60 :: v_dual_lshlrev_b32 v63, v63, v46
	s_delay_alu instid0(VALU_DEP_1) | instskip(SKIP_1) | instid1(VALU_DEP_3)
	v_and_b32_e32 v63, 7, v63
	v_lshlrev_b32_e32 v46, 24, v46
	v_lshl_add_u32 v60, v60, 23, 0x3b800000
	s_delay_alu instid0(VALU_DEP_2) | instskip(NEXT) | instid1(VALU_DEP_1)
	v_dual_cndmask_b32 v57, v57, v63 :: v_dual_and_b32 v46, 0x80000000, v46
	v_lshlrev_b32_e32 v57, 20, v57
	s_delay_alu instid0(VALU_DEP_1)
	v_or3_b32 v57, v46, v60, v57
.LBB6_4577:                             ;   in Loop: Header=BB6_4010 Depth=4
	s_or_b32 exec_lo, exec_lo, s37
	s_waitcnt vmcnt(12) lgkmcnt(12)
	v_and_b32_e32 v60, 0xff, v45
	s_mov_b32 s13, 0
	s_mov_b32 s38, exec_lo
                                        ; implicit-def: $sgpr37
	s_delay_alu instid0(VALU_DEP_1)
	v_cmpx_lt_i16_e32 0x7f, v60
	s_xor_b32 s38, exec_lo, s38
	s_cbranch_execnz .LBB6_5252
; %bb.4578:                             ;   in Loop: Header=BB6_4010 Depth=4
	s_or_saveexec_b32 s38, s38
	v_mov_b32_e32 v46, s37
	s_xor_b32 exec_lo, exec_lo, s38
	s_cbranch_execnz .LBB6_5255
.LBB6_4579:                             ;   in Loop: Header=BB6_4010 Depth=4
	s_or_b32 exec_lo, exec_lo, s38
	s_and_saveexec_b32 s37, s13
	s_cbranch_execz .LBB6_4581
.LBB6_4580:                             ;   in Loop: Header=BB6_4010 Depth=4
	v_and_b32_e32 v46, 7, v45
	v_lshrrev_b16 v73, 3, v45
	s_delay_alu instid0(VALU_DEP_2) | instskip(NEXT) | instid1(VALU_DEP_2)
	v_clz_i32_u32_e32 v60, v46
	v_and_b32_e32 v73, 15, v73
	s_delay_alu instid0(VALU_DEP_2) | instskip(NEXT) | instid1(VALU_DEP_2)
	v_min_u32_e32 v60, 32, v60
	v_cmp_eq_u32_e32 vcc_lo, 0, v73
	s_delay_alu instid0(VALU_DEP_2) | instskip(SKIP_1) | instid1(VALU_DEP_1)
	v_subrev_nc_u32_e32 v63, 28, v60
	v_sub_nc_u32_e32 v60, 29, v60
	v_dual_cndmask_b32 v60, v73, v60 :: v_dual_lshlrev_b32 v63, v63, v45
	v_lshlrev_b32_e32 v45, 24, v45
	s_delay_alu instid0(VALU_DEP_2) | instskip(NEXT) | instid1(VALU_DEP_3)
	v_and_b32_e32 v63, 7, v63
	v_lshl_add_u32 v60, v60, 23, 0x3b800000
	s_delay_alu instid0(VALU_DEP_2) | instskip(NEXT) | instid1(VALU_DEP_1)
	v_dual_cndmask_b32 v46, v46, v63 :: v_dual_and_b32 v45, 0x80000000, v45
	v_lshlrev_b32_e32 v46, 20, v46
	s_delay_alu instid0(VALU_DEP_1)
	v_or3_b32 v46, v45, v60, v46
.LBB6_4581:                             ;   in Loop: Header=BB6_4010 Depth=4
	s_or_b32 exec_lo, exec_lo, s37
	s_delay_alu instid0(VALU_DEP_1) | instskip(NEXT) | instid1(VALU_DEP_1)
	v_dual_max_f32 v45, v46, v46 :: v_dual_max_f32 v46, v57, v57
	v_min_f32_e32 v57, v46, v45
.LBB6_4582:                             ;   in Loop: Header=BB6_4010 Depth=4
	s_waitcnt vmcnt(12) lgkmcnt(12)
	s_delay_alu instid0(VALU_DEP_1) | instskip(NEXT) | instid1(VALU_DEP_1)
	v_and_b32_e32 v45, 0x7f800000, v57
	v_cmp_ne_u32_e32 vcc_lo, 0x7f800000, v45
	v_mov_b32_e32 v45, 0x80
	s_and_saveexec_b32 s37, vcc_lo
	s_cbranch_execz .LBB6_4590
; %bb.4583:                             ;   in Loop: Header=BB6_4010 Depth=4
	v_mov_b32_e32 v45, 0
	s_mov_b32 s38, exec_lo
	v_cmpx_ne_u32_e32 0, v57
	s_cbranch_execz .LBB6_4589
; %bb.4584:                             ;   in Loop: Header=BB6_4010 Depth=4
	v_bfe_u32 v45, v57, 23, 8
	v_and_b32_e32 v46, 0x7fffff, v57
	s_delay_alu instid0(VALU_DEP_2) | instskip(SKIP_1) | instid1(VALU_DEP_3)
	v_sub_nc_u32_e32 v60, 0x78, v45
	v_cmp_gt_u32_e32 vcc_lo, 0x79, v45
	v_or_b32_e32 v63, 0x800000, v46
	s_delay_alu instid0(VALU_DEP_3) | instskip(SKIP_2) | instid1(VALU_DEP_3)
	v_cndmask_b32_e32 v60, 0, v60, vcc_lo
	v_cmp_eq_u32_e32 vcc_lo, 0, v45
	v_add_nc_u32_e32 v45, 0xffffff89, v45
	v_cndmask_b32_e64 v60, v60, 0x77, vcc_lo
	v_cndmask_b32_e32 v46, v63, v46, vcc_lo
	s_delay_alu instid0(VALU_DEP_3) | instskip(NEXT) | instid1(VALU_DEP_3)
	v_cndmask_b32_e64 v45, v45, 0xffffff8a, vcc_lo
	v_lshl_add_u32 v63, 0x100000, v60, -1
	s_delay_alu instid0(VALU_DEP_3) | instskip(SKIP_1) | instid1(VALU_DEP_4)
	v_lshrrev_b32_e32 v73, v60, v46
	v_lshlrev_b32_e64 v75, v60, 0x80000
	v_add_nc_u32_e32 v60, v60, v45
	s_delay_alu instid0(VALU_DEP_4) | instskip(NEXT) | instid1(VALU_DEP_4)
	v_and_b32_e32 v46, v63, v46
	v_bfe_u32 v74, v73, 20, 1
	s_delay_alu instid0(VALU_DEP_2) | instskip(NEXT) | instid1(VALU_DEP_2)
	v_cmp_eq_u32_e64 s13, v46, v75
	v_add_nc_u32_e32 v63, -1, v74
	s_delay_alu instid0(VALU_DEP_1) | instskip(SKIP_2) | instid1(VALU_DEP_2)
	v_cndmask_b32_e64 v46, 0, v63, s13
	v_lshrrev_b32_e32 v63, 23, v73
	s_mov_b32 s13, exec_lo
	v_add_nc_u32_e32 v46, v46, v73
	s_delay_alu instid0(VALU_DEP_2) | instskip(NEXT) | instid1(VALU_DEP_2)
	v_xor_b32_e32 v63, 1, v63
	v_and_b32_e32 v45, 0xfffff, v46
	s_delay_alu instid0(VALU_DEP_1) | instskip(NEXT) | instid1(VALU_DEP_3)
	v_add_nc_u32_e32 v46, v45, v73
                                        ; implicit-def: $vgpr45
	v_cmpx_ne_u32_e64 v60, v63
	s_xor_b32 s13, exec_lo, s13
; %bb.4585:                             ;   in Loop: Header=BB6_4010 Depth=4
	s_delay_alu instid0(VALU_DEP_2) | instskip(SKIP_2) | instid1(VALU_DEP_2)
	v_cmp_lt_u32_e32 vcc_lo, 0xffffff, v46
	v_sub_nc_u32_e32 v45, v60, v63
	v_cndmask_b32_e64 v60, 0, 1, vcc_lo
	v_add_co_ci_u32_e32 v45, vcc_lo, 0, v45, vcc_lo
	s_delay_alu instid0(VALU_DEP_2)
	v_lshrrev_b32_e32 v46, v60, v46
; %bb.4586:                             ;   in Loop: Header=BB6_4010 Depth=4
	s_and_not1_saveexec_b32 s13, s13
; %bb.4587:                             ;   in Loop: Header=BB6_4010 Depth=4
	s_delay_alu instid0(VALU_DEP_1)
	v_bfe_u32 v45, v46, 23, 1
; %bb.4588:                             ;   in Loop: Header=BB6_4010 Depth=4
	s_or_b32 exec_lo, exec_lo, s13
	v_lshrrev_b32_e32 v46, 20, v46
	s_delay_alu instid0(VALU_DEP_2) | instskip(SKIP_2) | instid1(VALU_DEP_2)
	v_cmp_gt_i32_e32 vcc_lo, 16, v45
	v_lshrrev_b32_e32 v57, 24, v57
	v_min_i32_e32 v60, 15, v45
	v_dual_cndmask_b32 v46, 7, v46 :: v_dual_and_b32 v57, 0x80, v57
	s_delay_alu instid0(VALU_DEP_1) | instskip(SKIP_1) | instid1(VALU_DEP_2)
	v_or_b32_e32 v45, v45, v46
	v_and_b32_e32 v63, 7, v46
	v_cmp_ne_u32_e32 vcc_lo, 0, v45
	v_lshlrev_b32_e32 v60, 3, v60
	s_delay_alu instid0(VALU_DEP_1) | instskip(NEXT) | instid1(VALU_DEP_1)
	v_or3_b32 v46, v60, v57, v63
	v_cndmask_b32_e32 v45, 0, v46, vcc_lo
.LBB6_4589:                             ;   in Loop: Header=BB6_4010 Depth=4
	s_or_b32 exec_lo, exec_lo, s38
.LBB6_4590:                             ;   in Loop: Header=BB6_4010 Depth=4
	s_delay_alu instid0(SALU_CYCLE_1) | instskip(NEXT) | instid1(SALU_CYCLE_1)
	s_or_b32 exec_lo, exec_lo, s37
	s_and_not1_b32 vcc_lo, exec_lo, s35
	s_cbranch_vccnz .LBB6_4600
; %bb.4591:                             ;   in Loop: Header=BB6_4010 Depth=4
	v_and_b32_e32 v57, 0xff, v43
	s_mov_b32 s13, 0
	s_mov_b32 s38, exec_lo
                                        ; implicit-def: $sgpr37
	s_delay_alu instid0(VALU_DEP_1)
	v_cmpx_lt_i16_e32 0x7f, v57
	s_xor_b32 s38, exec_lo, s38
	s_cbranch_execnz .LBB6_5256
; %bb.4592:                             ;   in Loop: Header=BB6_4010 Depth=4
	s_or_saveexec_b32 s38, s38
	v_mov_b32_e32 v46, s37
	s_xor_b32 exec_lo, exec_lo, s38
	s_cbranch_execnz .LBB6_5259
.LBB6_4593:                             ;   in Loop: Header=BB6_4010 Depth=4
	s_or_b32 exec_lo, exec_lo, s38
	s_and_saveexec_b32 s37, s13
	s_cbranch_execz .LBB6_4595
.LBB6_4594:                             ;   in Loop: Header=BB6_4010 Depth=4
	v_lshrrev_b16 v63, 3, v43
	v_lshlrev_b32_e32 v73, 24, v43
	s_delay_alu instid0(VALU_DEP_2) | instskip(NEXT) | instid1(VALU_DEP_1)
	v_and_b32_e32 v63, 15, v63
	v_cmp_eq_u32_e32 vcc_lo, 0, v63
	v_and_b32_e32 v46, 7, v43
	s_delay_alu instid0(VALU_DEP_1) | instskip(NEXT) | instid1(VALU_DEP_1)
	v_clz_i32_u32_e32 v57, v46
	v_min_u32_e32 v57, 32, v57
	s_delay_alu instid0(VALU_DEP_1) | instskip(SKIP_1) | instid1(VALU_DEP_1)
	v_subrev_nc_u32_e32 v60, 28, v57
	v_sub_nc_u32_e32 v57, 29, v57
	v_dual_cndmask_b32 v57, v63, v57 :: v_dual_lshlrev_b32 v60, v60, v43
	s_delay_alu instid0(VALU_DEP_1) | instskip(NEXT) | instid1(VALU_DEP_2)
	v_and_b32_e32 v60, 7, v60
	v_lshl_add_u32 v57, v57, 23, 0x3b800000
	s_delay_alu instid0(VALU_DEP_2) | instskip(SKIP_1) | instid1(VALU_DEP_2)
	v_cndmask_b32_e32 v46, v46, v60, vcc_lo
	v_and_b32_e32 v60, 0x80000000, v73
	v_lshlrev_b32_e32 v46, 20, v46
	s_delay_alu instid0(VALU_DEP_1)
	v_or3_b32 v46, v60, v57, v46
.LBB6_4595:                             ;   in Loop: Header=BB6_4010 Depth=4
	s_or_b32 exec_lo, exec_lo, s37
	s_waitcnt vmcnt(11) lgkmcnt(11)
	v_and_b32_e32 v60, 0xff, v42
	s_mov_b32 s13, 0
	s_mov_b32 s38, exec_lo
                                        ; implicit-def: $sgpr37
	s_delay_alu instid0(VALU_DEP_1)
	v_cmpx_lt_i16_e32 0x7f, v60
	s_xor_b32 s38, exec_lo, s38
	s_cbranch_execnz .LBB6_5260
; %bb.4596:                             ;   in Loop: Header=BB6_4010 Depth=4
	s_or_saveexec_b32 s38, s38
	v_mov_b32_e32 v57, s37
	s_xor_b32 exec_lo, exec_lo, s38
	s_cbranch_execnz .LBB6_5263
.LBB6_4597:                             ;   in Loop: Header=BB6_4010 Depth=4
	s_or_b32 exec_lo, exec_lo, s38
	s_and_saveexec_b32 s37, s13
	s_cbranch_execz .LBB6_4599
.LBB6_4598:                             ;   in Loop: Header=BB6_4010 Depth=4
	v_lshrrev_b16 v73, 3, v42
	s_delay_alu instid0(VALU_DEP_1) | instskip(NEXT) | instid1(VALU_DEP_1)
	v_and_b32_e32 v73, 15, v73
	v_cmp_eq_u32_e32 vcc_lo, 0, v73
	v_and_b32_e32 v57, 7, v42
	s_delay_alu instid0(VALU_DEP_1) | instskip(NEXT) | instid1(VALU_DEP_1)
	v_clz_i32_u32_e32 v60, v57
	v_min_u32_e32 v60, 32, v60
	s_delay_alu instid0(VALU_DEP_1) | instskip(SKIP_1) | instid1(VALU_DEP_1)
	v_subrev_nc_u32_e32 v63, 28, v60
	v_sub_nc_u32_e32 v60, 29, v60
	v_dual_cndmask_b32 v60, v73, v60 :: v_dual_lshlrev_b32 v63, v63, v42
	s_delay_alu instid0(VALU_DEP_1) | instskip(SKIP_1) | instid1(VALU_DEP_3)
	v_and_b32_e32 v63, 7, v63
	v_lshlrev_b32_e32 v74, 24, v42
	v_lshl_add_u32 v60, v60, 23, 0x3b800000
	s_delay_alu instid0(VALU_DEP_3) | instskip(NEXT) | instid1(VALU_DEP_3)
	v_cndmask_b32_e32 v57, v57, v63, vcc_lo
	v_and_b32_e32 v63, 0x80000000, v74
	s_delay_alu instid0(VALU_DEP_2) | instskip(NEXT) | instid1(VALU_DEP_1)
	v_lshlrev_b32_e32 v57, 20, v57
	v_or3_b32 v57, v63, v60, v57
.LBB6_4599:                             ;   in Loop: Header=BB6_4010 Depth=4
	s_or_b32 exec_lo, exec_lo, s37
	s_delay_alu instid0(VALU_DEP_1) | instskip(SKIP_1) | instid1(VALU_DEP_1)
	v_dual_max_f32 v57, v57, v57 :: v_dual_max_f32 v46, v46, v46
	s_mov_b32 s13, 0
	v_max_f32_e32 v46, v46, v57
	s_branch .LBB6_4601
.LBB6_4600:                             ;   in Loop: Header=BB6_4010 Depth=4
	s_mov_b32 s13, -1
                                        ; implicit-def: $vgpr46
.LBB6_4601:                             ;   in Loop: Header=BB6_4010 Depth=4
	s_delay_alu instid0(SALU_CYCLE_1)
	s_and_b32 vcc_lo, exec_lo, s13
	s_cbranch_vccz .LBB6_4611
; %bb.4602:                             ;   in Loop: Header=BB6_4010 Depth=4
	v_and_b32_e32 v57, 0xff, v43
	s_mov_b32 s13, 0
	s_mov_b32 s38, exec_lo
                                        ; implicit-def: $sgpr37
	s_delay_alu instid0(VALU_DEP_1)
	v_cmpx_lt_i16_e32 0x7f, v57
	s_xor_b32 s38, exec_lo, s38
	s_cbranch_execnz .LBB6_5264
; %bb.4603:                             ;   in Loop: Header=BB6_4010 Depth=4
	s_or_saveexec_b32 s38, s38
	v_mov_b32_e32 v46, s37
	s_xor_b32 exec_lo, exec_lo, s38
	s_cbranch_execnz .LBB6_5267
.LBB6_4604:                             ;   in Loop: Header=BB6_4010 Depth=4
	s_or_b32 exec_lo, exec_lo, s38
	s_and_saveexec_b32 s37, s13
	s_cbranch_execz .LBB6_4606
.LBB6_4605:                             ;   in Loop: Header=BB6_4010 Depth=4
	v_lshrrev_b16 v63, 3, v43
	s_delay_alu instid0(VALU_DEP_1) | instskip(NEXT) | instid1(VALU_DEP_1)
	v_and_b32_e32 v63, 15, v63
	v_cmp_eq_u32_e32 vcc_lo, 0, v63
	v_and_b32_e32 v46, 7, v43
	s_delay_alu instid0(VALU_DEP_1) | instskip(NEXT) | instid1(VALU_DEP_1)
	v_clz_i32_u32_e32 v57, v46
	v_min_u32_e32 v57, 32, v57
	s_delay_alu instid0(VALU_DEP_1) | instskip(SKIP_1) | instid1(VALU_DEP_1)
	v_subrev_nc_u32_e32 v60, 28, v57
	v_sub_nc_u32_e32 v57, 29, v57
	v_dual_cndmask_b32 v57, v63, v57 :: v_dual_lshlrev_b32 v60, v60, v43
	v_lshlrev_b32_e32 v43, 24, v43
	s_delay_alu instid0(VALU_DEP_2) | instskip(NEXT) | instid1(VALU_DEP_3)
	v_and_b32_e32 v60, 7, v60
	v_lshl_add_u32 v57, v57, 23, 0x3b800000
	s_delay_alu instid0(VALU_DEP_2) | instskip(NEXT) | instid1(VALU_DEP_1)
	v_dual_cndmask_b32 v46, v46, v60 :: v_dual_and_b32 v43, 0x80000000, v43
	v_lshlrev_b32_e32 v46, 20, v46
	s_delay_alu instid0(VALU_DEP_1)
	v_or3_b32 v46, v43, v57, v46
.LBB6_4606:                             ;   in Loop: Header=BB6_4010 Depth=4
	s_or_b32 exec_lo, exec_lo, s37
	s_waitcnt vmcnt(11) lgkmcnt(11)
	v_and_b32_e32 v57, 0xff, v42
	s_mov_b32 s13, 0
	s_mov_b32 s38, exec_lo
                                        ; implicit-def: $sgpr37
	s_delay_alu instid0(VALU_DEP_1)
	v_cmpx_lt_i16_e32 0x7f, v57
	s_xor_b32 s38, exec_lo, s38
	s_cbranch_execnz .LBB6_5268
; %bb.4607:                             ;   in Loop: Header=BB6_4010 Depth=4
	s_or_saveexec_b32 s38, s38
	v_mov_b32_e32 v43, s37
	s_xor_b32 exec_lo, exec_lo, s38
	s_cbranch_execnz .LBB6_5271
.LBB6_4608:                             ;   in Loop: Header=BB6_4010 Depth=4
	s_or_b32 exec_lo, exec_lo, s38
	s_and_saveexec_b32 s37, s13
	s_cbranch_execz .LBB6_4610
.LBB6_4609:                             ;   in Loop: Header=BB6_4010 Depth=4
	v_and_b32_e32 v43, 7, v42
	v_lshrrev_b16 v63, 3, v42
	s_delay_alu instid0(VALU_DEP_2) | instskip(NEXT) | instid1(VALU_DEP_2)
	v_clz_i32_u32_e32 v57, v43
	v_and_b32_e32 v63, 15, v63
	s_delay_alu instid0(VALU_DEP_2) | instskip(NEXT) | instid1(VALU_DEP_2)
	v_min_u32_e32 v57, 32, v57
	v_cmp_eq_u32_e32 vcc_lo, 0, v63
	s_delay_alu instid0(VALU_DEP_2) | instskip(SKIP_1) | instid1(VALU_DEP_1)
	v_subrev_nc_u32_e32 v60, 28, v57
	v_sub_nc_u32_e32 v57, 29, v57
	v_dual_cndmask_b32 v57, v63, v57 :: v_dual_lshlrev_b32 v60, v60, v42
	s_delay_alu instid0(VALU_DEP_1) | instskip(SKIP_1) | instid1(VALU_DEP_3)
	v_and_b32_e32 v60, 7, v60
	v_lshlrev_b32_e32 v42, 24, v42
	v_lshl_add_u32 v57, v57, 23, 0x3b800000
	s_delay_alu instid0(VALU_DEP_2) | instskip(NEXT) | instid1(VALU_DEP_1)
	v_dual_cndmask_b32 v43, v43, v60 :: v_dual_and_b32 v42, 0x80000000, v42
	v_lshlrev_b32_e32 v43, 20, v43
	s_delay_alu instid0(VALU_DEP_1)
	v_or3_b32 v43, v42, v57, v43
.LBB6_4610:                             ;   in Loop: Header=BB6_4010 Depth=4
	s_or_b32 exec_lo, exec_lo, s37
	s_delay_alu instid0(VALU_DEP_1) | instskip(NEXT) | instid1(VALU_DEP_1)
	v_dual_max_f32 v42, v43, v43 :: v_dual_max_f32 v43, v46, v46
	v_min_f32_e32 v46, v43, v42
.LBB6_4611:                             ;   in Loop: Header=BB6_4010 Depth=4
	s_waitcnt vmcnt(11) lgkmcnt(11)
	s_delay_alu instid0(VALU_DEP_1) | instskip(NEXT) | instid1(VALU_DEP_1)
	v_and_b32_e32 v42, 0x7f800000, v46
	v_cmp_ne_u32_e32 vcc_lo, 0x7f800000, v42
	v_mov_b32_e32 v42, 0x80
	s_and_saveexec_b32 s37, vcc_lo
	s_cbranch_execz .LBB6_4619
; %bb.4612:                             ;   in Loop: Header=BB6_4010 Depth=4
	v_mov_b32_e32 v42, 0
	s_mov_b32 s38, exec_lo
	v_cmpx_ne_u32_e32 0, v46
	s_cbranch_execz .LBB6_4618
; %bb.4613:                             ;   in Loop: Header=BB6_4010 Depth=4
	v_bfe_u32 v42, v46, 23, 8
	v_and_b32_e32 v43, 0x7fffff, v46
	s_delay_alu instid0(VALU_DEP_2) | instskip(SKIP_1) | instid1(VALU_DEP_3)
	v_sub_nc_u32_e32 v57, 0x78, v42
	v_cmp_gt_u32_e32 vcc_lo, 0x79, v42
	v_or_b32_e32 v60, 0x800000, v43
	s_delay_alu instid0(VALU_DEP_3) | instskip(SKIP_2) | instid1(VALU_DEP_3)
	v_cndmask_b32_e32 v57, 0, v57, vcc_lo
	v_cmp_eq_u32_e32 vcc_lo, 0, v42
	v_add_nc_u32_e32 v42, 0xffffff89, v42
	v_cndmask_b32_e64 v57, v57, 0x77, vcc_lo
	v_cndmask_b32_e32 v43, v60, v43, vcc_lo
	s_delay_alu instid0(VALU_DEP_3) | instskip(NEXT) | instid1(VALU_DEP_3)
	v_cndmask_b32_e64 v42, v42, 0xffffff8a, vcc_lo
	v_lshl_add_u32 v60, 0x100000, v57, -1
	s_delay_alu instid0(VALU_DEP_3) | instskip(SKIP_1) | instid1(VALU_DEP_4)
	v_lshrrev_b32_e32 v63, v57, v43
	v_lshlrev_b32_e64 v74, v57, 0x80000
	v_add_nc_u32_e32 v57, v57, v42
	s_delay_alu instid0(VALU_DEP_4) | instskip(NEXT) | instid1(VALU_DEP_4)
	v_and_b32_e32 v43, v60, v43
	v_bfe_u32 v73, v63, 20, 1
	s_delay_alu instid0(VALU_DEP_2) | instskip(NEXT) | instid1(VALU_DEP_2)
	v_cmp_eq_u32_e64 s13, v43, v74
	v_add_nc_u32_e32 v60, -1, v73
	s_delay_alu instid0(VALU_DEP_1) | instskip(SKIP_2) | instid1(VALU_DEP_2)
	v_cndmask_b32_e64 v43, 0, v60, s13
	v_lshrrev_b32_e32 v60, 23, v63
	s_mov_b32 s13, exec_lo
	v_add_nc_u32_e32 v43, v43, v63
	s_delay_alu instid0(VALU_DEP_2) | instskip(NEXT) | instid1(VALU_DEP_2)
	v_xor_b32_e32 v60, 1, v60
	v_and_b32_e32 v42, 0xfffff, v43
	s_delay_alu instid0(VALU_DEP_1) | instskip(NEXT) | instid1(VALU_DEP_3)
	v_add_nc_u32_e32 v43, v42, v63
                                        ; implicit-def: $vgpr42
	v_cmpx_ne_u32_e64 v57, v60
	s_xor_b32 s13, exec_lo, s13
; %bb.4614:                             ;   in Loop: Header=BB6_4010 Depth=4
	s_delay_alu instid0(VALU_DEP_2) | instskip(SKIP_2) | instid1(VALU_DEP_2)
	v_cmp_lt_u32_e32 vcc_lo, 0xffffff, v43
	v_sub_nc_u32_e32 v42, v57, v60
	v_cndmask_b32_e64 v57, 0, 1, vcc_lo
	v_add_co_ci_u32_e32 v42, vcc_lo, 0, v42, vcc_lo
	s_delay_alu instid0(VALU_DEP_2)
	v_lshrrev_b32_e32 v43, v57, v43
; %bb.4615:                             ;   in Loop: Header=BB6_4010 Depth=4
	s_and_not1_saveexec_b32 s13, s13
; %bb.4616:                             ;   in Loop: Header=BB6_4010 Depth=4
	s_delay_alu instid0(VALU_DEP_1)
	v_bfe_u32 v42, v43, 23, 1
; %bb.4617:                             ;   in Loop: Header=BB6_4010 Depth=4
	s_or_b32 exec_lo, exec_lo, s13
	v_lshrrev_b32_e32 v43, 20, v43
	s_delay_alu instid0(VALU_DEP_2) | instskip(SKIP_2) | instid1(VALU_DEP_2)
	v_cmp_gt_i32_e32 vcc_lo, 16, v42
	v_lshrrev_b32_e32 v46, 24, v46
	v_min_i32_e32 v57, 15, v42
	v_dual_cndmask_b32 v43, 7, v43 :: v_dual_and_b32 v46, 0x80, v46
	s_delay_alu instid0(VALU_DEP_1) | instskip(SKIP_1) | instid1(VALU_DEP_2)
	v_or_b32_e32 v42, v42, v43
	v_and_b32_e32 v60, 7, v43
	v_cmp_ne_u32_e32 vcc_lo, 0, v42
	v_lshlrev_b32_e32 v57, 3, v57
	s_delay_alu instid0(VALU_DEP_1) | instskip(NEXT) | instid1(VALU_DEP_1)
	v_or3_b32 v43, v57, v46, v60
	v_cndmask_b32_e32 v42, 0, v43, vcc_lo
.LBB6_4618:                             ;   in Loop: Header=BB6_4010 Depth=4
	s_or_b32 exec_lo, exec_lo, s38
.LBB6_4619:                             ;   in Loop: Header=BB6_4010 Depth=4
	s_delay_alu instid0(SALU_CYCLE_1) | instskip(NEXT) | instid1(SALU_CYCLE_1)
	s_or_b32 exec_lo, exec_lo, s37
	s_and_not1_b32 vcc_lo, exec_lo, s35
	s_cbranch_vccnz .LBB6_4629
; %bb.4620:                             ;   in Loop: Header=BB6_4010 Depth=4
	v_and_b32_e32 v46, 0xff, v40
	s_mov_b32 s13, 0
	s_mov_b32 s38, exec_lo
                                        ; implicit-def: $sgpr37
	s_delay_alu instid0(VALU_DEP_1)
	v_cmpx_lt_i16_e32 0x7f, v46
	s_xor_b32 s38, exec_lo, s38
	s_cbranch_execnz .LBB6_5272
; %bb.4621:                             ;   in Loop: Header=BB6_4010 Depth=4
	s_or_saveexec_b32 s38, s38
	v_mov_b32_e32 v43, s37
	s_xor_b32 exec_lo, exec_lo, s38
	s_cbranch_execnz .LBB6_5275
.LBB6_4622:                             ;   in Loop: Header=BB6_4010 Depth=4
	s_or_b32 exec_lo, exec_lo, s38
	s_and_saveexec_b32 s37, s13
	s_cbranch_execz .LBB6_4624
.LBB6_4623:                             ;   in Loop: Header=BB6_4010 Depth=4
	v_lshrrev_b16 v60, 3, v40
	v_lshlrev_b32_e32 v63, 24, v40
	s_delay_alu instid0(VALU_DEP_2) | instskip(NEXT) | instid1(VALU_DEP_1)
	v_and_b32_e32 v60, 15, v60
	v_cmp_eq_u32_e32 vcc_lo, 0, v60
	v_and_b32_e32 v43, 7, v40
	s_delay_alu instid0(VALU_DEP_1) | instskip(NEXT) | instid1(VALU_DEP_1)
	v_clz_i32_u32_e32 v46, v43
	v_min_u32_e32 v46, 32, v46
	s_delay_alu instid0(VALU_DEP_1) | instskip(SKIP_1) | instid1(VALU_DEP_1)
	v_subrev_nc_u32_e32 v57, 28, v46
	v_sub_nc_u32_e32 v46, 29, v46
	v_dual_cndmask_b32 v46, v60, v46 :: v_dual_lshlrev_b32 v57, v57, v40
	s_delay_alu instid0(VALU_DEP_1) | instskip(NEXT) | instid1(VALU_DEP_2)
	v_and_b32_e32 v57, 7, v57
	v_lshl_add_u32 v46, v46, 23, 0x3b800000
	s_delay_alu instid0(VALU_DEP_2) | instskip(SKIP_1) | instid1(VALU_DEP_2)
	v_cndmask_b32_e32 v43, v43, v57, vcc_lo
	v_and_b32_e32 v57, 0x80000000, v63
	v_lshlrev_b32_e32 v43, 20, v43
	s_delay_alu instid0(VALU_DEP_1)
	v_or3_b32 v43, v57, v46, v43
.LBB6_4624:                             ;   in Loop: Header=BB6_4010 Depth=4
	s_or_b32 exec_lo, exec_lo, s37
	s_waitcnt vmcnt(10) lgkmcnt(10)
	v_and_b32_e32 v57, 0xff, v183
	s_mov_b32 s13, 0
	s_mov_b32 s38, exec_lo
                                        ; implicit-def: $sgpr37
	s_delay_alu instid0(VALU_DEP_1)
	v_cmpx_lt_i16_e32 0x7f, v57
	s_xor_b32 s38, exec_lo, s38
	s_cbranch_execnz .LBB6_5276
; %bb.4625:                             ;   in Loop: Header=BB6_4010 Depth=4
	s_or_saveexec_b32 s38, s38
	v_mov_b32_e32 v46, s37
	s_xor_b32 exec_lo, exec_lo, s38
	s_cbranch_execnz .LBB6_5279
.LBB6_4626:                             ;   in Loop: Header=BB6_4010 Depth=4
	s_or_b32 exec_lo, exec_lo, s38
	s_and_saveexec_b32 s37, s13
	s_cbranch_execz .LBB6_4628
.LBB6_4627:                             ;   in Loop: Header=BB6_4010 Depth=4
	v_lshrrev_b16 v63, 3, v183
	v_lshlrev_b32_e32 v73, 24, v183
	s_delay_alu instid0(VALU_DEP_2) | instskip(NEXT) | instid1(VALU_DEP_1)
	v_and_b32_e32 v63, 15, v63
	v_cmp_eq_u32_e32 vcc_lo, 0, v63
	v_and_b32_e32 v46, 7, v183
	s_delay_alu instid0(VALU_DEP_1) | instskip(NEXT) | instid1(VALU_DEP_1)
	v_clz_i32_u32_e32 v57, v46
	v_min_u32_e32 v57, 32, v57
	s_delay_alu instid0(VALU_DEP_1) | instskip(SKIP_1) | instid1(VALU_DEP_1)
	v_subrev_nc_u32_e32 v60, 28, v57
	v_sub_nc_u32_e32 v57, 29, v57
	v_dual_cndmask_b32 v57, v63, v57 :: v_dual_lshlrev_b32 v60, v60, v183
	s_delay_alu instid0(VALU_DEP_1) | instskip(NEXT) | instid1(VALU_DEP_2)
	v_and_b32_e32 v60, 7, v60
	v_lshl_add_u32 v57, v57, 23, 0x3b800000
	s_delay_alu instid0(VALU_DEP_2) | instskip(SKIP_1) | instid1(VALU_DEP_2)
	v_cndmask_b32_e32 v46, v46, v60, vcc_lo
	v_and_b32_e32 v60, 0x80000000, v73
	v_lshlrev_b32_e32 v46, 20, v46
	s_delay_alu instid0(VALU_DEP_1)
	v_or3_b32 v46, v60, v57, v46
.LBB6_4628:                             ;   in Loop: Header=BB6_4010 Depth=4
	s_or_b32 exec_lo, exec_lo, s37
	s_delay_alu instid0(VALU_DEP_1) | instskip(SKIP_1) | instid1(VALU_DEP_1)
	v_dual_max_f32 v46, v46, v46 :: v_dual_max_f32 v43, v43, v43
	s_mov_b32 s13, 0
	v_max_f32_e32 v43, v43, v46
	s_branch .LBB6_4630
.LBB6_4629:                             ;   in Loop: Header=BB6_4010 Depth=4
	s_mov_b32 s13, -1
                                        ; implicit-def: $vgpr43
.LBB6_4630:                             ;   in Loop: Header=BB6_4010 Depth=4
	s_delay_alu instid0(SALU_CYCLE_1)
	s_and_b32 vcc_lo, exec_lo, s13
	s_cbranch_vccz .LBB6_4640
; %bb.4631:                             ;   in Loop: Header=BB6_4010 Depth=4
	v_and_b32_e32 v46, 0xff, v40
	s_mov_b32 s13, 0
	s_mov_b32 s38, exec_lo
                                        ; implicit-def: $sgpr37
	s_delay_alu instid0(VALU_DEP_1)
	v_cmpx_lt_i16_e32 0x7f, v46
	s_xor_b32 s38, exec_lo, s38
	s_cbranch_execnz .LBB6_5280
; %bb.4632:                             ;   in Loop: Header=BB6_4010 Depth=4
	s_or_saveexec_b32 s38, s38
	v_mov_b32_e32 v43, s37
	s_xor_b32 exec_lo, exec_lo, s38
	s_cbranch_execnz .LBB6_5283
.LBB6_4633:                             ;   in Loop: Header=BB6_4010 Depth=4
	s_or_b32 exec_lo, exec_lo, s38
	s_and_saveexec_b32 s37, s13
	s_cbranch_execz .LBB6_4635
.LBB6_4634:                             ;   in Loop: Header=BB6_4010 Depth=4
	v_lshrrev_b16 v60, 3, v40
	s_delay_alu instid0(VALU_DEP_1) | instskip(NEXT) | instid1(VALU_DEP_1)
	v_and_b32_e32 v60, 15, v60
	v_cmp_eq_u32_e32 vcc_lo, 0, v60
	v_and_b32_e32 v43, 7, v40
	s_delay_alu instid0(VALU_DEP_1) | instskip(NEXT) | instid1(VALU_DEP_1)
	v_clz_i32_u32_e32 v46, v43
	v_min_u32_e32 v46, 32, v46
	s_delay_alu instid0(VALU_DEP_1) | instskip(SKIP_1) | instid1(VALU_DEP_1)
	v_subrev_nc_u32_e32 v57, 28, v46
	v_sub_nc_u32_e32 v46, 29, v46
	v_dual_cndmask_b32 v46, v60, v46 :: v_dual_lshlrev_b32 v57, v57, v40
	v_lshlrev_b32_e32 v40, 24, v40
	s_delay_alu instid0(VALU_DEP_2) | instskip(NEXT) | instid1(VALU_DEP_3)
	v_and_b32_e32 v57, 7, v57
	v_lshl_add_u32 v46, v46, 23, 0x3b800000
	s_delay_alu instid0(VALU_DEP_2) | instskip(NEXT) | instid1(VALU_DEP_1)
	v_dual_cndmask_b32 v43, v43, v57 :: v_dual_and_b32 v40, 0x80000000, v40
	v_lshlrev_b32_e32 v43, 20, v43
	s_delay_alu instid0(VALU_DEP_1)
	v_or3_b32 v43, v40, v46, v43
.LBB6_4635:                             ;   in Loop: Header=BB6_4010 Depth=4
	s_or_b32 exec_lo, exec_lo, s37
	s_waitcnt vmcnt(10) lgkmcnt(10)
	v_and_b32_e32 v46, 0xff, v183
	s_mov_b32 s13, 0
	s_mov_b32 s38, exec_lo
                                        ; implicit-def: $sgpr37
	s_delay_alu instid0(VALU_DEP_1)
	v_cmpx_lt_i16_e32 0x7f, v46
	s_xor_b32 s38, exec_lo, s38
	s_cbranch_execnz .LBB6_5284
; %bb.4636:                             ;   in Loop: Header=BB6_4010 Depth=4
	s_or_saveexec_b32 s38, s38
	v_mov_b32_e32 v40, s37
	s_xor_b32 exec_lo, exec_lo, s38
	s_cbranch_execnz .LBB6_5287
.LBB6_4637:                             ;   in Loop: Header=BB6_4010 Depth=4
	s_or_b32 exec_lo, exec_lo, s38
	s_and_saveexec_b32 s37, s13
	s_cbranch_execz .LBB6_4639
.LBB6_4638:                             ;   in Loop: Header=BB6_4010 Depth=4
	v_and_b32_e32 v40, 7, v183
	v_lshrrev_b16 v60, 3, v183
	s_delay_alu instid0(VALU_DEP_2) | instskip(NEXT) | instid1(VALU_DEP_2)
	v_clz_i32_u32_e32 v46, v40
	v_and_b32_e32 v60, 15, v60
	s_delay_alu instid0(VALU_DEP_2) | instskip(NEXT) | instid1(VALU_DEP_2)
	v_min_u32_e32 v46, 32, v46
	v_cmp_eq_u32_e32 vcc_lo, 0, v60
	s_delay_alu instid0(VALU_DEP_2) | instskip(SKIP_1) | instid1(VALU_DEP_1)
	v_subrev_nc_u32_e32 v57, 28, v46
	v_sub_nc_u32_e32 v46, 29, v46
	v_dual_cndmask_b32 v46, v60, v46 :: v_dual_lshlrev_b32 v57, v57, v183
	s_delay_alu instid0(VALU_DEP_1) | instskip(SKIP_1) | instid1(VALU_DEP_3)
	v_and_b32_e32 v57, 7, v57
	v_lshlrev_b32_e32 v183, 24, v183
	v_lshl_add_u32 v46, v46, 23, 0x3b800000
	s_delay_alu instid0(VALU_DEP_2) | instskip(NEXT) | instid1(VALU_DEP_1)
	v_dual_cndmask_b32 v40, v40, v57 :: v_dual_and_b32 v183, 0x80000000, v183
	v_lshlrev_b32_e32 v40, 20, v40
	s_delay_alu instid0(VALU_DEP_1)
	v_or3_b32 v40, v183, v46, v40
.LBB6_4639:                             ;   in Loop: Header=BB6_4010 Depth=4
	s_or_b32 exec_lo, exec_lo, s37
	s_delay_alu instid0(VALU_DEP_1) | instskip(NEXT) | instid1(VALU_DEP_1)
	v_dual_max_f32 v183, v40, v40 :: v_dual_max_f32 v40, v43, v43
	v_min_f32_e32 v43, v40, v183
.LBB6_4640:                             ;   in Loop: Header=BB6_4010 Depth=4
	s_waitcnt vmcnt(10) lgkmcnt(10)
	s_delay_alu instid0(VALU_DEP_1) | instskip(NEXT) | instid1(VALU_DEP_1)
	v_and_b32_e32 v183, 0x7f800000, v43
	v_cmp_ne_u32_e32 vcc_lo, 0x7f800000, v183
	v_mov_b32_e32 v183, 0x80
	s_and_saveexec_b32 s37, vcc_lo
	s_cbranch_execz .LBB6_4648
; %bb.4641:                             ;   in Loop: Header=BB6_4010 Depth=4
	v_mov_b32_e32 v183, 0
	s_mov_b32 s38, exec_lo
	v_cmpx_ne_u32_e32 0, v43
	s_cbranch_execz .LBB6_4647
; %bb.4642:                             ;   in Loop: Header=BB6_4010 Depth=4
	v_bfe_u32 v183, v43, 23, 8
	v_and_b32_e32 v40, 0x7fffff, v43
	s_delay_alu instid0(VALU_DEP_2) | instskip(SKIP_1) | instid1(VALU_DEP_3)
	v_sub_nc_u32_e32 v46, 0x78, v183
	v_cmp_gt_u32_e32 vcc_lo, 0x79, v183
	v_or_b32_e32 v57, 0x800000, v40
	s_delay_alu instid0(VALU_DEP_3) | instskip(SKIP_2) | instid1(VALU_DEP_3)
	v_cndmask_b32_e32 v46, 0, v46, vcc_lo
	v_cmp_eq_u32_e32 vcc_lo, 0, v183
	v_add_nc_u32_e32 v183, 0xffffff89, v183
	v_cndmask_b32_e64 v46, v46, 0x77, vcc_lo
	v_cndmask_b32_e32 v40, v57, v40, vcc_lo
	s_delay_alu instid0(VALU_DEP_3) | instskip(NEXT) | instid1(VALU_DEP_3)
	v_cndmask_b32_e64 v183, v183, 0xffffff8a, vcc_lo
	v_lshl_add_u32 v57, 0x100000, v46, -1
	s_delay_alu instid0(VALU_DEP_3) | instskip(SKIP_1) | instid1(VALU_DEP_4)
	v_lshrrev_b32_e32 v60, v46, v40
	v_lshlrev_b32_e64 v73, v46, 0x80000
	v_add_nc_u32_e32 v46, v46, v183
	s_delay_alu instid0(VALU_DEP_4) | instskip(NEXT) | instid1(VALU_DEP_4)
	v_and_b32_e32 v40, v57, v40
	v_bfe_u32 v63, v60, 20, 1
	s_delay_alu instid0(VALU_DEP_2) | instskip(NEXT) | instid1(VALU_DEP_2)
	v_cmp_eq_u32_e64 s13, v40, v73
	v_add_nc_u32_e32 v57, -1, v63
	s_delay_alu instid0(VALU_DEP_1) | instskip(SKIP_2) | instid1(VALU_DEP_2)
	v_cndmask_b32_e64 v40, 0, v57, s13
	v_lshrrev_b32_e32 v57, 23, v60
	s_mov_b32 s13, exec_lo
	v_add_nc_u32_e32 v40, v40, v60
	s_delay_alu instid0(VALU_DEP_2) | instskip(NEXT) | instid1(VALU_DEP_2)
	v_xor_b32_e32 v57, 1, v57
	v_and_b32_e32 v183, 0xfffff, v40
	s_delay_alu instid0(VALU_DEP_1) | instskip(NEXT) | instid1(VALU_DEP_3)
	v_add_nc_u32_e32 v40, v183, v60
                                        ; implicit-def: $vgpr183
	v_cmpx_ne_u32_e64 v46, v57
	s_xor_b32 s13, exec_lo, s13
; %bb.4643:                             ;   in Loop: Header=BB6_4010 Depth=4
	s_delay_alu instid0(VALU_DEP_2) | instskip(SKIP_2) | instid1(VALU_DEP_2)
	v_cmp_lt_u32_e32 vcc_lo, 0xffffff, v40
	v_sub_nc_u32_e32 v183, v46, v57
	v_cndmask_b32_e64 v46, 0, 1, vcc_lo
	v_add_co_ci_u32_e32 v183, vcc_lo, 0, v183, vcc_lo
	s_delay_alu instid0(VALU_DEP_2)
	v_lshrrev_b32_e32 v40, v46, v40
; %bb.4644:                             ;   in Loop: Header=BB6_4010 Depth=4
	s_and_not1_saveexec_b32 s13, s13
; %bb.4645:                             ;   in Loop: Header=BB6_4010 Depth=4
	s_delay_alu instid0(VALU_DEP_1)
	v_bfe_u32 v183, v40, 23, 1
; %bb.4646:                             ;   in Loop: Header=BB6_4010 Depth=4
	s_or_b32 exec_lo, exec_lo, s13
	v_lshrrev_b32_e32 v40, 20, v40
	s_delay_alu instid0(VALU_DEP_2) | instskip(SKIP_2) | instid1(VALU_DEP_2)
	v_cmp_gt_i32_e32 vcc_lo, 16, v183
	v_lshrrev_b32_e32 v43, 24, v43
	v_min_i32_e32 v46, 15, v183
	v_dual_cndmask_b32 v40, 7, v40 :: v_dual_and_b32 v43, 0x80, v43
	s_delay_alu instid0(VALU_DEP_1) | instskip(SKIP_1) | instid1(VALU_DEP_2)
	v_or_b32_e32 v183, v183, v40
	v_and_b32_e32 v57, 7, v40
	v_cmp_ne_u32_e32 vcc_lo, 0, v183
	v_lshlrev_b32_e32 v46, 3, v46
	s_delay_alu instid0(VALU_DEP_1) | instskip(NEXT) | instid1(VALU_DEP_1)
	v_or3_b32 v40, v46, v43, v57
	v_cndmask_b32_e32 v183, 0, v40, vcc_lo
.LBB6_4647:                             ;   in Loop: Header=BB6_4010 Depth=4
	s_or_b32 exec_lo, exec_lo, s38
.LBB6_4648:                             ;   in Loop: Header=BB6_4010 Depth=4
	s_delay_alu instid0(SALU_CYCLE_1) | instskip(NEXT) | instid1(SALU_CYCLE_1)
	s_or_b32 exec_lo, exec_lo, s37
	s_and_not1_b32 vcc_lo, exec_lo, s35
	s_cbranch_vccnz .LBB6_4658
; %bb.4649:                             ;   in Loop: Header=BB6_4010 Depth=4
	v_and_b32_e32 v43, 0xff, v181
	s_mov_b32 s13, 0
	s_mov_b32 s38, exec_lo
                                        ; implicit-def: $sgpr37
	s_delay_alu instid0(VALU_DEP_1)
	v_cmpx_lt_i16_e32 0x7f, v43
	s_xor_b32 s38, exec_lo, s38
	s_cbranch_execnz .LBB6_5288
; %bb.4650:                             ;   in Loop: Header=BB6_4010 Depth=4
	s_or_saveexec_b32 s38, s38
	v_mov_b32_e32 v40, s37
	s_xor_b32 exec_lo, exec_lo, s38
	s_cbranch_execnz .LBB6_5291
.LBB6_4651:                             ;   in Loop: Header=BB6_4010 Depth=4
	s_or_b32 exec_lo, exec_lo, s38
	s_and_saveexec_b32 s37, s13
	s_cbranch_execz .LBB6_4653
.LBB6_4652:                             ;   in Loop: Header=BB6_4010 Depth=4
	v_lshrrev_b16 v57, 3, v181
	v_lshlrev_b32_e32 v60, 24, v181
	s_delay_alu instid0(VALU_DEP_2) | instskip(NEXT) | instid1(VALU_DEP_1)
	v_and_b32_e32 v57, 15, v57
	v_cmp_eq_u32_e32 vcc_lo, 0, v57
	v_and_b32_e32 v40, 7, v181
	s_delay_alu instid0(VALU_DEP_1) | instskip(NEXT) | instid1(VALU_DEP_1)
	v_clz_i32_u32_e32 v43, v40
	v_min_u32_e32 v43, 32, v43
	s_delay_alu instid0(VALU_DEP_1) | instskip(SKIP_1) | instid1(VALU_DEP_1)
	v_subrev_nc_u32_e32 v46, 28, v43
	v_sub_nc_u32_e32 v43, 29, v43
	v_dual_cndmask_b32 v43, v57, v43 :: v_dual_lshlrev_b32 v46, v46, v181
	s_delay_alu instid0(VALU_DEP_1) | instskip(NEXT) | instid1(VALU_DEP_2)
	v_and_b32_e32 v46, 7, v46
	v_lshl_add_u32 v43, v43, 23, 0x3b800000
	s_delay_alu instid0(VALU_DEP_2) | instskip(SKIP_1) | instid1(VALU_DEP_2)
	v_cndmask_b32_e32 v40, v40, v46, vcc_lo
	v_and_b32_e32 v46, 0x80000000, v60
	v_lshlrev_b32_e32 v40, 20, v40
	s_delay_alu instid0(VALU_DEP_1)
	v_or3_b32 v40, v46, v43, v40
.LBB6_4653:                             ;   in Loop: Header=BB6_4010 Depth=4
	s_or_b32 exec_lo, exec_lo, s37
	s_waitcnt vmcnt(9) lgkmcnt(9)
	v_and_b32_e32 v46, 0xff, v117
	s_mov_b32 s13, 0
	s_mov_b32 s38, exec_lo
                                        ; implicit-def: $sgpr37
	s_delay_alu instid0(VALU_DEP_1)
	v_cmpx_lt_i16_e32 0x7f, v46
	s_xor_b32 s38, exec_lo, s38
	s_cbranch_execnz .LBB6_5292
; %bb.4654:                             ;   in Loop: Header=BB6_4010 Depth=4
	s_or_saveexec_b32 s38, s38
	v_mov_b32_e32 v43, s37
	s_xor_b32 exec_lo, exec_lo, s38
	s_cbranch_execnz .LBB6_5295
.LBB6_4655:                             ;   in Loop: Header=BB6_4010 Depth=4
	s_or_b32 exec_lo, exec_lo, s38
	s_and_saveexec_b32 s37, s13
	s_cbranch_execz .LBB6_4657
.LBB6_4656:                             ;   in Loop: Header=BB6_4010 Depth=4
	v_lshrrev_b16 v60, 3, v117
	v_lshlrev_b32_e32 v63, 24, v117
	s_delay_alu instid0(VALU_DEP_2) | instskip(NEXT) | instid1(VALU_DEP_1)
	v_and_b32_e32 v60, 15, v60
	v_cmp_eq_u32_e32 vcc_lo, 0, v60
	v_and_b32_e32 v43, 7, v117
	s_delay_alu instid0(VALU_DEP_1) | instskip(NEXT) | instid1(VALU_DEP_1)
	v_clz_i32_u32_e32 v46, v43
	v_min_u32_e32 v46, 32, v46
	s_delay_alu instid0(VALU_DEP_1) | instskip(SKIP_1) | instid1(VALU_DEP_1)
	v_subrev_nc_u32_e32 v57, 28, v46
	v_sub_nc_u32_e32 v46, 29, v46
	v_dual_cndmask_b32 v46, v60, v46 :: v_dual_lshlrev_b32 v57, v57, v117
	s_delay_alu instid0(VALU_DEP_1) | instskip(NEXT) | instid1(VALU_DEP_2)
	v_and_b32_e32 v57, 7, v57
	v_lshl_add_u32 v46, v46, 23, 0x3b800000
	s_delay_alu instid0(VALU_DEP_2) | instskip(SKIP_1) | instid1(VALU_DEP_2)
	v_cndmask_b32_e32 v43, v43, v57, vcc_lo
	v_and_b32_e32 v57, 0x80000000, v63
	v_lshlrev_b32_e32 v43, 20, v43
	s_delay_alu instid0(VALU_DEP_1)
	v_or3_b32 v43, v57, v46, v43
.LBB6_4657:                             ;   in Loop: Header=BB6_4010 Depth=4
	s_or_b32 exec_lo, exec_lo, s37
	s_delay_alu instid0(VALU_DEP_1) | instskip(SKIP_1) | instid1(VALU_DEP_1)
	v_dual_max_f32 v43, v43, v43 :: v_dual_max_f32 v40, v40, v40
	s_mov_b32 s13, 0
	v_max_f32_e32 v40, v40, v43
	s_branch .LBB6_4659
.LBB6_4658:                             ;   in Loop: Header=BB6_4010 Depth=4
	s_mov_b32 s13, -1
                                        ; implicit-def: $vgpr40
.LBB6_4659:                             ;   in Loop: Header=BB6_4010 Depth=4
	s_delay_alu instid0(SALU_CYCLE_1)
	s_and_b32 vcc_lo, exec_lo, s13
	s_cbranch_vccz .LBB6_4669
; %bb.4660:                             ;   in Loop: Header=BB6_4010 Depth=4
	v_and_b32_e32 v43, 0xff, v181
	s_mov_b32 s13, 0
	s_mov_b32 s38, exec_lo
                                        ; implicit-def: $sgpr37
	s_delay_alu instid0(VALU_DEP_1)
	v_cmpx_lt_i16_e32 0x7f, v43
	s_xor_b32 s38, exec_lo, s38
	s_cbranch_execnz .LBB6_5296
; %bb.4661:                             ;   in Loop: Header=BB6_4010 Depth=4
	s_or_saveexec_b32 s38, s38
	v_mov_b32_e32 v40, s37
	s_xor_b32 exec_lo, exec_lo, s38
	s_cbranch_execnz .LBB6_5299
.LBB6_4662:                             ;   in Loop: Header=BB6_4010 Depth=4
	s_or_b32 exec_lo, exec_lo, s38
	s_and_saveexec_b32 s37, s13
	s_cbranch_execz .LBB6_4664
.LBB6_4663:                             ;   in Loop: Header=BB6_4010 Depth=4
	v_lshrrev_b16 v57, 3, v181
	s_delay_alu instid0(VALU_DEP_1) | instskip(NEXT) | instid1(VALU_DEP_1)
	v_and_b32_e32 v57, 15, v57
	v_cmp_eq_u32_e32 vcc_lo, 0, v57
	v_and_b32_e32 v40, 7, v181
	s_delay_alu instid0(VALU_DEP_1) | instskip(NEXT) | instid1(VALU_DEP_1)
	v_clz_i32_u32_e32 v43, v40
	v_min_u32_e32 v43, 32, v43
	s_delay_alu instid0(VALU_DEP_1) | instskip(SKIP_1) | instid1(VALU_DEP_1)
	v_subrev_nc_u32_e32 v46, 28, v43
	v_sub_nc_u32_e32 v43, 29, v43
	v_dual_cndmask_b32 v43, v57, v43 :: v_dual_lshlrev_b32 v46, v46, v181
	v_lshlrev_b32_e32 v181, 24, v181
	s_delay_alu instid0(VALU_DEP_2) | instskip(NEXT) | instid1(VALU_DEP_3)
	v_and_b32_e32 v46, 7, v46
	v_lshl_add_u32 v43, v43, 23, 0x3b800000
	s_delay_alu instid0(VALU_DEP_2) | instskip(NEXT) | instid1(VALU_DEP_1)
	v_dual_cndmask_b32 v40, v40, v46 :: v_dual_and_b32 v181, 0x80000000, v181
	v_lshlrev_b32_e32 v40, 20, v40
	s_delay_alu instid0(VALU_DEP_1)
	v_or3_b32 v40, v181, v43, v40
.LBB6_4664:                             ;   in Loop: Header=BB6_4010 Depth=4
	s_or_b32 exec_lo, exec_lo, s37
	s_waitcnt vmcnt(9) lgkmcnt(9)
	v_and_b32_e32 v43, 0xff, v117
	s_mov_b32 s13, 0
	s_mov_b32 s38, exec_lo
                                        ; implicit-def: $sgpr37
	s_delay_alu instid0(VALU_DEP_1)
	v_cmpx_lt_i16_e32 0x7f, v43
	s_xor_b32 s38, exec_lo, s38
	s_cbranch_execnz .LBB6_5300
; %bb.4665:                             ;   in Loop: Header=BB6_4010 Depth=4
	s_or_saveexec_b32 s38, s38
	v_mov_b32_e32 v181, s37
	s_xor_b32 exec_lo, exec_lo, s38
	s_cbranch_execnz .LBB6_5303
.LBB6_4666:                             ;   in Loop: Header=BB6_4010 Depth=4
	s_or_b32 exec_lo, exec_lo, s38
	s_and_saveexec_b32 s37, s13
	s_cbranch_execz .LBB6_4668
.LBB6_4667:                             ;   in Loop: Header=BB6_4010 Depth=4
	v_and_b32_e32 v181, 7, v117
	v_lshrrev_b16 v57, 3, v117
	s_delay_alu instid0(VALU_DEP_2) | instskip(NEXT) | instid1(VALU_DEP_2)
	v_clz_i32_u32_e32 v43, v181
	v_and_b32_e32 v57, 15, v57
	s_delay_alu instid0(VALU_DEP_2) | instskip(NEXT) | instid1(VALU_DEP_2)
	v_min_u32_e32 v43, 32, v43
	v_cmp_eq_u32_e32 vcc_lo, 0, v57
	s_delay_alu instid0(VALU_DEP_2) | instskip(SKIP_1) | instid1(VALU_DEP_1)
	v_subrev_nc_u32_e32 v46, 28, v43
	v_sub_nc_u32_e32 v43, 29, v43
	v_dual_cndmask_b32 v43, v57, v43 :: v_dual_lshlrev_b32 v46, v46, v117
	v_lshlrev_b32_e32 v117, 24, v117
	s_delay_alu instid0(VALU_DEP_2) | instskip(NEXT) | instid1(VALU_DEP_3)
	v_and_b32_e32 v46, 7, v46
	v_lshl_add_u32 v43, v43, 23, 0x3b800000
	s_delay_alu instid0(VALU_DEP_3) | instskip(NEXT) | instid1(VALU_DEP_3)
	v_and_b32_e32 v117, 0x80000000, v117
	v_cndmask_b32_e32 v181, v181, v46, vcc_lo
	s_delay_alu instid0(VALU_DEP_1) | instskip(NEXT) | instid1(VALU_DEP_1)
	v_lshlrev_b32_e32 v181, 20, v181
	v_or3_b32 v181, v117, v43, v181
.LBB6_4668:                             ;   in Loop: Header=BB6_4010 Depth=4
	s_or_b32 exec_lo, exec_lo, s37
	s_delay_alu instid0(VALU_DEP_1) | instskip(SKIP_1) | instid1(VALU_DEP_1)
	v_max_f32_e32 v117, v181, v181
	v_max_f32_e32 v181, v40, v40
	v_min_f32_e32 v40, v181, v117
.LBB6_4669:                             ;   in Loop: Header=BB6_4010 Depth=4
	s_waitcnt vmcnt(9) lgkmcnt(9)
	s_delay_alu instid0(VALU_DEP_1) | instskip(NEXT) | instid1(VALU_DEP_1)
	v_and_b32_e32 v117, 0x7f800000, v40
	v_cmp_ne_u32_e32 vcc_lo, 0x7f800000, v117
	v_mov_b32_e32 v117, 0x80
	s_and_saveexec_b32 s37, vcc_lo
	s_cbranch_execz .LBB6_4677
; %bb.4670:                             ;   in Loop: Header=BB6_4010 Depth=4
	v_mov_b32_e32 v117, 0
	s_mov_b32 s38, exec_lo
	v_cmpx_ne_u32_e32 0, v40
	s_cbranch_execz .LBB6_4676
; %bb.4671:                             ;   in Loop: Header=BB6_4010 Depth=4
	v_bfe_u32 v117, v40, 23, 8
	v_and_b32_e32 v181, 0x7fffff, v40
	s_delay_alu instid0(VALU_DEP_2) | instskip(SKIP_1) | instid1(VALU_DEP_3)
	v_sub_nc_u32_e32 v43, 0x78, v117
	v_cmp_gt_u32_e32 vcc_lo, 0x79, v117
	v_or_b32_e32 v46, 0x800000, v181
	s_delay_alu instid0(VALU_DEP_3) | instskip(SKIP_2) | instid1(VALU_DEP_3)
	v_cndmask_b32_e32 v43, 0, v43, vcc_lo
	v_cmp_eq_u32_e32 vcc_lo, 0, v117
	v_add_nc_u32_e32 v117, 0xffffff89, v117
	v_cndmask_b32_e64 v43, v43, 0x77, vcc_lo
	v_cndmask_b32_e32 v181, v46, v181, vcc_lo
	s_delay_alu instid0(VALU_DEP_3) | instskip(NEXT) | instid1(VALU_DEP_3)
	v_cndmask_b32_e64 v117, v117, 0xffffff8a, vcc_lo
	v_lshl_add_u32 v46, 0x100000, v43, -1
	s_delay_alu instid0(VALU_DEP_3) | instskip(SKIP_1) | instid1(VALU_DEP_4)
	v_lshrrev_b32_e32 v57, v43, v181
	v_lshlrev_b32_e64 v63, v43, 0x80000
	v_add_nc_u32_e32 v43, v43, v117
	s_delay_alu instid0(VALU_DEP_4) | instskip(NEXT) | instid1(VALU_DEP_4)
	v_and_b32_e32 v181, v46, v181
	v_bfe_u32 v60, v57, 20, 1
	s_delay_alu instid0(VALU_DEP_2) | instskip(NEXT) | instid1(VALU_DEP_2)
	v_cmp_eq_u32_e64 s13, v181, v63
	v_add_nc_u32_e32 v46, -1, v60
	s_delay_alu instid0(VALU_DEP_1) | instskip(SKIP_2) | instid1(VALU_DEP_2)
	v_cndmask_b32_e64 v181, 0, v46, s13
	v_lshrrev_b32_e32 v46, 23, v57
	s_mov_b32 s13, exec_lo
	v_add_nc_u32_e32 v181, v181, v57
	s_delay_alu instid0(VALU_DEP_2) | instskip(NEXT) | instid1(VALU_DEP_2)
	v_xor_b32_e32 v46, 1, v46
	v_and_b32_e32 v117, 0xfffff, v181
	s_delay_alu instid0(VALU_DEP_1) | instskip(NEXT) | instid1(VALU_DEP_3)
	v_add_nc_u32_e32 v181, v117, v57
                                        ; implicit-def: $vgpr117
	v_cmpx_ne_u32_e64 v43, v46
	s_xor_b32 s13, exec_lo, s13
; %bb.4672:                             ;   in Loop: Header=BB6_4010 Depth=4
	s_delay_alu instid0(VALU_DEP_2) | instskip(SKIP_2) | instid1(VALU_DEP_2)
	v_cmp_lt_u32_e32 vcc_lo, 0xffffff, v181
	v_sub_nc_u32_e32 v117, v43, v46
	v_cndmask_b32_e64 v43, 0, 1, vcc_lo
	v_add_co_ci_u32_e32 v117, vcc_lo, 0, v117, vcc_lo
	s_delay_alu instid0(VALU_DEP_2)
	v_lshrrev_b32_e32 v181, v43, v181
; %bb.4673:                             ;   in Loop: Header=BB6_4010 Depth=4
	s_and_not1_saveexec_b32 s13, s13
; %bb.4674:                             ;   in Loop: Header=BB6_4010 Depth=4
	s_delay_alu instid0(VALU_DEP_1)
	v_bfe_u32 v117, v181, 23, 1
; %bb.4675:                             ;   in Loop: Header=BB6_4010 Depth=4
	s_or_b32 exec_lo, exec_lo, s13
	v_lshrrev_b32_e32 v181, 20, v181
	s_delay_alu instid0(VALU_DEP_2) | instskip(SKIP_2) | instid1(VALU_DEP_2)
	v_cmp_gt_i32_e32 vcc_lo, 16, v117
	v_lshrrev_b32_e32 v40, 24, v40
	v_min_i32_e32 v43, 15, v117
	v_dual_cndmask_b32 v181, 7, v181 :: v_dual_and_b32 v40, 0x80, v40
	s_delay_alu instid0(VALU_DEP_2) | instskip(NEXT) | instid1(VALU_DEP_2)
	v_lshlrev_b32_e32 v43, 3, v43
	v_and_b32_e32 v46, 7, v181
	v_or_b32_e32 v117, v117, v181
	s_delay_alu instid0(VALU_DEP_2) | instskip(NEXT) | instid1(VALU_DEP_2)
	v_or3_b32 v181, v43, v40, v46
	v_cmp_ne_u32_e32 vcc_lo, 0, v117
	s_delay_alu instid0(VALU_DEP_2)
	v_cndmask_b32_e32 v117, 0, v181, vcc_lo
.LBB6_4676:                             ;   in Loop: Header=BB6_4010 Depth=4
	s_or_b32 exec_lo, exec_lo, s38
.LBB6_4677:                             ;   in Loop: Header=BB6_4010 Depth=4
	s_delay_alu instid0(SALU_CYCLE_1) | instskip(NEXT) | instid1(SALU_CYCLE_1)
	s_or_b32 exec_lo, exec_lo, s37
	s_and_not1_b32 vcc_lo, exec_lo, s35
	s_cbranch_vccnz .LBB6_4687
; %bb.4678:                             ;   in Loop: Header=BB6_4010 Depth=4
	v_and_b32_e32 v40, 0xff, v115
	s_mov_b32 s13, 0
	s_mov_b32 s38, exec_lo
                                        ; implicit-def: $sgpr37
	s_delay_alu instid0(VALU_DEP_1)
	v_cmpx_lt_i16_e32 0x7f, v40
	s_xor_b32 s38, exec_lo, s38
	s_cbranch_execnz .LBB6_5304
; %bb.4679:                             ;   in Loop: Header=BB6_4010 Depth=4
	s_or_saveexec_b32 s38, s38
	v_mov_b32_e32 v181, s37
	s_xor_b32 exec_lo, exec_lo, s38
	s_cbranch_execnz .LBB6_5307
.LBB6_4680:                             ;   in Loop: Header=BB6_4010 Depth=4
	s_or_b32 exec_lo, exec_lo, s38
	s_and_saveexec_b32 s37, s13
	s_cbranch_execz .LBB6_4682
.LBB6_4681:                             ;   in Loop: Header=BB6_4010 Depth=4
	v_lshrrev_b16 v46, 3, v115
	v_lshlrev_b32_e32 v57, 24, v115
	s_delay_alu instid0(VALU_DEP_2) | instskip(NEXT) | instid1(VALU_DEP_1)
	v_and_b32_e32 v46, 15, v46
	v_cmp_eq_u32_e32 vcc_lo, 0, v46
	v_and_b32_e32 v181, 7, v115
	s_delay_alu instid0(VALU_DEP_1) | instskip(NEXT) | instid1(VALU_DEP_1)
	v_clz_i32_u32_e32 v40, v181
	v_min_u32_e32 v40, 32, v40
	s_delay_alu instid0(VALU_DEP_1) | instskip(SKIP_1) | instid1(VALU_DEP_1)
	v_subrev_nc_u32_e32 v43, 28, v40
	v_sub_nc_u32_e32 v40, 29, v40
	v_dual_cndmask_b32 v40, v46, v40 :: v_dual_lshlrev_b32 v43, v43, v115
	s_delay_alu instid0(VALU_DEP_1) | instskip(NEXT) | instid1(VALU_DEP_2)
	v_and_b32_e32 v43, 7, v43
	v_lshl_add_u32 v40, v40, 23, 0x3b800000
	s_delay_alu instid0(VALU_DEP_2) | instskip(SKIP_1) | instid1(VALU_DEP_2)
	v_cndmask_b32_e32 v181, v181, v43, vcc_lo
	v_and_b32_e32 v43, 0x80000000, v57
	v_lshlrev_b32_e32 v181, 20, v181
	s_delay_alu instid0(VALU_DEP_1)
	v_or3_b32 v181, v43, v40, v181
.LBB6_4682:                             ;   in Loop: Header=BB6_4010 Depth=4
	s_or_b32 exec_lo, exec_lo, s37
	s_waitcnt vmcnt(8) lgkmcnt(8)
	v_and_b32_e32 v43, 0xff, v114
	s_mov_b32 s13, 0
	s_mov_b32 s38, exec_lo
                                        ; implicit-def: $sgpr37
	s_delay_alu instid0(VALU_DEP_1)
	v_cmpx_lt_i16_e32 0x7f, v43
	s_xor_b32 s38, exec_lo, s38
	s_cbranch_execnz .LBB6_5308
; %bb.4683:                             ;   in Loop: Header=BB6_4010 Depth=4
	s_or_saveexec_b32 s38, s38
	v_mov_b32_e32 v40, s37
	s_xor_b32 exec_lo, exec_lo, s38
	s_cbranch_execnz .LBB6_5311
.LBB6_4684:                             ;   in Loop: Header=BB6_4010 Depth=4
	s_or_b32 exec_lo, exec_lo, s38
	s_and_saveexec_b32 s37, s13
	s_cbranch_execz .LBB6_4686
.LBB6_4685:                             ;   in Loop: Header=BB6_4010 Depth=4
	v_lshrrev_b16 v57, 3, v114
	v_lshlrev_b32_e32 v60, 24, v114
	s_delay_alu instid0(VALU_DEP_2) | instskip(NEXT) | instid1(VALU_DEP_1)
	v_and_b32_e32 v57, 15, v57
	v_cmp_eq_u32_e32 vcc_lo, 0, v57
	v_and_b32_e32 v40, 7, v114
	s_delay_alu instid0(VALU_DEP_1) | instskip(NEXT) | instid1(VALU_DEP_1)
	v_clz_i32_u32_e32 v43, v40
	v_min_u32_e32 v43, 32, v43
	s_delay_alu instid0(VALU_DEP_1) | instskip(SKIP_1) | instid1(VALU_DEP_1)
	v_subrev_nc_u32_e32 v46, 28, v43
	v_sub_nc_u32_e32 v43, 29, v43
	v_dual_cndmask_b32 v43, v57, v43 :: v_dual_lshlrev_b32 v46, v46, v114
	s_delay_alu instid0(VALU_DEP_1) | instskip(NEXT) | instid1(VALU_DEP_2)
	v_and_b32_e32 v46, 7, v46
	v_lshl_add_u32 v43, v43, 23, 0x3b800000
	s_delay_alu instid0(VALU_DEP_2) | instskip(SKIP_1) | instid1(VALU_DEP_2)
	v_cndmask_b32_e32 v40, v40, v46, vcc_lo
	v_and_b32_e32 v46, 0x80000000, v60
	v_lshlrev_b32_e32 v40, 20, v40
	s_delay_alu instid0(VALU_DEP_1)
	v_or3_b32 v40, v46, v43, v40
.LBB6_4686:                             ;   in Loop: Header=BB6_4010 Depth=4
	s_or_b32 exec_lo, exec_lo, s37
	s_delay_alu instid0(VALU_DEP_1) | instskip(SKIP_1) | instid1(VALU_DEP_1)
	v_dual_max_f32 v40, v40, v40 :: v_dual_max_f32 v181, v181, v181
	s_mov_b32 s13, 0
	v_max_f32_e32 v181, v181, v40
	s_branch .LBB6_4688
.LBB6_4687:                             ;   in Loop: Header=BB6_4010 Depth=4
	s_mov_b32 s13, -1
                                        ; implicit-def: $vgpr181
.LBB6_4688:                             ;   in Loop: Header=BB6_4010 Depth=4
	s_delay_alu instid0(SALU_CYCLE_1)
	s_and_b32 vcc_lo, exec_lo, s13
	s_cbranch_vccz .LBB6_4698
; %bb.4689:                             ;   in Loop: Header=BB6_4010 Depth=4
	v_and_b32_e32 v40, 0xff, v115
	s_mov_b32 s13, 0
	s_mov_b32 s38, exec_lo
                                        ; implicit-def: $sgpr37
	s_delay_alu instid0(VALU_DEP_1)
	v_cmpx_lt_i16_e32 0x7f, v40
	s_xor_b32 s38, exec_lo, s38
	s_cbranch_execnz .LBB6_5312
; %bb.4690:                             ;   in Loop: Header=BB6_4010 Depth=4
	s_or_saveexec_b32 s38, s38
	v_mov_b32_e32 v181, s37
	s_xor_b32 exec_lo, exec_lo, s38
	s_cbranch_execnz .LBB6_5315
.LBB6_4691:                             ;   in Loop: Header=BB6_4010 Depth=4
	s_or_b32 exec_lo, exec_lo, s38
	s_and_saveexec_b32 s37, s13
	s_cbranch_execz .LBB6_4693
.LBB6_4692:                             ;   in Loop: Header=BB6_4010 Depth=4
	v_lshrrev_b16 v46, 3, v115
	s_delay_alu instid0(VALU_DEP_1) | instskip(NEXT) | instid1(VALU_DEP_1)
	v_and_b32_e32 v46, 15, v46
	v_cmp_eq_u32_e32 vcc_lo, 0, v46
	v_and_b32_e32 v181, 7, v115
	s_delay_alu instid0(VALU_DEP_1) | instskip(NEXT) | instid1(VALU_DEP_1)
	v_clz_i32_u32_e32 v40, v181
	v_min_u32_e32 v40, 32, v40
	s_delay_alu instid0(VALU_DEP_1) | instskip(SKIP_1) | instid1(VALU_DEP_1)
	v_subrev_nc_u32_e32 v43, 28, v40
	v_sub_nc_u32_e32 v40, 29, v40
	v_dual_cndmask_b32 v40, v46, v40 :: v_dual_lshlrev_b32 v43, v43, v115
	v_lshlrev_b32_e32 v115, 24, v115
	s_delay_alu instid0(VALU_DEP_2) | instskip(NEXT) | instid1(VALU_DEP_3)
	v_and_b32_e32 v43, 7, v43
	v_lshl_add_u32 v40, v40, 23, 0x3b800000
	s_delay_alu instid0(VALU_DEP_3) | instskip(NEXT) | instid1(VALU_DEP_3)
	v_and_b32_e32 v115, 0x80000000, v115
	v_cndmask_b32_e32 v181, v181, v43, vcc_lo
	s_delay_alu instid0(VALU_DEP_1) | instskip(NEXT) | instid1(VALU_DEP_1)
	v_lshlrev_b32_e32 v181, 20, v181
	v_or3_b32 v181, v115, v40, v181
.LBB6_4693:                             ;   in Loop: Header=BB6_4010 Depth=4
	s_or_b32 exec_lo, exec_lo, s37
	s_waitcnt vmcnt(8) lgkmcnt(8)
	v_and_b32_e32 v40, 0xff, v114
	s_mov_b32 s13, 0
	s_mov_b32 s38, exec_lo
                                        ; implicit-def: $sgpr37
	s_delay_alu instid0(VALU_DEP_1)
	v_cmpx_lt_i16_e32 0x7f, v40
	s_xor_b32 s38, exec_lo, s38
	s_cbranch_execnz .LBB6_5316
; %bb.4694:                             ;   in Loop: Header=BB6_4010 Depth=4
	s_or_saveexec_b32 s38, s38
	v_mov_b32_e32 v115, s37
	s_xor_b32 exec_lo, exec_lo, s38
	s_cbranch_execnz .LBB6_5319
.LBB6_4695:                             ;   in Loop: Header=BB6_4010 Depth=4
	s_or_b32 exec_lo, exec_lo, s38
	s_and_saveexec_b32 s37, s13
	s_cbranch_execz .LBB6_4697
.LBB6_4696:                             ;   in Loop: Header=BB6_4010 Depth=4
	v_lshrrev_b16 v46, 3, v114
	s_delay_alu instid0(VALU_DEP_1) | instskip(NEXT) | instid1(VALU_DEP_1)
	v_and_b32_e32 v46, 15, v46
	v_cmp_eq_u32_e32 vcc_lo, 0, v46
	v_and_b32_e32 v115, 7, v114
	s_delay_alu instid0(VALU_DEP_1) | instskip(NEXT) | instid1(VALU_DEP_1)
	v_clz_i32_u32_e32 v40, v115
	v_min_u32_e32 v40, 32, v40
	s_delay_alu instid0(VALU_DEP_1) | instskip(SKIP_1) | instid1(VALU_DEP_1)
	v_subrev_nc_u32_e32 v43, 28, v40
	v_sub_nc_u32_e32 v40, 29, v40
	v_dual_cndmask_b32 v40, v46, v40 :: v_dual_lshlrev_b32 v43, v43, v114
	v_lshlrev_b32_e32 v114, 24, v114
	s_delay_alu instid0(VALU_DEP_2) | instskip(NEXT) | instid1(VALU_DEP_3)
	v_and_b32_e32 v43, 7, v43
	v_lshl_add_u32 v40, v40, 23, 0x3b800000
	s_delay_alu instid0(VALU_DEP_2) | instskip(NEXT) | instid1(VALU_DEP_1)
	v_dual_cndmask_b32 v115, v115, v43 :: v_dual_and_b32 v114, 0x80000000, v114
	v_lshlrev_b32_e32 v115, 20, v115
	s_delay_alu instid0(VALU_DEP_1)
	v_or3_b32 v115, v114, v40, v115
.LBB6_4697:                             ;   in Loop: Header=BB6_4010 Depth=4
	s_or_b32 exec_lo, exec_lo, s37
	s_delay_alu instid0(VALU_DEP_1) | instskip(NEXT) | instid1(VALU_DEP_1)
	v_dual_max_f32 v114, v115, v115 :: v_dual_max_f32 v115, v181, v181
	v_min_f32_e32 v181, v115, v114
.LBB6_4698:                             ;   in Loop: Header=BB6_4010 Depth=4
	s_waitcnt vmcnt(8) lgkmcnt(8)
	s_delay_alu instid0(VALU_DEP_1) | instskip(NEXT) | instid1(VALU_DEP_1)
	v_and_b32_e32 v114, 0x7f800000, v181
	v_cmp_ne_u32_e32 vcc_lo, 0x7f800000, v114
	v_mov_b32_e32 v114, 0x80
	s_and_saveexec_b32 s37, vcc_lo
	s_cbranch_execz .LBB6_4706
; %bb.4699:                             ;   in Loop: Header=BB6_4010 Depth=4
	v_mov_b32_e32 v114, 0
	s_mov_b32 s38, exec_lo
	v_cmpx_ne_u32_e32 0, v181
	s_cbranch_execz .LBB6_4705
; %bb.4700:                             ;   in Loop: Header=BB6_4010 Depth=4
	v_bfe_u32 v114, v181, 23, 8
	s_delay_alu instid0(VALU_DEP_1) | instskip(SKIP_1) | instid1(VALU_DEP_2)
	v_sub_nc_u32_e32 v40, 0x78, v114
	v_cmp_gt_u32_e32 vcc_lo, 0x79, v114
	v_dual_cndmask_b32 v40, 0, v40 :: v_dual_and_b32 v115, 0x7fffff, v181
	s_delay_alu instid0(VALU_DEP_1) | instskip(SKIP_2) | instid1(VALU_DEP_4)
	v_or_b32_e32 v43, 0x800000, v115
	v_cmp_eq_u32_e32 vcc_lo, 0, v114
	v_add_nc_u32_e32 v114, 0xffffff89, v114
	v_cndmask_b32_e64 v40, v40, 0x77, vcc_lo
	s_delay_alu instid0(VALU_DEP_4) | instskip(NEXT) | instid1(VALU_DEP_3)
	v_cndmask_b32_e32 v115, v43, v115, vcc_lo
	v_cndmask_b32_e64 v114, v114, 0xffffff8a, vcc_lo
	s_delay_alu instid0(VALU_DEP_3) | instskip(NEXT) | instid1(VALU_DEP_3)
	v_lshl_add_u32 v43, 0x100000, v40, -1
	v_lshrrev_b32_e32 v46, v40, v115
	v_lshlrev_b32_e64 v60, v40, 0x80000
	s_delay_alu instid0(VALU_DEP_4) | instskip(NEXT) | instid1(VALU_DEP_4)
	v_add_nc_u32_e32 v40, v40, v114
	v_and_b32_e32 v115, v43, v115
	s_delay_alu instid0(VALU_DEP_4) | instskip(NEXT) | instid1(VALU_DEP_2)
	v_bfe_u32 v57, v46, 20, 1
	v_cmp_eq_u32_e64 s13, v115, v60
	s_delay_alu instid0(VALU_DEP_2) | instskip(NEXT) | instid1(VALU_DEP_1)
	v_add_nc_u32_e32 v43, -1, v57
	v_cndmask_b32_e64 v115, 0, v43, s13
	v_lshrrev_b32_e32 v43, 23, v46
	s_mov_b32 s13, exec_lo
	s_delay_alu instid0(VALU_DEP_2) | instskip(NEXT) | instid1(VALU_DEP_2)
	v_add_nc_u32_e32 v115, v115, v46
	v_xor_b32_e32 v43, 1, v43
	s_delay_alu instid0(VALU_DEP_2) | instskip(NEXT) | instid1(VALU_DEP_1)
	v_and_b32_e32 v114, 0xfffff, v115
	v_add_nc_u32_e32 v115, v114, v46
                                        ; implicit-def: $vgpr114
	s_delay_alu instid0(VALU_DEP_3)
	v_cmpx_ne_u32_e64 v40, v43
	s_xor_b32 s13, exec_lo, s13
; %bb.4701:                             ;   in Loop: Header=BB6_4010 Depth=4
	s_delay_alu instid0(VALU_DEP_2) | instskip(SKIP_2) | instid1(VALU_DEP_2)
	v_cmp_lt_u32_e32 vcc_lo, 0xffffff, v115
	v_sub_nc_u32_e32 v114, v40, v43
	v_cndmask_b32_e64 v40, 0, 1, vcc_lo
	v_add_co_ci_u32_e32 v114, vcc_lo, 0, v114, vcc_lo
	s_delay_alu instid0(VALU_DEP_2)
	v_lshrrev_b32_e32 v115, v40, v115
; %bb.4702:                             ;   in Loop: Header=BB6_4010 Depth=4
	s_and_not1_saveexec_b32 s13, s13
; %bb.4703:                             ;   in Loop: Header=BB6_4010 Depth=4
	s_delay_alu instid0(VALU_DEP_1)
	v_bfe_u32 v114, v115, 23, 1
; %bb.4704:                             ;   in Loop: Header=BB6_4010 Depth=4
	s_or_b32 exec_lo, exec_lo, s13
	v_lshrrev_b32_e32 v115, 20, v115
	s_delay_alu instid0(VALU_DEP_2) | instskip(SKIP_2) | instid1(VALU_DEP_2)
	v_cmp_gt_i32_e32 vcc_lo, 16, v114
	v_min_i32_e32 v40, 15, v114
	v_lshrrev_b32_e32 v181, 24, v181
	v_dual_cndmask_b32 v115, 7, v115 :: v_dual_lshlrev_b32 v40, 3, v40
	s_delay_alu instid0(VALU_DEP_1) | instskip(SKIP_1) | instid1(VALU_DEP_2)
	v_or_b32_e32 v114, v114, v115
	v_and_b32_e32 v43, 7, v115
	v_cmp_ne_u32_e32 vcc_lo, 0, v114
	v_and_b32_e32 v181, 0x80, v181
	s_delay_alu instid0(VALU_DEP_1) | instskip(NEXT) | instid1(VALU_DEP_1)
	v_or3_b32 v115, v40, v181, v43
	v_cndmask_b32_e32 v114, 0, v115, vcc_lo
.LBB6_4705:                             ;   in Loop: Header=BB6_4010 Depth=4
	s_or_b32 exec_lo, exec_lo, s38
.LBB6_4706:                             ;   in Loop: Header=BB6_4010 Depth=4
	s_delay_alu instid0(SALU_CYCLE_1) | instskip(NEXT) | instid1(SALU_CYCLE_1)
	s_or_b32 exec_lo, exec_lo, s37
	s_and_not1_b32 vcc_lo, exec_lo, s35
	s_cbranch_vccnz .LBB6_4716
; %bb.4707:                             ;   in Loop: Header=BB6_4010 Depth=4
	v_and_b32_e32 v181, 0xff, v112
	s_mov_b32 s13, 0
	s_mov_b32 s38, exec_lo
                                        ; implicit-def: $sgpr37
	s_delay_alu instid0(VALU_DEP_1)
	v_cmpx_lt_i16_e64 0x7f, v181
	s_xor_b32 s38, exec_lo, s38
	s_cbranch_execnz .LBB6_5320
; %bb.4708:                             ;   in Loop: Header=BB6_4010 Depth=4
	s_or_saveexec_b32 s38, s38
	v_mov_b32_e32 v115, s37
	s_xor_b32 exec_lo, exec_lo, s38
	s_cbranch_execnz .LBB6_5323
.LBB6_4709:                             ;   in Loop: Header=BB6_4010 Depth=4
	s_or_b32 exec_lo, exec_lo, s38
	s_and_saveexec_b32 s37, s13
	s_cbranch_execz .LBB6_4711
.LBB6_4710:                             ;   in Loop: Header=BB6_4010 Depth=4
	v_and_b32_e32 v115, 7, v112
	v_lshrrev_b16 v43, 3, v112
	v_lshlrev_b32_e32 v46, 24, v112
	s_delay_alu instid0(VALU_DEP_3) | instskip(NEXT) | instid1(VALU_DEP_3)
	v_clz_i32_u32_e32 v181, v115
	v_and_b32_e32 v43, 15, v43
	s_delay_alu instid0(VALU_DEP_2) | instskip(NEXT) | instid1(VALU_DEP_2)
	v_min_u32_e32 v181, 32, v181
	v_cmp_eq_u32_e32 vcc_lo, 0, v43
	s_delay_alu instid0(VALU_DEP_2) | instskip(SKIP_1) | instid1(VALU_DEP_1)
	v_subrev_nc_u32_e32 v40, 28, v181
	v_sub_nc_u32_e32 v181, 29, v181
	v_dual_cndmask_b32 v181, v43, v181 :: v_dual_lshlrev_b32 v40, v40, v112
	s_delay_alu instid0(VALU_DEP_1) | instskip(NEXT) | instid1(VALU_DEP_2)
	v_and_b32_e32 v40, 7, v40
	v_lshl_add_u32 v181, v181, 23, 0x3b800000
	s_delay_alu instid0(VALU_DEP_2) | instskip(NEXT) | instid1(VALU_DEP_1)
	v_dual_cndmask_b32 v115, v115, v40 :: v_dual_and_b32 v40, 0x80000000, v46
	v_lshlrev_b32_e32 v115, 20, v115
	s_delay_alu instid0(VALU_DEP_1)
	v_or3_b32 v115, v40, v181, v115
.LBB6_4711:                             ;   in Loop: Header=BB6_4010 Depth=4
	s_or_b32 exec_lo, exec_lo, s37
	s_waitcnt vmcnt(7) lgkmcnt(7)
	v_and_b32_e32 v40, 0xff, v51
	s_mov_b32 s13, 0
	s_mov_b32 s38, exec_lo
                                        ; implicit-def: $sgpr37
	s_delay_alu instid0(VALU_DEP_1)
	v_cmpx_lt_i16_e32 0x7f, v40
	s_xor_b32 s38, exec_lo, s38
	s_cbranch_execnz .LBB6_5324
; %bb.4712:                             ;   in Loop: Header=BB6_4010 Depth=4
	s_or_saveexec_b32 s38, s38
	v_mov_b32_e32 v181, s37
	s_xor_b32 exec_lo, exec_lo, s38
	s_cbranch_execnz .LBB6_5327
.LBB6_4713:                             ;   in Loop: Header=BB6_4010 Depth=4
	s_or_b32 exec_lo, exec_lo, s38
	s_and_saveexec_b32 s37, s13
	s_cbranch_execz .LBB6_4715
.LBB6_4714:                             ;   in Loop: Header=BB6_4010 Depth=4
	v_lshrrev_b16 v46, 3, v51
	v_lshlrev_b32_e32 v57, 24, v51
	s_delay_alu instid0(VALU_DEP_2) | instskip(NEXT) | instid1(VALU_DEP_1)
	v_and_b32_e32 v46, 15, v46
	v_cmp_eq_u32_e32 vcc_lo, 0, v46
	v_and_b32_e32 v181, 7, v51
	s_delay_alu instid0(VALU_DEP_1) | instskip(NEXT) | instid1(VALU_DEP_1)
	v_clz_i32_u32_e32 v40, v181
	v_min_u32_e32 v40, 32, v40
	s_delay_alu instid0(VALU_DEP_1) | instskip(SKIP_1) | instid1(VALU_DEP_1)
	v_subrev_nc_u32_e32 v43, 28, v40
	v_sub_nc_u32_e32 v40, 29, v40
	v_dual_cndmask_b32 v40, v46, v40 :: v_dual_lshlrev_b32 v43, v43, v51
	s_delay_alu instid0(VALU_DEP_1) | instskip(NEXT) | instid1(VALU_DEP_2)
	v_and_b32_e32 v43, 7, v43
	v_lshl_add_u32 v40, v40, 23, 0x3b800000
	s_delay_alu instid0(VALU_DEP_2) | instskip(SKIP_1) | instid1(VALU_DEP_2)
	v_cndmask_b32_e32 v181, v181, v43, vcc_lo
	v_and_b32_e32 v43, 0x80000000, v57
	v_lshlrev_b32_e32 v181, 20, v181
	s_delay_alu instid0(VALU_DEP_1)
	v_or3_b32 v181, v43, v40, v181
.LBB6_4715:                             ;   in Loop: Header=BB6_4010 Depth=4
	s_or_b32 exec_lo, exec_lo, s37
	s_delay_alu instid0(VALU_DEP_1) | instskip(SKIP_2) | instid1(VALU_DEP_1)
	v_max_f32_e32 v181, v181, v181
	v_max_f32_e32 v115, v115, v115
	s_mov_b32 s13, 0
	v_max_f32_e32 v115, v115, v181
	s_branch .LBB6_4717
.LBB6_4716:                             ;   in Loop: Header=BB6_4010 Depth=4
	s_mov_b32 s13, -1
                                        ; implicit-def: $vgpr115
.LBB6_4717:                             ;   in Loop: Header=BB6_4010 Depth=4
	s_delay_alu instid0(SALU_CYCLE_1)
	s_and_b32 vcc_lo, exec_lo, s13
	s_cbranch_vccz .LBB6_4727
; %bb.4718:                             ;   in Loop: Header=BB6_4010 Depth=4
	v_and_b32_e32 v181, 0xff, v112
	s_mov_b32 s13, 0
	s_mov_b32 s38, exec_lo
                                        ; implicit-def: $sgpr37
	s_delay_alu instid0(VALU_DEP_1)
	v_cmpx_lt_i16_e64 0x7f, v181
	s_xor_b32 s38, exec_lo, s38
	s_cbranch_execnz .LBB6_5328
; %bb.4719:                             ;   in Loop: Header=BB6_4010 Depth=4
	s_or_saveexec_b32 s38, s38
	v_mov_b32_e32 v115, s37
	s_xor_b32 exec_lo, exec_lo, s38
	s_cbranch_execnz .LBB6_5331
.LBB6_4720:                             ;   in Loop: Header=BB6_4010 Depth=4
	s_or_b32 exec_lo, exec_lo, s38
	s_and_saveexec_b32 s37, s13
	s_cbranch_execz .LBB6_4722
.LBB6_4721:                             ;   in Loop: Header=BB6_4010 Depth=4
	v_and_b32_e32 v115, 7, v112
	v_lshrrev_b16 v43, 3, v112
	s_delay_alu instid0(VALU_DEP_2) | instskip(NEXT) | instid1(VALU_DEP_2)
	v_clz_i32_u32_e32 v181, v115
	v_and_b32_e32 v43, 15, v43
	s_delay_alu instid0(VALU_DEP_2) | instskip(NEXT) | instid1(VALU_DEP_2)
	v_min_u32_e32 v181, 32, v181
	v_cmp_eq_u32_e32 vcc_lo, 0, v43
	s_delay_alu instid0(VALU_DEP_2) | instskip(SKIP_1) | instid1(VALU_DEP_1)
	v_subrev_nc_u32_e32 v40, 28, v181
	v_sub_nc_u32_e32 v181, 29, v181
	v_dual_cndmask_b32 v181, v43, v181 :: v_dual_lshlrev_b32 v40, v40, v112
	v_lshlrev_b32_e32 v112, 24, v112
	s_delay_alu instid0(VALU_DEP_2) | instskip(NEXT) | instid1(VALU_DEP_3)
	v_and_b32_e32 v40, 7, v40
	v_lshl_add_u32 v181, v181, 23, 0x3b800000
	s_delay_alu instid0(VALU_DEP_3) | instskip(NEXT) | instid1(VALU_DEP_3)
	v_and_b32_e32 v112, 0x80000000, v112
	v_cndmask_b32_e32 v115, v115, v40, vcc_lo
	s_delay_alu instid0(VALU_DEP_1) | instskip(NEXT) | instid1(VALU_DEP_1)
	v_lshlrev_b32_e32 v115, 20, v115
	v_or3_b32 v115, v112, v181, v115
.LBB6_4722:                             ;   in Loop: Header=BB6_4010 Depth=4
	s_or_b32 exec_lo, exec_lo, s37
	s_waitcnt vmcnt(7) lgkmcnt(7)
	v_and_b32_e32 v181, 0xff, v51
	s_mov_b32 s13, 0
	s_mov_b32 s38, exec_lo
                                        ; implicit-def: $sgpr37
	s_delay_alu instid0(VALU_DEP_1)
	v_cmpx_lt_i16_e64 0x7f, v181
	s_xor_b32 s38, exec_lo, s38
	s_cbranch_execnz .LBB6_5332
; %bb.4723:                             ;   in Loop: Header=BB6_4010 Depth=4
	s_or_saveexec_b32 s38, s38
	v_mov_b32_e32 v112, s37
	s_xor_b32 exec_lo, exec_lo, s38
	s_cbranch_execnz .LBB6_5335
.LBB6_4724:                             ;   in Loop: Header=BB6_4010 Depth=4
	s_or_b32 exec_lo, exec_lo, s38
	s_and_saveexec_b32 s37, s13
	s_cbranch_execz .LBB6_4726
.LBB6_4725:                             ;   in Loop: Header=BB6_4010 Depth=4
	v_lshrrev_b16 v43, 3, v51
	s_delay_alu instid0(VALU_DEP_1) | instskip(NEXT) | instid1(VALU_DEP_1)
	v_and_b32_e32 v43, 15, v43
	v_cmp_eq_u32_e32 vcc_lo, 0, v43
	v_and_b32_e32 v112, 7, v51
	s_delay_alu instid0(VALU_DEP_1) | instskip(NEXT) | instid1(VALU_DEP_1)
	v_clz_i32_u32_e32 v181, v112
	v_min_u32_e32 v181, 32, v181
	s_delay_alu instid0(VALU_DEP_1) | instskip(SKIP_1) | instid1(VALU_DEP_1)
	v_subrev_nc_u32_e32 v40, 28, v181
	v_sub_nc_u32_e32 v181, 29, v181
	v_dual_cndmask_b32 v181, v43, v181 :: v_dual_lshlrev_b32 v40, v40, v51
	v_lshlrev_b32_e32 v51, 24, v51
	s_delay_alu instid0(VALU_DEP_2) | instskip(NEXT) | instid1(VALU_DEP_3)
	v_and_b32_e32 v40, 7, v40
	v_lshl_add_u32 v181, v181, 23, 0x3b800000
	s_delay_alu instid0(VALU_DEP_2) | instskip(NEXT) | instid1(VALU_DEP_1)
	v_dual_cndmask_b32 v112, v112, v40 :: v_dual_and_b32 v51, 0x80000000, v51
	v_lshlrev_b32_e32 v112, 20, v112
	s_delay_alu instid0(VALU_DEP_1)
	v_or3_b32 v112, v51, v181, v112
.LBB6_4726:                             ;   in Loop: Header=BB6_4010 Depth=4
	s_or_b32 exec_lo, exec_lo, s37
	s_delay_alu instid0(VALU_DEP_1) | instskip(NEXT) | instid1(VALU_DEP_1)
	v_dual_max_f32 v51, v112, v112 :: v_dual_max_f32 v112, v115, v115
	v_min_f32_e32 v115, v112, v51
.LBB6_4727:                             ;   in Loop: Header=BB6_4010 Depth=4
	s_waitcnt vmcnt(7) lgkmcnt(7)
	s_delay_alu instid0(VALU_DEP_1) | instskip(NEXT) | instid1(VALU_DEP_1)
	v_and_b32_e32 v51, 0x7f800000, v115
	v_cmp_ne_u32_e32 vcc_lo, 0x7f800000, v51
	v_mov_b32_e32 v51, 0x80
	s_and_saveexec_b32 s37, vcc_lo
	s_cbranch_execz .LBB6_4735
; %bb.4728:                             ;   in Loop: Header=BB6_4010 Depth=4
	v_mov_b32_e32 v51, 0
	s_mov_b32 s38, exec_lo
	v_cmpx_ne_u32_e32 0, v115
	s_cbranch_execz .LBB6_4734
; %bb.4729:                             ;   in Loop: Header=BB6_4010 Depth=4
	v_bfe_u32 v51, v115, 23, 8
	s_delay_alu instid0(VALU_DEP_1) | instskip(SKIP_1) | instid1(VALU_DEP_2)
	v_sub_nc_u32_e32 v181, 0x78, v51
	v_cmp_gt_u32_e32 vcc_lo, 0x79, v51
	v_dual_cndmask_b32 v181, 0, v181 :: v_dual_and_b32 v112, 0x7fffff, v115
	s_delay_alu instid0(VALU_DEP_1) | instskip(SKIP_2) | instid1(VALU_DEP_4)
	v_or_b32_e32 v40, 0x800000, v112
	v_cmp_eq_u32_e32 vcc_lo, 0, v51
	v_add_nc_u32_e32 v51, 0xffffff89, v51
	v_cndmask_b32_e64 v181, v181, 0x77, vcc_lo
	s_delay_alu instid0(VALU_DEP_4) | instskip(NEXT) | instid1(VALU_DEP_3)
	v_cndmask_b32_e32 v112, v40, v112, vcc_lo
	v_cndmask_b32_e64 v51, v51, 0xffffff8a, vcc_lo
	s_delay_alu instid0(VALU_DEP_3) | instskip(NEXT) | instid1(VALU_DEP_3)
	v_lshl_add_u32 v40, 0x100000, v181, -1
	v_lshrrev_b32_e32 v43, v181, v112
	v_lshlrev_b32_e64 v57, v181, 0x80000
	s_delay_alu instid0(VALU_DEP_4) | instskip(NEXT) | instid1(VALU_DEP_4)
	v_add_nc_u32_e32 v181, v181, v51
	v_and_b32_e32 v112, v40, v112
	s_delay_alu instid0(VALU_DEP_4) | instskip(NEXT) | instid1(VALU_DEP_2)
	v_bfe_u32 v46, v43, 20, 1
	v_cmp_eq_u32_e64 s13, v112, v57
	s_delay_alu instid0(VALU_DEP_2) | instskip(NEXT) | instid1(VALU_DEP_1)
	v_add_nc_u32_e32 v40, -1, v46
	v_cndmask_b32_e64 v112, 0, v40, s13
	v_lshrrev_b32_e32 v40, 23, v43
	s_mov_b32 s13, exec_lo
	s_delay_alu instid0(VALU_DEP_2) | instskip(NEXT) | instid1(VALU_DEP_2)
	v_add_nc_u32_e32 v112, v112, v43
	v_xor_b32_e32 v40, 1, v40
	s_delay_alu instid0(VALU_DEP_2) | instskip(NEXT) | instid1(VALU_DEP_1)
	v_and_b32_e32 v51, 0xfffff, v112
	v_add_nc_u32_e32 v112, v51, v43
                                        ; implicit-def: $vgpr51
	s_delay_alu instid0(VALU_DEP_3)
	v_cmpx_ne_u32_e64 v181, v40
	s_xor_b32 s13, exec_lo, s13
; %bb.4730:                             ;   in Loop: Header=BB6_4010 Depth=4
	s_delay_alu instid0(VALU_DEP_2) | instskip(SKIP_2) | instid1(VALU_DEP_2)
	v_cmp_lt_u32_e32 vcc_lo, 0xffffff, v112
	v_sub_nc_u32_e32 v51, v181, v40
	v_cndmask_b32_e64 v181, 0, 1, vcc_lo
	v_add_co_ci_u32_e32 v51, vcc_lo, 0, v51, vcc_lo
	s_delay_alu instid0(VALU_DEP_2)
	v_lshrrev_b32_e32 v112, v181, v112
; %bb.4731:                             ;   in Loop: Header=BB6_4010 Depth=4
	s_and_not1_saveexec_b32 s13, s13
; %bb.4732:                             ;   in Loop: Header=BB6_4010 Depth=4
	s_delay_alu instid0(VALU_DEP_1)
	v_bfe_u32 v51, v112, 23, 1
; %bb.4733:                             ;   in Loop: Header=BB6_4010 Depth=4
	s_or_b32 exec_lo, exec_lo, s13
	v_lshrrev_b32_e32 v112, 20, v112
	s_delay_alu instid0(VALU_DEP_2) | instskip(SKIP_2) | instid1(VALU_DEP_2)
	v_cmp_gt_i32_e32 vcc_lo, 16, v51
	v_lshrrev_b32_e32 v115, 24, v115
	v_min_i32_e32 v181, 15, v51
	v_dual_cndmask_b32 v112, 7, v112 :: v_dual_and_b32 v115, 0x80, v115
	s_delay_alu instid0(VALU_DEP_2) | instskip(NEXT) | instid1(VALU_DEP_2)
	v_lshlrev_b32_e32 v181, 3, v181
	v_and_b32_e32 v40, 7, v112
	v_or_b32_e32 v51, v51, v112
	s_delay_alu instid0(VALU_DEP_2) | instskip(NEXT) | instid1(VALU_DEP_2)
	v_or3_b32 v112, v181, v115, v40
	v_cmp_ne_u32_e32 vcc_lo, 0, v51
	s_delay_alu instid0(VALU_DEP_2)
	v_cndmask_b32_e32 v51, 0, v112, vcc_lo
.LBB6_4734:                             ;   in Loop: Header=BB6_4010 Depth=4
	s_or_b32 exec_lo, exec_lo, s38
.LBB6_4735:                             ;   in Loop: Header=BB6_4010 Depth=4
	s_delay_alu instid0(SALU_CYCLE_1) | instskip(NEXT) | instid1(SALU_CYCLE_1)
	s_or_b32 exec_lo, exec_lo, s37
	s_and_not1_b32 vcc_lo, exec_lo, s35
	s_cbranch_vccnz .LBB6_4745
; %bb.4736:                             ;   in Loop: Header=BB6_4010 Depth=4
	v_and_b32_e32 v115, 0xff, v49
	s_mov_b32 s13, 0
	s_mov_b32 s38, exec_lo
                                        ; implicit-def: $sgpr37
	s_delay_alu instid0(VALU_DEP_1)
	v_cmpx_lt_i16_e32 0x7f, v115
	s_xor_b32 s38, exec_lo, s38
	s_cbranch_execnz .LBB6_5336
; %bb.4737:                             ;   in Loop: Header=BB6_4010 Depth=4
	s_or_saveexec_b32 s38, s38
	v_mov_b32_e32 v112, s37
	s_xor_b32 exec_lo, exec_lo, s38
	s_cbranch_execnz .LBB6_5339
.LBB6_4738:                             ;   in Loop: Header=BB6_4010 Depth=4
	s_or_b32 exec_lo, exec_lo, s38
	s_and_saveexec_b32 s37, s13
	s_cbranch_execz .LBB6_4740
.LBB6_4739:                             ;   in Loop: Header=BB6_4010 Depth=4
	v_lshrrev_b16 v40, 3, v49
	v_lshlrev_b32_e32 v43, 24, v49
	s_delay_alu instid0(VALU_DEP_2) | instskip(NEXT) | instid1(VALU_DEP_1)
	v_and_b32_e32 v40, 15, v40
	v_cmp_eq_u32_e32 vcc_lo, 0, v40
	v_and_b32_e32 v112, 7, v49
	s_delay_alu instid0(VALU_DEP_1) | instskip(NEXT) | instid1(VALU_DEP_1)
	v_clz_i32_u32_e32 v115, v112
	v_min_u32_e32 v115, 32, v115
	s_delay_alu instid0(VALU_DEP_1) | instskip(SKIP_1) | instid1(VALU_DEP_2)
	v_subrev_nc_u32_e32 v181, 28, v115
	v_sub_nc_u32_e32 v115, 29, v115
	v_lshlrev_b32_e32 v181, v181, v49
	s_delay_alu instid0(VALU_DEP_2) | instskip(NEXT) | instid1(VALU_DEP_2)
	v_cndmask_b32_e32 v115, v40, v115, vcc_lo
	v_and_b32_e32 v181, 7, v181
	s_delay_alu instid0(VALU_DEP_2) | instskip(NEXT) | instid1(VALU_DEP_2)
	v_lshl_add_u32 v115, v115, 23, 0x3b800000
	v_dual_cndmask_b32 v112, v112, v181 :: v_dual_and_b32 v181, 0x80000000, v43
	s_delay_alu instid0(VALU_DEP_1) | instskip(NEXT) | instid1(VALU_DEP_1)
	v_lshlrev_b32_e32 v112, 20, v112
	v_or3_b32 v112, v181, v115, v112
.LBB6_4740:                             ;   in Loop: Header=BB6_4010 Depth=4
	s_or_b32 exec_lo, exec_lo, s37
	s_waitcnt vmcnt(6) lgkmcnt(6)
	v_and_b32_e32 v181, 0xff, v48
	s_mov_b32 s13, 0
	s_mov_b32 s38, exec_lo
                                        ; implicit-def: $sgpr37
	s_delay_alu instid0(VALU_DEP_1)
	v_cmpx_lt_i16_e64 0x7f, v181
	s_xor_b32 s38, exec_lo, s38
	s_cbranch_execnz .LBB6_5340
; %bb.4741:                             ;   in Loop: Header=BB6_4010 Depth=4
	s_or_saveexec_b32 s38, s38
	v_mov_b32_e32 v115, s37
	s_xor_b32 exec_lo, exec_lo, s38
	s_cbranch_execnz .LBB6_5343
.LBB6_4742:                             ;   in Loop: Header=BB6_4010 Depth=4
	s_or_b32 exec_lo, exec_lo, s38
	s_and_saveexec_b32 s37, s13
	s_cbranch_execz .LBB6_4744
.LBB6_4743:                             ;   in Loop: Header=BB6_4010 Depth=4
	v_and_b32_e32 v115, 7, v48
	v_lshrrev_b16 v43, 3, v48
	v_lshlrev_b32_e32 v46, 24, v48
	s_delay_alu instid0(VALU_DEP_3) | instskip(NEXT) | instid1(VALU_DEP_3)
	v_clz_i32_u32_e32 v181, v115
	v_and_b32_e32 v43, 15, v43
	s_delay_alu instid0(VALU_DEP_2) | instskip(NEXT) | instid1(VALU_DEP_2)
	v_min_u32_e32 v181, 32, v181
	v_cmp_eq_u32_e32 vcc_lo, 0, v43
	s_delay_alu instid0(VALU_DEP_2) | instskip(SKIP_1) | instid1(VALU_DEP_1)
	v_subrev_nc_u32_e32 v40, 28, v181
	v_sub_nc_u32_e32 v181, 29, v181
	v_dual_cndmask_b32 v181, v43, v181 :: v_dual_lshlrev_b32 v40, v40, v48
	s_delay_alu instid0(VALU_DEP_1) | instskip(NEXT) | instid1(VALU_DEP_2)
	v_and_b32_e32 v40, 7, v40
	v_lshl_add_u32 v181, v181, 23, 0x3b800000
	s_delay_alu instid0(VALU_DEP_2) | instskip(NEXT) | instid1(VALU_DEP_1)
	v_dual_cndmask_b32 v115, v115, v40 :: v_dual_and_b32 v40, 0x80000000, v46
	v_lshlrev_b32_e32 v115, 20, v115
	s_delay_alu instid0(VALU_DEP_1)
	v_or3_b32 v115, v40, v181, v115
.LBB6_4744:                             ;   in Loop: Header=BB6_4010 Depth=4
	s_or_b32 exec_lo, exec_lo, s37
	s_delay_alu instid0(VALU_DEP_1) | instskip(SKIP_1) | instid1(VALU_DEP_1)
	v_dual_max_f32 v115, v115, v115 :: v_dual_max_f32 v112, v112, v112
	s_mov_b32 s13, 0
	v_max_f32_e32 v112, v112, v115
	s_branch .LBB6_4746
.LBB6_4745:                             ;   in Loop: Header=BB6_4010 Depth=4
	s_mov_b32 s13, -1
                                        ; implicit-def: $vgpr112
.LBB6_4746:                             ;   in Loop: Header=BB6_4010 Depth=4
	s_delay_alu instid0(SALU_CYCLE_1)
	s_and_b32 vcc_lo, exec_lo, s13
	s_cbranch_vccz .LBB6_4756
; %bb.4747:                             ;   in Loop: Header=BB6_4010 Depth=4
	v_and_b32_e32 v115, 0xff, v49
	s_mov_b32 s13, 0
	s_mov_b32 s38, exec_lo
                                        ; implicit-def: $sgpr37
	s_delay_alu instid0(VALU_DEP_1)
	v_cmpx_lt_i16_e32 0x7f, v115
	s_xor_b32 s38, exec_lo, s38
	s_cbranch_execnz .LBB6_5344
; %bb.4748:                             ;   in Loop: Header=BB6_4010 Depth=4
	s_or_saveexec_b32 s38, s38
	v_mov_b32_e32 v112, s37
	s_xor_b32 exec_lo, exec_lo, s38
	s_cbranch_execnz .LBB6_5347
.LBB6_4749:                             ;   in Loop: Header=BB6_4010 Depth=4
	s_or_b32 exec_lo, exec_lo, s38
	s_and_saveexec_b32 s37, s13
	s_cbranch_execz .LBB6_4751
.LBB6_4750:                             ;   in Loop: Header=BB6_4010 Depth=4
	v_lshrrev_b16 v40, 3, v49
	s_delay_alu instid0(VALU_DEP_1) | instskip(NEXT) | instid1(VALU_DEP_1)
	v_and_b32_e32 v40, 15, v40
	v_cmp_eq_u32_e32 vcc_lo, 0, v40
	v_and_b32_e32 v112, 7, v49
	s_delay_alu instid0(VALU_DEP_1) | instskip(NEXT) | instid1(VALU_DEP_1)
	v_clz_i32_u32_e32 v115, v112
	v_min_u32_e32 v115, 32, v115
	s_delay_alu instid0(VALU_DEP_1) | instskip(SKIP_1) | instid1(VALU_DEP_2)
	v_subrev_nc_u32_e32 v181, 28, v115
	v_sub_nc_u32_e32 v115, 29, v115
	v_lshlrev_b32_e32 v181, v181, v49
	s_delay_alu instid0(VALU_DEP_2) | instskip(SKIP_1) | instid1(VALU_DEP_3)
	v_cndmask_b32_e32 v115, v40, v115, vcc_lo
	v_lshlrev_b32_e32 v49, 24, v49
	v_and_b32_e32 v181, 7, v181
	s_delay_alu instid0(VALU_DEP_3) | instskip(NEXT) | instid1(VALU_DEP_3)
	v_lshl_add_u32 v115, v115, 23, 0x3b800000
	v_and_b32_e32 v49, 0x80000000, v49
	s_delay_alu instid0(VALU_DEP_3) | instskip(NEXT) | instid1(VALU_DEP_1)
	v_cndmask_b32_e32 v112, v112, v181, vcc_lo
	v_lshlrev_b32_e32 v112, 20, v112
	s_delay_alu instid0(VALU_DEP_1)
	v_or3_b32 v112, v49, v115, v112
.LBB6_4751:                             ;   in Loop: Header=BB6_4010 Depth=4
	s_or_b32 exec_lo, exec_lo, s37
	s_waitcnt vmcnt(6) lgkmcnt(6)
	v_and_b32_e32 v115, 0xff, v48
	s_mov_b32 s13, 0
	s_mov_b32 s38, exec_lo
                                        ; implicit-def: $sgpr37
	s_delay_alu instid0(VALU_DEP_1)
	v_cmpx_lt_i16_e32 0x7f, v115
	s_xor_b32 s38, exec_lo, s38
	s_cbranch_execnz .LBB6_5348
; %bb.4752:                             ;   in Loop: Header=BB6_4010 Depth=4
	s_or_saveexec_b32 s38, s38
	v_mov_b32_e32 v49, s37
	s_xor_b32 exec_lo, exec_lo, s38
	s_cbranch_execnz .LBB6_5351
.LBB6_4753:                             ;   in Loop: Header=BB6_4010 Depth=4
	s_or_b32 exec_lo, exec_lo, s38
	s_and_saveexec_b32 s37, s13
	s_cbranch_execz .LBB6_4755
.LBB6_4754:                             ;   in Loop: Header=BB6_4010 Depth=4
	v_and_b32_e32 v49, 7, v48
	v_lshrrev_b16 v40, 3, v48
	s_delay_alu instid0(VALU_DEP_2) | instskip(NEXT) | instid1(VALU_DEP_1)
	v_clz_i32_u32_e32 v115, v49
	v_min_u32_e32 v115, 32, v115
	s_delay_alu instid0(VALU_DEP_1) | instskip(SKIP_1) | instid1(VALU_DEP_2)
	v_subrev_nc_u32_e32 v181, 28, v115
	v_sub_nc_u32_e32 v115, 29, v115
	v_lshlrev_b32_e32 v181, v181, v48
	s_delay_alu instid0(VALU_DEP_1) | instskip(SKIP_1) | instid1(VALU_DEP_1)
	v_and_b32_e32 v181, 7, v181
	v_and_b32_e32 v40, 15, v40
	v_cmp_eq_u32_e32 vcc_lo, 0, v40
	s_delay_alu instid0(VALU_DEP_3) | instskip(SKIP_1) | instid1(VALU_DEP_2)
	v_dual_cndmask_b32 v49, v49, v181 :: v_dual_lshlrev_b32 v48, 24, v48
	v_cndmask_b32_e32 v115, v40, v115, vcc_lo
	v_lshlrev_b32_e32 v49, 20, v49
	s_delay_alu instid0(VALU_DEP_3) | instskip(NEXT) | instid1(VALU_DEP_3)
	v_and_b32_e32 v48, 0x80000000, v48
	v_lshl_add_u32 v115, v115, 23, 0x3b800000
	s_delay_alu instid0(VALU_DEP_1)
	v_or3_b32 v49, v48, v115, v49
.LBB6_4755:                             ;   in Loop: Header=BB6_4010 Depth=4
	s_or_b32 exec_lo, exec_lo, s37
	s_delay_alu instid0(VALU_DEP_1) | instskip(NEXT) | instid1(VALU_DEP_1)
	v_dual_max_f32 v48, v49, v49 :: v_dual_max_f32 v49, v112, v112
	v_min_f32_e32 v112, v49, v48
.LBB6_4756:                             ;   in Loop: Header=BB6_4010 Depth=4
	s_waitcnt vmcnt(6) lgkmcnt(6)
	s_delay_alu instid0(VALU_DEP_1) | instskip(NEXT) | instid1(VALU_DEP_1)
	v_and_b32_e32 v48, 0x7f800000, v112
	v_cmp_ne_u32_e32 vcc_lo, 0x7f800000, v48
	v_mov_b32_e32 v48, 0x80
	s_and_saveexec_b32 s37, vcc_lo
	s_cbranch_execz .LBB6_4764
; %bb.4757:                             ;   in Loop: Header=BB6_4010 Depth=4
	v_mov_b32_e32 v48, 0
	s_mov_b32 s38, exec_lo
	v_cmpx_ne_u32_e32 0, v112
	s_cbranch_execz .LBB6_4763
; %bb.4758:                             ;   in Loop: Header=BB6_4010 Depth=4
	v_bfe_u32 v48, v112, 23, 8
	v_and_b32_e32 v49, 0x7fffff, v112
	s_delay_alu instid0(VALU_DEP_2) | instskip(SKIP_1) | instid1(VALU_DEP_3)
	v_sub_nc_u32_e32 v115, 0x78, v48
	v_cmp_gt_u32_e32 vcc_lo, 0x79, v48
	v_or_b32_e32 v181, 0x800000, v49
	s_delay_alu instid0(VALU_DEP_3) | instskip(SKIP_2) | instid1(VALU_DEP_3)
	v_cndmask_b32_e32 v115, 0, v115, vcc_lo
	v_cmp_eq_u32_e32 vcc_lo, 0, v48
	v_add_nc_u32_e32 v48, 0xffffff89, v48
	v_cndmask_b32_e64 v115, v115, 0x77, vcc_lo
	v_cndmask_b32_e32 v49, v181, v49, vcc_lo
	s_delay_alu instid0(VALU_DEP_3) | instskip(NEXT) | instid1(VALU_DEP_3)
	v_cndmask_b32_e64 v48, v48, 0xffffff8a, vcc_lo
	v_lshl_add_u32 v181, 0x100000, v115, -1
	s_delay_alu instid0(VALU_DEP_3) | instskip(SKIP_1) | instid1(VALU_DEP_4)
	v_lshrrev_b32_e32 v40, v115, v49
	v_lshlrev_b32_e64 v46, v115, 0x80000
	v_add_nc_u32_e32 v115, v115, v48
	s_delay_alu instid0(VALU_DEP_4) | instskip(NEXT) | instid1(VALU_DEP_4)
	v_and_b32_e32 v49, v181, v49
	v_bfe_u32 v43, v40, 20, 1
	s_delay_alu instid0(VALU_DEP_2) | instskip(NEXT) | instid1(VALU_DEP_2)
	v_cmp_eq_u32_e64 s13, v49, v46
	v_add_nc_u32_e32 v181, -1, v43
	s_delay_alu instid0(VALU_DEP_1) | instskip(SKIP_2) | instid1(VALU_DEP_2)
	v_cndmask_b32_e64 v49, 0, v181, s13
	v_lshrrev_b32_e32 v181, 23, v40
	s_mov_b32 s13, exec_lo
	v_add_nc_u32_e32 v49, v49, v40
	s_delay_alu instid0(VALU_DEP_2) | instskip(NEXT) | instid1(VALU_DEP_2)
	v_xor_b32_e32 v181, 1, v181
	v_and_b32_e32 v48, 0xfffff, v49
	s_delay_alu instid0(VALU_DEP_1) | instskip(NEXT) | instid1(VALU_DEP_3)
	v_add_nc_u32_e32 v49, v48, v40
                                        ; implicit-def: $vgpr48
	v_cmpx_ne_u32_e64 v115, v181
	s_xor_b32 s13, exec_lo, s13
; %bb.4759:                             ;   in Loop: Header=BB6_4010 Depth=4
	s_delay_alu instid0(VALU_DEP_2) | instskip(SKIP_2) | instid1(VALU_DEP_2)
	v_cmp_lt_u32_e32 vcc_lo, 0xffffff, v49
	v_sub_nc_u32_e32 v48, v115, v181
	v_cndmask_b32_e64 v115, 0, 1, vcc_lo
	v_add_co_ci_u32_e32 v48, vcc_lo, 0, v48, vcc_lo
	s_delay_alu instid0(VALU_DEP_2)
	v_lshrrev_b32_e32 v49, v115, v49
; %bb.4760:                             ;   in Loop: Header=BB6_4010 Depth=4
	s_and_not1_saveexec_b32 s13, s13
; %bb.4761:                             ;   in Loop: Header=BB6_4010 Depth=4
	s_delay_alu instid0(VALU_DEP_1)
	v_bfe_u32 v48, v49, 23, 1
; %bb.4762:                             ;   in Loop: Header=BB6_4010 Depth=4
	s_or_b32 exec_lo, exec_lo, s13
	v_lshrrev_b32_e32 v49, 20, v49
	s_delay_alu instid0(VALU_DEP_2) | instskip(SKIP_2) | instid1(VALU_DEP_2)
	v_cmp_gt_i32_e32 vcc_lo, 16, v48
	v_lshrrev_b32_e32 v112, 24, v112
	v_min_i32_e32 v115, 15, v48
	v_dual_cndmask_b32 v49, 7, v49 :: v_dual_and_b32 v112, 0x80, v112
	s_delay_alu instid0(VALU_DEP_1) | instskip(SKIP_1) | instid1(VALU_DEP_2)
	v_or_b32_e32 v48, v48, v49
	v_and_b32_e32 v181, 7, v49
	v_cmp_ne_u32_e32 vcc_lo, 0, v48
	v_lshlrev_b32_e32 v115, 3, v115
	s_delay_alu instid0(VALU_DEP_1) | instskip(NEXT) | instid1(VALU_DEP_1)
	v_or3_b32 v49, v115, v112, v181
	v_cndmask_b32_e32 v48, 0, v49, vcc_lo
.LBB6_4763:                             ;   in Loop: Header=BB6_4010 Depth=4
	s_or_b32 exec_lo, exec_lo, s38
.LBB6_4764:                             ;   in Loop: Header=BB6_4010 Depth=4
	s_delay_alu instid0(SALU_CYCLE_1) | instskip(NEXT) | instid1(SALU_CYCLE_1)
	s_or_b32 exec_lo, exec_lo, s37
	s_and_not1_b32 vcc_lo, exec_lo, s35
	s_cbranch_vccnz .LBB6_4774
; %bb.4765:                             ;   in Loop: Header=BB6_4010 Depth=4
	v_and_b32_e32 v112, 0xff, v38
	s_mov_b32 s13, 0
	s_mov_b32 s38, exec_lo
                                        ; implicit-def: $sgpr37
	s_delay_alu instid0(VALU_DEP_1)
	v_cmpx_lt_i16_e32 0x7f, v112
	s_xor_b32 s38, exec_lo, s38
	s_cbranch_execnz .LBB6_5352
; %bb.4766:                             ;   in Loop: Header=BB6_4010 Depth=4
	s_or_saveexec_b32 s38, s38
	v_mov_b32_e32 v49, s37
	s_xor_b32 exec_lo, exec_lo, s38
	s_cbranch_execnz .LBB6_5355
.LBB6_4767:                             ;   in Loop: Header=BB6_4010 Depth=4
	s_or_b32 exec_lo, exec_lo, s38
	s_and_saveexec_b32 s37, s13
	s_cbranch_execz .LBB6_4769
.LBB6_4768:                             ;   in Loop: Header=BB6_4010 Depth=4
	v_lshrrev_b16 v181, 3, v38
	s_delay_alu instid0(VALU_DEP_1) | instskip(NEXT) | instid1(VALU_DEP_1)
	v_and_b32_e32 v181, 15, v181
	v_cmp_eq_u32_e32 vcc_lo, 0, v181
	v_and_b32_e32 v49, 7, v38
	s_delay_alu instid0(VALU_DEP_1) | instskip(NEXT) | instid1(VALU_DEP_1)
	v_clz_i32_u32_e32 v112, v49
	v_min_u32_e32 v112, 32, v112
	s_delay_alu instid0(VALU_DEP_1) | instskip(SKIP_1) | instid1(VALU_DEP_1)
	v_subrev_nc_u32_e32 v115, 28, v112
	v_sub_nc_u32_e32 v112, 29, v112
	v_dual_cndmask_b32 v112, v181, v112 :: v_dual_lshlrev_b32 v115, v115, v38
	s_delay_alu instid0(VALU_DEP_1) | instskip(SKIP_1) | instid1(VALU_DEP_3)
	v_and_b32_e32 v115, 7, v115
	v_lshlrev_b32_e32 v40, 24, v38
	v_lshl_add_u32 v112, v112, 23, 0x3b800000
	s_delay_alu instid0(VALU_DEP_3) | instskip(NEXT) | instid1(VALU_DEP_3)
	v_cndmask_b32_e32 v49, v49, v115, vcc_lo
	v_and_b32_e32 v115, 0x80000000, v40
	s_delay_alu instid0(VALU_DEP_2) | instskip(NEXT) | instid1(VALU_DEP_1)
	v_lshlrev_b32_e32 v49, 20, v49
	v_or3_b32 v49, v115, v112, v49
.LBB6_4769:                             ;   in Loop: Header=BB6_4010 Depth=4
	s_or_b32 exec_lo, exec_lo, s37
	s_waitcnt vmcnt(5) lgkmcnt(5)
	v_and_b32_e32 v115, 0xff, v37
	s_mov_b32 s13, 0
	s_mov_b32 s38, exec_lo
                                        ; implicit-def: $sgpr37
	s_delay_alu instid0(VALU_DEP_1)
	v_cmpx_lt_i16_e32 0x7f, v115
	s_xor_b32 s38, exec_lo, s38
	s_cbranch_execnz .LBB6_5356
; %bb.4770:                             ;   in Loop: Header=BB6_4010 Depth=4
	s_or_saveexec_b32 s38, s38
	v_mov_b32_e32 v112, s37
	s_xor_b32 exec_lo, exec_lo, s38
	s_cbranch_execnz .LBB6_5359
.LBB6_4771:                             ;   in Loop: Header=BB6_4010 Depth=4
	s_or_b32 exec_lo, exec_lo, s38
	s_and_saveexec_b32 s37, s13
	s_cbranch_execz .LBB6_4773
.LBB6_4772:                             ;   in Loop: Header=BB6_4010 Depth=4
	v_lshrrev_b16 v40, 3, v37
	v_lshlrev_b32_e32 v43, 24, v37
	s_delay_alu instid0(VALU_DEP_2) | instskip(NEXT) | instid1(VALU_DEP_1)
	v_and_b32_e32 v40, 15, v40
	v_cmp_eq_u32_e32 vcc_lo, 0, v40
	v_and_b32_e32 v112, 7, v37
	s_delay_alu instid0(VALU_DEP_1) | instskip(NEXT) | instid1(VALU_DEP_1)
	v_clz_i32_u32_e32 v115, v112
	v_min_u32_e32 v115, 32, v115
	s_delay_alu instid0(VALU_DEP_1) | instskip(SKIP_1) | instid1(VALU_DEP_2)
	v_subrev_nc_u32_e32 v181, 28, v115
	v_sub_nc_u32_e32 v115, 29, v115
	v_lshlrev_b32_e32 v181, v181, v37
	s_delay_alu instid0(VALU_DEP_2) | instskip(NEXT) | instid1(VALU_DEP_2)
	v_cndmask_b32_e32 v115, v40, v115, vcc_lo
	v_and_b32_e32 v181, 7, v181
	s_delay_alu instid0(VALU_DEP_2) | instskip(NEXT) | instid1(VALU_DEP_2)
	v_lshl_add_u32 v115, v115, 23, 0x3b800000
	v_dual_cndmask_b32 v112, v112, v181 :: v_dual_and_b32 v181, 0x80000000, v43
	s_delay_alu instid0(VALU_DEP_1) | instskip(NEXT) | instid1(VALU_DEP_1)
	v_lshlrev_b32_e32 v112, 20, v112
	v_or3_b32 v112, v181, v115, v112
.LBB6_4773:                             ;   in Loop: Header=BB6_4010 Depth=4
	s_or_b32 exec_lo, exec_lo, s37
	s_delay_alu instid0(VALU_DEP_1) | instskip(SKIP_1) | instid1(VALU_DEP_1)
	v_dual_max_f32 v112, v112, v112 :: v_dual_max_f32 v49, v49, v49
	s_mov_b32 s13, 0
	v_max_f32_e32 v49, v49, v112
	s_branch .LBB6_4775
.LBB6_4774:                             ;   in Loop: Header=BB6_4010 Depth=4
	s_mov_b32 s13, -1
                                        ; implicit-def: $vgpr49
.LBB6_4775:                             ;   in Loop: Header=BB6_4010 Depth=4
	s_delay_alu instid0(SALU_CYCLE_1)
	s_and_b32 vcc_lo, exec_lo, s13
	s_cbranch_vccz .LBB6_4785
; %bb.4776:                             ;   in Loop: Header=BB6_4010 Depth=4
	v_and_b32_e32 v112, 0xff, v38
	s_mov_b32 s13, 0
	s_mov_b32 s38, exec_lo
                                        ; implicit-def: $sgpr37
	s_delay_alu instid0(VALU_DEP_1)
	v_cmpx_lt_i16_e32 0x7f, v112
	s_xor_b32 s38, exec_lo, s38
	s_cbranch_execnz .LBB6_5360
; %bb.4777:                             ;   in Loop: Header=BB6_4010 Depth=4
	s_or_saveexec_b32 s38, s38
	v_mov_b32_e32 v49, s37
	s_xor_b32 exec_lo, exec_lo, s38
	s_cbranch_execnz .LBB6_5363
.LBB6_4778:                             ;   in Loop: Header=BB6_4010 Depth=4
	s_or_b32 exec_lo, exec_lo, s38
	s_and_saveexec_b32 s37, s13
	s_cbranch_execz .LBB6_4780
.LBB6_4779:                             ;   in Loop: Header=BB6_4010 Depth=4
	v_lshrrev_b16 v181, 3, v38
	s_delay_alu instid0(VALU_DEP_1) | instskip(NEXT) | instid1(VALU_DEP_1)
	v_and_b32_e32 v181, 15, v181
	v_cmp_eq_u32_e32 vcc_lo, 0, v181
	v_and_b32_e32 v49, 7, v38
	s_delay_alu instid0(VALU_DEP_1) | instskip(NEXT) | instid1(VALU_DEP_1)
	v_clz_i32_u32_e32 v112, v49
	v_min_u32_e32 v112, 32, v112
	s_delay_alu instid0(VALU_DEP_1) | instskip(SKIP_1) | instid1(VALU_DEP_1)
	v_subrev_nc_u32_e32 v115, 28, v112
	v_sub_nc_u32_e32 v112, 29, v112
	v_dual_cndmask_b32 v112, v181, v112 :: v_dual_lshlrev_b32 v115, v115, v38
	s_delay_alu instid0(VALU_DEP_1) | instskip(SKIP_1) | instid1(VALU_DEP_3)
	v_and_b32_e32 v115, 7, v115
	v_lshlrev_b32_e32 v38, 24, v38
	v_lshl_add_u32 v112, v112, 23, 0x3b800000
	s_delay_alu instid0(VALU_DEP_2) | instskip(NEXT) | instid1(VALU_DEP_1)
	v_dual_cndmask_b32 v49, v49, v115 :: v_dual_and_b32 v38, 0x80000000, v38
	v_lshlrev_b32_e32 v49, 20, v49
	s_delay_alu instid0(VALU_DEP_1)
	v_or3_b32 v49, v38, v112, v49
.LBB6_4780:                             ;   in Loop: Header=BB6_4010 Depth=4
	s_or_b32 exec_lo, exec_lo, s37
	s_waitcnt vmcnt(5) lgkmcnt(5)
	v_and_b32_e32 v112, 0xff, v37
	s_mov_b32 s13, 0
	s_mov_b32 s38, exec_lo
                                        ; implicit-def: $sgpr37
	s_delay_alu instid0(VALU_DEP_1)
	v_cmpx_lt_i16_e32 0x7f, v112
	s_xor_b32 s38, exec_lo, s38
	s_cbranch_execnz .LBB6_5364
; %bb.4781:                             ;   in Loop: Header=BB6_4010 Depth=4
	s_or_saveexec_b32 s38, s38
	v_mov_b32_e32 v38, s37
	s_xor_b32 exec_lo, exec_lo, s38
	s_cbranch_execnz .LBB6_5367
.LBB6_4782:                             ;   in Loop: Header=BB6_4010 Depth=4
	s_or_b32 exec_lo, exec_lo, s38
	s_and_saveexec_b32 s37, s13
	s_cbranch_execz .LBB6_4784
.LBB6_4783:                             ;   in Loop: Header=BB6_4010 Depth=4
	v_and_b32_e32 v38, 7, v37
	v_lshrrev_b16 v181, 3, v37
	s_delay_alu instid0(VALU_DEP_2) | instskip(NEXT) | instid1(VALU_DEP_2)
	v_clz_i32_u32_e32 v112, v38
	v_and_b32_e32 v181, 15, v181
	s_delay_alu instid0(VALU_DEP_2) | instskip(NEXT) | instid1(VALU_DEP_2)
	v_min_u32_e32 v112, 32, v112
	v_cmp_eq_u32_e32 vcc_lo, 0, v181
	s_delay_alu instid0(VALU_DEP_2) | instskip(SKIP_1) | instid1(VALU_DEP_1)
	v_subrev_nc_u32_e32 v115, 28, v112
	v_sub_nc_u32_e32 v112, 29, v112
	v_dual_cndmask_b32 v112, v181, v112 :: v_dual_lshlrev_b32 v115, v115, v37
	v_lshlrev_b32_e32 v37, 24, v37
	s_delay_alu instid0(VALU_DEP_2) | instskip(NEXT) | instid1(VALU_DEP_3)
	v_and_b32_e32 v115, 7, v115
	v_lshl_add_u32 v112, v112, 23, 0x3b800000
	s_delay_alu instid0(VALU_DEP_2) | instskip(NEXT) | instid1(VALU_DEP_1)
	v_dual_cndmask_b32 v38, v38, v115 :: v_dual_and_b32 v37, 0x80000000, v37
	v_lshlrev_b32_e32 v38, 20, v38
	s_delay_alu instid0(VALU_DEP_1)
	v_or3_b32 v38, v37, v112, v38
.LBB6_4784:                             ;   in Loop: Header=BB6_4010 Depth=4
	s_or_b32 exec_lo, exec_lo, s37
	s_delay_alu instid0(VALU_DEP_1) | instskip(NEXT) | instid1(VALU_DEP_1)
	v_dual_max_f32 v37, v38, v38 :: v_dual_max_f32 v38, v49, v49
	v_min_f32_e32 v49, v38, v37
.LBB6_4785:                             ;   in Loop: Header=BB6_4010 Depth=4
	s_waitcnt vmcnt(5) lgkmcnt(5)
	s_delay_alu instid0(VALU_DEP_1) | instskip(NEXT) | instid1(VALU_DEP_1)
	v_and_b32_e32 v37, 0x7f800000, v49
	v_cmp_ne_u32_e32 vcc_lo, 0x7f800000, v37
	v_mov_b32_e32 v37, 0x80
	s_and_saveexec_b32 s37, vcc_lo
	s_cbranch_execz .LBB6_4793
; %bb.4786:                             ;   in Loop: Header=BB6_4010 Depth=4
	v_mov_b32_e32 v37, 0
	s_mov_b32 s38, exec_lo
	v_cmpx_ne_u32_e32 0, v49
	s_cbranch_execz .LBB6_4792
; %bb.4787:                             ;   in Loop: Header=BB6_4010 Depth=4
	v_bfe_u32 v37, v49, 23, 8
	v_and_b32_e32 v38, 0x7fffff, v49
	s_delay_alu instid0(VALU_DEP_2) | instskip(SKIP_1) | instid1(VALU_DEP_3)
	v_sub_nc_u32_e32 v112, 0x78, v37
	v_cmp_gt_u32_e32 vcc_lo, 0x79, v37
	v_or_b32_e32 v115, 0x800000, v38
	s_delay_alu instid0(VALU_DEP_3) | instskip(SKIP_2) | instid1(VALU_DEP_3)
	v_cndmask_b32_e32 v112, 0, v112, vcc_lo
	v_cmp_eq_u32_e32 vcc_lo, 0, v37
	v_add_nc_u32_e32 v37, 0xffffff89, v37
	v_cndmask_b32_e64 v112, v112, 0x77, vcc_lo
	v_cndmask_b32_e32 v38, v115, v38, vcc_lo
	s_delay_alu instid0(VALU_DEP_3) | instskip(NEXT) | instid1(VALU_DEP_3)
	v_cndmask_b32_e64 v37, v37, 0xffffff8a, vcc_lo
	v_lshl_add_u32 v115, 0x100000, v112, -1
	s_delay_alu instid0(VALU_DEP_3) | instskip(SKIP_1) | instid1(VALU_DEP_4)
	v_lshrrev_b32_e32 v181, v112, v38
	v_lshlrev_b32_e64 v43, v112, 0x80000
	v_add_nc_u32_e32 v112, v112, v37
	s_delay_alu instid0(VALU_DEP_4) | instskip(NEXT) | instid1(VALU_DEP_4)
	v_and_b32_e32 v38, v115, v38
	v_bfe_u32 v40, v181, 20, 1
	s_delay_alu instid0(VALU_DEP_2) | instskip(NEXT) | instid1(VALU_DEP_2)
	v_cmp_eq_u32_e64 s13, v38, v43
	v_add_nc_u32_e32 v115, -1, v40
	s_delay_alu instid0(VALU_DEP_1) | instskip(SKIP_2) | instid1(VALU_DEP_2)
	v_cndmask_b32_e64 v38, 0, v115, s13
	v_lshrrev_b32_e32 v115, 23, v181
	s_mov_b32 s13, exec_lo
	v_add_nc_u32_e32 v38, v38, v181
	s_delay_alu instid0(VALU_DEP_2) | instskip(NEXT) | instid1(VALU_DEP_2)
	v_xor_b32_e32 v115, 1, v115
	v_and_b32_e32 v37, 0xfffff, v38
	s_delay_alu instid0(VALU_DEP_1) | instskip(NEXT) | instid1(VALU_DEP_3)
	v_add_nc_u32_e32 v38, v37, v181
                                        ; implicit-def: $vgpr37
	v_cmpx_ne_u32_e64 v112, v115
	s_xor_b32 s13, exec_lo, s13
; %bb.4788:                             ;   in Loop: Header=BB6_4010 Depth=4
	s_delay_alu instid0(VALU_DEP_2) | instskip(SKIP_2) | instid1(VALU_DEP_2)
	v_cmp_lt_u32_e32 vcc_lo, 0xffffff, v38
	v_sub_nc_u32_e32 v37, v112, v115
	v_cndmask_b32_e64 v112, 0, 1, vcc_lo
	v_add_co_ci_u32_e32 v37, vcc_lo, 0, v37, vcc_lo
	s_delay_alu instid0(VALU_DEP_2)
	v_lshrrev_b32_e32 v38, v112, v38
; %bb.4789:                             ;   in Loop: Header=BB6_4010 Depth=4
	s_and_not1_saveexec_b32 s13, s13
; %bb.4790:                             ;   in Loop: Header=BB6_4010 Depth=4
	s_delay_alu instid0(VALU_DEP_1)
	v_bfe_u32 v37, v38, 23, 1
; %bb.4791:                             ;   in Loop: Header=BB6_4010 Depth=4
	s_or_b32 exec_lo, exec_lo, s13
	v_lshrrev_b32_e32 v38, 20, v38
	s_delay_alu instid0(VALU_DEP_2) | instskip(SKIP_2) | instid1(VALU_DEP_2)
	v_cmp_gt_i32_e32 vcc_lo, 16, v37
	v_lshrrev_b32_e32 v49, 24, v49
	v_min_i32_e32 v112, 15, v37
	v_dual_cndmask_b32 v38, 7, v38 :: v_dual_and_b32 v49, 0x80, v49
	s_delay_alu instid0(VALU_DEP_1) | instskip(SKIP_1) | instid1(VALU_DEP_2)
	v_or_b32_e32 v37, v37, v38
	v_and_b32_e32 v115, 7, v38
	v_cmp_ne_u32_e32 vcc_lo, 0, v37
	v_lshlrev_b32_e32 v112, 3, v112
	s_delay_alu instid0(VALU_DEP_1) | instskip(NEXT) | instid1(VALU_DEP_1)
	v_or3_b32 v38, v112, v49, v115
	v_cndmask_b32_e32 v37, 0, v38, vcc_lo
.LBB6_4792:                             ;   in Loop: Header=BB6_4010 Depth=4
	s_or_b32 exec_lo, exec_lo, s38
.LBB6_4793:                             ;   in Loop: Header=BB6_4010 Depth=4
	s_delay_alu instid0(SALU_CYCLE_1) | instskip(NEXT) | instid1(SALU_CYCLE_1)
	s_or_b32 exec_lo, exec_lo, s37
	s_and_not1_b32 vcc_lo, exec_lo, s35
	s_cbranch_vccnz .LBB6_4803
; %bb.4794:                             ;   in Loop: Header=BB6_4010 Depth=4
	v_and_b32_e32 v49, 0xff, v35
	s_mov_b32 s13, 0
	s_mov_b32 s38, exec_lo
                                        ; implicit-def: $sgpr37
	s_delay_alu instid0(VALU_DEP_1)
	v_cmpx_lt_i16_e32 0x7f, v49
	s_xor_b32 s38, exec_lo, s38
	s_cbranch_execnz .LBB6_5368
; %bb.4795:                             ;   in Loop: Header=BB6_4010 Depth=4
	s_or_saveexec_b32 s38, s38
	v_mov_b32_e32 v38, s37
	s_xor_b32 exec_lo, exec_lo, s38
	s_cbranch_execnz .LBB6_5371
.LBB6_4796:                             ;   in Loop: Header=BB6_4010 Depth=4
	s_or_b32 exec_lo, exec_lo, s38
	s_and_saveexec_b32 s37, s13
	s_cbranch_execz .LBB6_4798
.LBB6_4797:                             ;   in Loop: Header=BB6_4010 Depth=4
	v_lshrrev_b16 v115, 3, v35
	v_lshlrev_b32_e32 v181, 24, v35
	s_delay_alu instid0(VALU_DEP_2) | instskip(NEXT) | instid1(VALU_DEP_1)
	v_and_b32_e32 v115, 15, v115
	v_cmp_eq_u32_e32 vcc_lo, 0, v115
	v_and_b32_e32 v38, 7, v35
	s_delay_alu instid0(VALU_DEP_1) | instskip(NEXT) | instid1(VALU_DEP_1)
	v_clz_i32_u32_e32 v49, v38
	v_min_u32_e32 v49, 32, v49
	s_delay_alu instid0(VALU_DEP_1) | instskip(SKIP_1) | instid1(VALU_DEP_1)
	v_subrev_nc_u32_e32 v112, 28, v49
	v_sub_nc_u32_e32 v49, 29, v49
	v_dual_cndmask_b32 v49, v115, v49 :: v_dual_lshlrev_b32 v112, v112, v35
	s_delay_alu instid0(VALU_DEP_1) | instskip(NEXT) | instid1(VALU_DEP_2)
	v_and_b32_e32 v112, 7, v112
	v_lshl_add_u32 v49, v49, 23, 0x3b800000
	s_delay_alu instid0(VALU_DEP_2) | instskip(SKIP_1) | instid1(VALU_DEP_2)
	v_cndmask_b32_e32 v38, v38, v112, vcc_lo
	v_and_b32_e32 v112, 0x80000000, v181
	v_lshlrev_b32_e32 v38, 20, v38
	s_delay_alu instid0(VALU_DEP_1)
	v_or3_b32 v38, v112, v49, v38
.LBB6_4798:                             ;   in Loop: Header=BB6_4010 Depth=4
	s_or_b32 exec_lo, exec_lo, s37
	s_waitcnt vmcnt(4) lgkmcnt(4)
	v_and_b32_e32 v112, 0xff, v34
	s_mov_b32 s13, 0
	s_mov_b32 s38, exec_lo
                                        ; implicit-def: $sgpr37
	s_delay_alu instid0(VALU_DEP_1)
	v_cmpx_lt_i16_e32 0x7f, v112
	s_xor_b32 s38, exec_lo, s38
	s_cbranch_execnz .LBB6_5372
; %bb.4799:                             ;   in Loop: Header=BB6_4010 Depth=4
	s_or_saveexec_b32 s38, s38
	v_mov_b32_e32 v49, s37
	s_xor_b32 exec_lo, exec_lo, s38
	s_cbranch_execnz .LBB6_5375
.LBB6_4800:                             ;   in Loop: Header=BB6_4010 Depth=4
	s_or_b32 exec_lo, exec_lo, s38
	s_and_saveexec_b32 s37, s13
	s_cbranch_execz .LBB6_4802
.LBB6_4801:                             ;   in Loop: Header=BB6_4010 Depth=4
	v_lshrrev_b16 v181, 3, v34
	s_delay_alu instid0(VALU_DEP_1) | instskip(NEXT) | instid1(VALU_DEP_1)
	v_and_b32_e32 v181, 15, v181
	v_cmp_eq_u32_e32 vcc_lo, 0, v181
	v_and_b32_e32 v49, 7, v34
	s_delay_alu instid0(VALU_DEP_1) | instskip(NEXT) | instid1(VALU_DEP_1)
	v_clz_i32_u32_e32 v112, v49
	v_min_u32_e32 v112, 32, v112
	s_delay_alu instid0(VALU_DEP_1) | instskip(SKIP_1) | instid1(VALU_DEP_1)
	v_subrev_nc_u32_e32 v115, 28, v112
	v_sub_nc_u32_e32 v112, 29, v112
	v_dual_cndmask_b32 v112, v181, v112 :: v_dual_lshlrev_b32 v115, v115, v34
	s_delay_alu instid0(VALU_DEP_1) | instskip(SKIP_1) | instid1(VALU_DEP_3)
	v_and_b32_e32 v115, 7, v115
	v_lshlrev_b32_e32 v40, 24, v34
	v_lshl_add_u32 v112, v112, 23, 0x3b800000
	s_delay_alu instid0(VALU_DEP_3) | instskip(NEXT) | instid1(VALU_DEP_3)
	v_cndmask_b32_e32 v49, v49, v115, vcc_lo
	v_and_b32_e32 v115, 0x80000000, v40
	s_delay_alu instid0(VALU_DEP_2) | instskip(NEXT) | instid1(VALU_DEP_1)
	v_lshlrev_b32_e32 v49, 20, v49
	v_or3_b32 v49, v115, v112, v49
.LBB6_4802:                             ;   in Loop: Header=BB6_4010 Depth=4
	s_or_b32 exec_lo, exec_lo, s37
	s_delay_alu instid0(VALU_DEP_1) | instskip(SKIP_1) | instid1(VALU_DEP_1)
	v_dual_max_f32 v49, v49, v49 :: v_dual_max_f32 v38, v38, v38
	s_mov_b32 s13, 0
	v_max_f32_e32 v38, v38, v49
	s_branch .LBB6_4804
.LBB6_4803:                             ;   in Loop: Header=BB6_4010 Depth=4
	s_mov_b32 s13, -1
                                        ; implicit-def: $vgpr38
.LBB6_4804:                             ;   in Loop: Header=BB6_4010 Depth=4
	s_delay_alu instid0(SALU_CYCLE_1)
	s_and_b32 vcc_lo, exec_lo, s13
	s_cbranch_vccz .LBB6_4814
; %bb.4805:                             ;   in Loop: Header=BB6_4010 Depth=4
	v_and_b32_e32 v49, 0xff, v35
	s_mov_b32 s13, 0
	s_mov_b32 s38, exec_lo
                                        ; implicit-def: $sgpr37
	s_delay_alu instid0(VALU_DEP_1)
	v_cmpx_lt_i16_e32 0x7f, v49
	s_xor_b32 s38, exec_lo, s38
	s_cbranch_execnz .LBB6_5376
; %bb.4806:                             ;   in Loop: Header=BB6_4010 Depth=4
	s_or_saveexec_b32 s38, s38
	v_mov_b32_e32 v38, s37
	s_xor_b32 exec_lo, exec_lo, s38
	s_cbranch_execnz .LBB6_5379
.LBB6_4807:                             ;   in Loop: Header=BB6_4010 Depth=4
	s_or_b32 exec_lo, exec_lo, s38
	s_and_saveexec_b32 s37, s13
	s_cbranch_execz .LBB6_4809
.LBB6_4808:                             ;   in Loop: Header=BB6_4010 Depth=4
	v_lshrrev_b16 v115, 3, v35
	s_delay_alu instid0(VALU_DEP_1) | instskip(NEXT) | instid1(VALU_DEP_1)
	v_and_b32_e32 v115, 15, v115
	v_cmp_eq_u32_e32 vcc_lo, 0, v115
	v_and_b32_e32 v38, 7, v35
	s_delay_alu instid0(VALU_DEP_1) | instskip(NEXT) | instid1(VALU_DEP_1)
	v_clz_i32_u32_e32 v49, v38
	v_min_u32_e32 v49, 32, v49
	s_delay_alu instid0(VALU_DEP_1) | instskip(SKIP_1) | instid1(VALU_DEP_1)
	v_subrev_nc_u32_e32 v112, 28, v49
	v_sub_nc_u32_e32 v49, 29, v49
	v_dual_cndmask_b32 v49, v115, v49 :: v_dual_lshlrev_b32 v112, v112, v35
	v_lshlrev_b32_e32 v35, 24, v35
	s_delay_alu instid0(VALU_DEP_2) | instskip(NEXT) | instid1(VALU_DEP_3)
	v_and_b32_e32 v112, 7, v112
	v_lshl_add_u32 v49, v49, 23, 0x3b800000
	s_delay_alu instid0(VALU_DEP_2) | instskip(NEXT) | instid1(VALU_DEP_1)
	v_dual_cndmask_b32 v38, v38, v112 :: v_dual_and_b32 v35, 0x80000000, v35
	v_lshlrev_b32_e32 v38, 20, v38
	s_delay_alu instid0(VALU_DEP_1)
	v_or3_b32 v38, v35, v49, v38
.LBB6_4809:                             ;   in Loop: Header=BB6_4010 Depth=4
	s_or_b32 exec_lo, exec_lo, s37
	s_waitcnt vmcnt(4) lgkmcnt(4)
	v_and_b32_e32 v49, 0xff, v34
	s_mov_b32 s13, 0
	s_mov_b32 s38, exec_lo
                                        ; implicit-def: $sgpr37
	s_delay_alu instid0(VALU_DEP_1)
	v_cmpx_lt_i16_e32 0x7f, v49
	s_xor_b32 s38, exec_lo, s38
	s_cbranch_execnz .LBB6_5380
; %bb.4810:                             ;   in Loop: Header=BB6_4010 Depth=4
	s_or_saveexec_b32 s38, s38
	v_mov_b32_e32 v35, s37
	s_xor_b32 exec_lo, exec_lo, s38
	s_cbranch_execnz .LBB6_5383
.LBB6_4811:                             ;   in Loop: Header=BB6_4010 Depth=4
	s_or_b32 exec_lo, exec_lo, s38
	s_and_saveexec_b32 s37, s13
	s_cbranch_execz .LBB6_4813
.LBB6_4812:                             ;   in Loop: Header=BB6_4010 Depth=4
	v_and_b32_e32 v35, 7, v34
	v_lshrrev_b16 v115, 3, v34
	s_delay_alu instid0(VALU_DEP_2) | instskip(NEXT) | instid1(VALU_DEP_2)
	v_clz_i32_u32_e32 v49, v35
	v_and_b32_e32 v115, 15, v115
	s_delay_alu instid0(VALU_DEP_2) | instskip(NEXT) | instid1(VALU_DEP_2)
	v_min_u32_e32 v49, 32, v49
	v_cmp_eq_u32_e32 vcc_lo, 0, v115
	s_delay_alu instid0(VALU_DEP_2) | instskip(SKIP_1) | instid1(VALU_DEP_1)
	v_subrev_nc_u32_e32 v112, 28, v49
	v_sub_nc_u32_e32 v49, 29, v49
	v_dual_cndmask_b32 v49, v115, v49 :: v_dual_lshlrev_b32 v112, v112, v34
	s_delay_alu instid0(VALU_DEP_1) | instskip(SKIP_1) | instid1(VALU_DEP_3)
	v_and_b32_e32 v112, 7, v112
	v_lshlrev_b32_e32 v34, 24, v34
	v_lshl_add_u32 v49, v49, 23, 0x3b800000
	s_delay_alu instid0(VALU_DEP_2) | instskip(NEXT) | instid1(VALU_DEP_1)
	v_dual_cndmask_b32 v35, v35, v112 :: v_dual_and_b32 v34, 0x80000000, v34
	v_lshlrev_b32_e32 v35, 20, v35
	s_delay_alu instid0(VALU_DEP_1)
	v_or3_b32 v35, v34, v49, v35
.LBB6_4813:                             ;   in Loop: Header=BB6_4010 Depth=4
	s_or_b32 exec_lo, exec_lo, s37
	s_delay_alu instid0(VALU_DEP_1) | instskip(NEXT) | instid1(VALU_DEP_1)
	v_dual_max_f32 v34, v35, v35 :: v_dual_max_f32 v35, v38, v38
	v_min_f32_e32 v38, v35, v34
.LBB6_4814:                             ;   in Loop: Header=BB6_4010 Depth=4
	s_waitcnt vmcnt(4) lgkmcnt(4)
	s_delay_alu instid0(VALU_DEP_1) | instskip(NEXT) | instid1(VALU_DEP_1)
	v_and_b32_e32 v34, 0x7f800000, v38
	v_cmp_ne_u32_e32 vcc_lo, 0x7f800000, v34
	v_mov_b32_e32 v34, 0x80
	s_and_saveexec_b32 s37, vcc_lo
	s_cbranch_execz .LBB6_4822
; %bb.4815:                             ;   in Loop: Header=BB6_4010 Depth=4
	v_mov_b32_e32 v34, 0
	s_mov_b32 s38, exec_lo
	v_cmpx_ne_u32_e32 0, v38
	s_cbranch_execz .LBB6_4821
; %bb.4816:                             ;   in Loop: Header=BB6_4010 Depth=4
	v_bfe_u32 v34, v38, 23, 8
	v_and_b32_e32 v35, 0x7fffff, v38
	s_delay_alu instid0(VALU_DEP_2) | instskip(SKIP_1) | instid1(VALU_DEP_3)
	v_sub_nc_u32_e32 v49, 0x78, v34
	v_cmp_gt_u32_e32 vcc_lo, 0x79, v34
	v_or_b32_e32 v112, 0x800000, v35
	s_delay_alu instid0(VALU_DEP_3) | instskip(SKIP_2) | instid1(VALU_DEP_3)
	v_cndmask_b32_e32 v49, 0, v49, vcc_lo
	v_cmp_eq_u32_e32 vcc_lo, 0, v34
	v_add_nc_u32_e32 v34, 0xffffff89, v34
	v_cndmask_b32_e64 v49, v49, 0x77, vcc_lo
	v_cndmask_b32_e32 v35, v112, v35, vcc_lo
	s_delay_alu instid0(VALU_DEP_3) | instskip(NEXT) | instid1(VALU_DEP_3)
	v_cndmask_b32_e64 v34, v34, 0xffffff8a, vcc_lo
	v_lshl_add_u32 v112, 0x100000, v49, -1
	s_delay_alu instid0(VALU_DEP_3) | instskip(SKIP_1) | instid1(VALU_DEP_4)
	v_lshrrev_b32_e32 v115, v49, v35
	v_lshlrev_b32_e64 v40, v49, 0x80000
	v_add_nc_u32_e32 v49, v49, v34
	s_delay_alu instid0(VALU_DEP_4) | instskip(NEXT) | instid1(VALU_DEP_4)
	v_and_b32_e32 v35, v112, v35
	v_bfe_u32 v181, v115, 20, 1
	s_delay_alu instid0(VALU_DEP_2) | instskip(NEXT) | instid1(VALU_DEP_2)
	v_cmp_eq_u32_e64 s13, v35, v40
	v_add_nc_u32_e32 v112, -1, v181
	s_delay_alu instid0(VALU_DEP_1) | instskip(SKIP_2) | instid1(VALU_DEP_2)
	v_cndmask_b32_e64 v35, 0, v112, s13
	v_lshrrev_b32_e32 v112, 23, v115
	s_mov_b32 s13, exec_lo
	v_add_nc_u32_e32 v35, v35, v115
	s_delay_alu instid0(VALU_DEP_2) | instskip(NEXT) | instid1(VALU_DEP_2)
	v_xor_b32_e32 v112, 1, v112
	v_and_b32_e32 v34, 0xfffff, v35
	s_delay_alu instid0(VALU_DEP_1) | instskip(NEXT) | instid1(VALU_DEP_3)
	v_add_nc_u32_e32 v35, v34, v115
                                        ; implicit-def: $vgpr34
	v_cmpx_ne_u32_e64 v49, v112
	s_xor_b32 s13, exec_lo, s13
; %bb.4817:                             ;   in Loop: Header=BB6_4010 Depth=4
	s_delay_alu instid0(VALU_DEP_2) | instskip(SKIP_2) | instid1(VALU_DEP_2)
	v_cmp_lt_u32_e32 vcc_lo, 0xffffff, v35
	v_sub_nc_u32_e32 v34, v49, v112
	v_cndmask_b32_e64 v49, 0, 1, vcc_lo
	v_add_co_ci_u32_e32 v34, vcc_lo, 0, v34, vcc_lo
	s_delay_alu instid0(VALU_DEP_2)
	v_lshrrev_b32_e32 v35, v49, v35
; %bb.4818:                             ;   in Loop: Header=BB6_4010 Depth=4
	s_and_not1_saveexec_b32 s13, s13
; %bb.4819:                             ;   in Loop: Header=BB6_4010 Depth=4
	s_delay_alu instid0(VALU_DEP_1)
	v_bfe_u32 v34, v35, 23, 1
; %bb.4820:                             ;   in Loop: Header=BB6_4010 Depth=4
	s_or_b32 exec_lo, exec_lo, s13
	v_lshrrev_b32_e32 v35, 20, v35
	s_delay_alu instid0(VALU_DEP_2) | instskip(SKIP_2) | instid1(VALU_DEP_2)
	v_cmp_gt_i32_e32 vcc_lo, 16, v34
	v_lshrrev_b32_e32 v38, 24, v38
	v_min_i32_e32 v49, 15, v34
	v_dual_cndmask_b32 v35, 7, v35 :: v_dual_and_b32 v38, 0x80, v38
	s_delay_alu instid0(VALU_DEP_1) | instskip(SKIP_1) | instid1(VALU_DEP_2)
	v_or_b32_e32 v34, v34, v35
	v_and_b32_e32 v112, 7, v35
	v_cmp_ne_u32_e32 vcc_lo, 0, v34
	v_lshlrev_b32_e32 v49, 3, v49
	s_delay_alu instid0(VALU_DEP_1) | instskip(NEXT) | instid1(VALU_DEP_1)
	v_or3_b32 v35, v49, v38, v112
	v_cndmask_b32_e32 v34, 0, v35, vcc_lo
.LBB6_4821:                             ;   in Loop: Header=BB6_4010 Depth=4
	s_or_b32 exec_lo, exec_lo, s38
.LBB6_4822:                             ;   in Loop: Header=BB6_4010 Depth=4
	s_delay_alu instid0(SALU_CYCLE_1) | instskip(NEXT) | instid1(SALU_CYCLE_1)
	s_or_b32 exec_lo, exec_lo, s37
	s_and_not1_b32 vcc_lo, exec_lo, s35
	s_cbranch_vccnz .LBB6_4832
; %bb.4823:                             ;   in Loop: Header=BB6_4010 Depth=4
	v_and_b32_e32 v38, 0xff, v32
	s_mov_b32 s13, 0
	s_mov_b32 s38, exec_lo
                                        ; implicit-def: $sgpr37
	s_delay_alu instid0(VALU_DEP_1)
	v_cmpx_lt_i16_e32 0x7f, v38
	s_xor_b32 s38, exec_lo, s38
	s_cbranch_execnz .LBB6_5384
; %bb.4824:                             ;   in Loop: Header=BB6_4010 Depth=4
	s_or_saveexec_b32 s38, s38
	v_mov_b32_e32 v35, s37
	s_xor_b32 exec_lo, exec_lo, s38
	s_cbranch_execnz .LBB6_5387
.LBB6_4825:                             ;   in Loop: Header=BB6_4010 Depth=4
	s_or_b32 exec_lo, exec_lo, s38
	s_and_saveexec_b32 s37, s13
	s_cbranch_execz .LBB6_4827
.LBB6_4826:                             ;   in Loop: Header=BB6_4010 Depth=4
	v_lshrrev_b16 v112, 3, v32
	v_lshlrev_b32_e32 v115, 24, v32
	s_delay_alu instid0(VALU_DEP_2) | instskip(NEXT) | instid1(VALU_DEP_1)
	v_and_b32_e32 v112, 15, v112
	v_cmp_eq_u32_e32 vcc_lo, 0, v112
	v_and_b32_e32 v35, 7, v32
	s_delay_alu instid0(VALU_DEP_1) | instskip(NEXT) | instid1(VALU_DEP_1)
	v_clz_i32_u32_e32 v38, v35
	v_min_u32_e32 v38, 32, v38
	s_delay_alu instid0(VALU_DEP_1) | instskip(SKIP_1) | instid1(VALU_DEP_1)
	v_subrev_nc_u32_e32 v49, 28, v38
	v_sub_nc_u32_e32 v38, 29, v38
	v_dual_cndmask_b32 v38, v112, v38 :: v_dual_lshlrev_b32 v49, v49, v32
	s_delay_alu instid0(VALU_DEP_1) | instskip(NEXT) | instid1(VALU_DEP_2)
	v_and_b32_e32 v49, 7, v49
	v_lshl_add_u32 v38, v38, 23, 0x3b800000
	s_delay_alu instid0(VALU_DEP_2) | instskip(SKIP_1) | instid1(VALU_DEP_2)
	v_cndmask_b32_e32 v35, v35, v49, vcc_lo
	v_and_b32_e32 v49, 0x80000000, v115
	v_lshlrev_b32_e32 v35, 20, v35
	s_delay_alu instid0(VALU_DEP_1)
	v_or3_b32 v35, v49, v38, v35
.LBB6_4827:                             ;   in Loop: Header=BB6_4010 Depth=4
	s_or_b32 exec_lo, exec_lo, s37
	s_waitcnt vmcnt(3) lgkmcnt(3)
	v_and_b32_e32 v49, 0xff, v27
	s_mov_b32 s13, 0
	s_mov_b32 s38, exec_lo
                                        ; implicit-def: $sgpr37
	s_delay_alu instid0(VALU_DEP_1)
	v_cmpx_lt_i16_e32 0x7f, v49
	s_xor_b32 s38, exec_lo, s38
	s_cbranch_execnz .LBB6_5388
; %bb.4828:                             ;   in Loop: Header=BB6_4010 Depth=4
	s_or_saveexec_b32 s38, s38
	v_mov_b32_e32 v38, s37
	s_xor_b32 exec_lo, exec_lo, s38
	s_cbranch_execnz .LBB6_5391
.LBB6_4829:                             ;   in Loop: Header=BB6_4010 Depth=4
	s_or_b32 exec_lo, exec_lo, s38
	s_and_saveexec_b32 s37, s13
	s_cbranch_execz .LBB6_4831
.LBB6_4830:                             ;   in Loop: Header=BB6_4010 Depth=4
	v_lshrrev_b16 v115, 3, v27
	v_lshlrev_b32_e32 v181, 24, v27
	s_delay_alu instid0(VALU_DEP_2) | instskip(NEXT) | instid1(VALU_DEP_1)
	v_and_b32_e32 v115, 15, v115
	v_cmp_eq_u32_e32 vcc_lo, 0, v115
	v_and_b32_e32 v38, 7, v27
	s_delay_alu instid0(VALU_DEP_1) | instskip(NEXT) | instid1(VALU_DEP_1)
	v_clz_i32_u32_e32 v49, v38
	v_min_u32_e32 v49, 32, v49
	s_delay_alu instid0(VALU_DEP_1) | instskip(SKIP_1) | instid1(VALU_DEP_1)
	v_subrev_nc_u32_e32 v112, 28, v49
	v_sub_nc_u32_e32 v49, 29, v49
	v_dual_cndmask_b32 v49, v115, v49 :: v_dual_lshlrev_b32 v112, v112, v27
	s_delay_alu instid0(VALU_DEP_1) | instskip(NEXT) | instid1(VALU_DEP_2)
	v_and_b32_e32 v112, 7, v112
	v_lshl_add_u32 v49, v49, 23, 0x3b800000
	s_delay_alu instid0(VALU_DEP_2) | instskip(SKIP_1) | instid1(VALU_DEP_2)
	v_cndmask_b32_e32 v38, v38, v112, vcc_lo
	v_and_b32_e32 v112, 0x80000000, v181
	v_lshlrev_b32_e32 v38, 20, v38
	s_delay_alu instid0(VALU_DEP_1)
	v_or3_b32 v38, v112, v49, v38
.LBB6_4831:                             ;   in Loop: Header=BB6_4010 Depth=4
	s_or_b32 exec_lo, exec_lo, s37
	s_delay_alu instid0(VALU_DEP_1) | instskip(SKIP_1) | instid1(VALU_DEP_1)
	v_dual_max_f32 v38, v38, v38 :: v_dual_max_f32 v35, v35, v35
	s_mov_b32 s13, 0
	v_max_f32_e32 v35, v35, v38
	s_branch .LBB6_4833
.LBB6_4832:                             ;   in Loop: Header=BB6_4010 Depth=4
	s_mov_b32 s13, -1
                                        ; implicit-def: $vgpr35
.LBB6_4833:                             ;   in Loop: Header=BB6_4010 Depth=4
	s_delay_alu instid0(SALU_CYCLE_1)
	s_and_b32 vcc_lo, exec_lo, s13
	s_cbranch_vccz .LBB6_4843
; %bb.4834:                             ;   in Loop: Header=BB6_4010 Depth=4
	v_and_b32_e32 v38, 0xff, v32
	s_mov_b32 s13, 0
	s_mov_b32 s38, exec_lo
                                        ; implicit-def: $sgpr37
	s_delay_alu instid0(VALU_DEP_1)
	v_cmpx_lt_i16_e32 0x7f, v38
	s_xor_b32 s38, exec_lo, s38
	s_cbranch_execnz .LBB6_5392
; %bb.4835:                             ;   in Loop: Header=BB6_4010 Depth=4
	s_or_saveexec_b32 s38, s38
	v_mov_b32_e32 v35, s37
	s_xor_b32 exec_lo, exec_lo, s38
	s_cbranch_execnz .LBB6_5395
.LBB6_4836:                             ;   in Loop: Header=BB6_4010 Depth=4
	s_or_b32 exec_lo, exec_lo, s38
	s_and_saveexec_b32 s37, s13
	s_cbranch_execz .LBB6_4838
.LBB6_4837:                             ;   in Loop: Header=BB6_4010 Depth=4
	v_lshrrev_b16 v112, 3, v32
	s_delay_alu instid0(VALU_DEP_1) | instskip(NEXT) | instid1(VALU_DEP_1)
	v_and_b32_e32 v112, 15, v112
	v_cmp_eq_u32_e32 vcc_lo, 0, v112
	v_and_b32_e32 v35, 7, v32
	s_delay_alu instid0(VALU_DEP_1) | instskip(NEXT) | instid1(VALU_DEP_1)
	v_clz_i32_u32_e32 v38, v35
	v_min_u32_e32 v38, 32, v38
	s_delay_alu instid0(VALU_DEP_1) | instskip(SKIP_1) | instid1(VALU_DEP_1)
	v_subrev_nc_u32_e32 v49, 28, v38
	v_sub_nc_u32_e32 v38, 29, v38
	v_dual_cndmask_b32 v38, v112, v38 :: v_dual_lshlrev_b32 v49, v49, v32
	v_lshlrev_b32_e32 v32, 24, v32
	s_delay_alu instid0(VALU_DEP_2) | instskip(NEXT) | instid1(VALU_DEP_3)
	v_and_b32_e32 v49, 7, v49
	v_lshl_add_u32 v38, v38, 23, 0x3b800000
	s_delay_alu instid0(VALU_DEP_2) | instskip(NEXT) | instid1(VALU_DEP_1)
	v_dual_cndmask_b32 v35, v35, v49 :: v_dual_and_b32 v32, 0x80000000, v32
	v_lshlrev_b32_e32 v35, 20, v35
	s_delay_alu instid0(VALU_DEP_1)
	v_or3_b32 v35, v32, v38, v35
.LBB6_4838:                             ;   in Loop: Header=BB6_4010 Depth=4
	s_or_b32 exec_lo, exec_lo, s37
	s_waitcnt vmcnt(3) lgkmcnt(3)
	v_and_b32_e32 v38, 0xff, v27
	s_mov_b32 s13, 0
	s_mov_b32 s38, exec_lo
                                        ; implicit-def: $sgpr37
	s_delay_alu instid0(VALU_DEP_1)
	v_cmpx_lt_i16_e32 0x7f, v38
	s_xor_b32 s38, exec_lo, s38
	s_cbranch_execnz .LBB6_5396
; %bb.4839:                             ;   in Loop: Header=BB6_4010 Depth=4
	s_or_saveexec_b32 s38, s38
	v_mov_b32_e32 v32, s37
	s_xor_b32 exec_lo, exec_lo, s38
	s_cbranch_execnz .LBB6_5399
.LBB6_4840:                             ;   in Loop: Header=BB6_4010 Depth=4
	s_or_b32 exec_lo, exec_lo, s38
	s_and_saveexec_b32 s37, s13
	s_cbranch_execz .LBB6_4842
.LBB6_4841:                             ;   in Loop: Header=BB6_4010 Depth=4
	v_and_b32_e32 v32, 7, v27
	v_lshrrev_b16 v112, 3, v27
	s_delay_alu instid0(VALU_DEP_2) | instskip(NEXT) | instid1(VALU_DEP_2)
	v_clz_i32_u32_e32 v38, v32
	v_and_b32_e32 v112, 15, v112
	s_delay_alu instid0(VALU_DEP_2) | instskip(NEXT) | instid1(VALU_DEP_2)
	v_min_u32_e32 v38, 32, v38
	v_cmp_eq_u32_e32 vcc_lo, 0, v112
	s_delay_alu instid0(VALU_DEP_2) | instskip(SKIP_1) | instid1(VALU_DEP_1)
	v_subrev_nc_u32_e32 v49, 28, v38
	v_sub_nc_u32_e32 v38, 29, v38
	v_dual_cndmask_b32 v38, v112, v38 :: v_dual_lshlrev_b32 v49, v49, v27
	s_delay_alu instid0(VALU_DEP_1) | instskip(SKIP_1) | instid1(VALU_DEP_3)
	v_and_b32_e32 v49, 7, v49
	v_lshlrev_b32_e32 v27, 24, v27
	v_lshl_add_u32 v38, v38, 23, 0x3b800000
	s_delay_alu instid0(VALU_DEP_2) | instskip(NEXT) | instid1(VALU_DEP_1)
	v_dual_cndmask_b32 v32, v32, v49 :: v_dual_and_b32 v27, 0x80000000, v27
	v_lshlrev_b32_e32 v32, 20, v32
	s_delay_alu instid0(VALU_DEP_1)
	v_or3_b32 v32, v27, v38, v32
.LBB6_4842:                             ;   in Loop: Header=BB6_4010 Depth=4
	s_or_b32 exec_lo, exec_lo, s37
	s_delay_alu instid0(VALU_DEP_1) | instskip(NEXT) | instid1(VALU_DEP_1)
	v_dual_max_f32 v27, v32, v32 :: v_dual_max_f32 v32, v35, v35
	v_min_f32_e32 v35, v32, v27
.LBB6_4843:                             ;   in Loop: Header=BB6_4010 Depth=4
	s_waitcnt vmcnt(3) lgkmcnt(3)
	s_delay_alu instid0(VALU_DEP_1) | instskip(NEXT) | instid1(VALU_DEP_1)
	v_and_b32_e32 v27, 0x7f800000, v35
	v_cmp_ne_u32_e32 vcc_lo, 0x7f800000, v27
	v_mov_b32_e32 v27, 0x80
	s_and_saveexec_b32 s37, vcc_lo
	s_cbranch_execz .LBB6_4851
; %bb.4844:                             ;   in Loop: Header=BB6_4010 Depth=4
	v_mov_b32_e32 v27, 0
	s_mov_b32 s38, exec_lo
	v_cmpx_ne_u32_e32 0, v35
	s_cbranch_execz .LBB6_4850
; %bb.4845:                             ;   in Loop: Header=BB6_4010 Depth=4
	v_bfe_u32 v27, v35, 23, 8
	v_and_b32_e32 v32, 0x7fffff, v35
	s_delay_alu instid0(VALU_DEP_2) | instskip(SKIP_1) | instid1(VALU_DEP_3)
	v_sub_nc_u32_e32 v38, 0x78, v27
	v_cmp_gt_u32_e32 vcc_lo, 0x79, v27
	v_or_b32_e32 v49, 0x800000, v32
	s_delay_alu instid0(VALU_DEP_3) | instskip(SKIP_2) | instid1(VALU_DEP_3)
	v_cndmask_b32_e32 v38, 0, v38, vcc_lo
	v_cmp_eq_u32_e32 vcc_lo, 0, v27
	v_add_nc_u32_e32 v27, 0xffffff89, v27
	v_cndmask_b32_e64 v38, v38, 0x77, vcc_lo
	v_cndmask_b32_e32 v32, v49, v32, vcc_lo
	s_delay_alu instid0(VALU_DEP_3) | instskip(NEXT) | instid1(VALU_DEP_3)
	v_cndmask_b32_e64 v27, v27, 0xffffff8a, vcc_lo
	v_lshl_add_u32 v49, 0x100000, v38, -1
	s_delay_alu instid0(VALU_DEP_3) | instskip(SKIP_1) | instid1(VALU_DEP_4)
	v_lshrrev_b32_e32 v112, v38, v32
	v_lshlrev_b32_e64 v181, v38, 0x80000
	v_add_nc_u32_e32 v38, v38, v27
	s_delay_alu instid0(VALU_DEP_4) | instskip(NEXT) | instid1(VALU_DEP_4)
	v_and_b32_e32 v32, v49, v32
	v_bfe_u32 v115, v112, 20, 1
	s_delay_alu instid0(VALU_DEP_2) | instskip(NEXT) | instid1(VALU_DEP_2)
	v_cmp_eq_u32_e64 s13, v32, v181
	v_add_nc_u32_e32 v49, -1, v115
	s_delay_alu instid0(VALU_DEP_1) | instskip(SKIP_2) | instid1(VALU_DEP_2)
	v_cndmask_b32_e64 v32, 0, v49, s13
	v_lshrrev_b32_e32 v49, 23, v112
	s_mov_b32 s13, exec_lo
	v_add_nc_u32_e32 v32, v32, v112
	s_delay_alu instid0(VALU_DEP_2) | instskip(NEXT) | instid1(VALU_DEP_2)
	v_xor_b32_e32 v49, 1, v49
	v_and_b32_e32 v27, 0xfffff, v32
	s_delay_alu instid0(VALU_DEP_1) | instskip(NEXT) | instid1(VALU_DEP_3)
	v_add_nc_u32_e32 v32, v27, v112
                                        ; implicit-def: $vgpr27
	v_cmpx_ne_u32_e64 v38, v49
	s_xor_b32 s13, exec_lo, s13
; %bb.4846:                             ;   in Loop: Header=BB6_4010 Depth=4
	s_delay_alu instid0(VALU_DEP_2) | instskip(SKIP_2) | instid1(VALU_DEP_2)
	v_cmp_lt_u32_e32 vcc_lo, 0xffffff, v32
	v_sub_nc_u32_e32 v27, v38, v49
	v_cndmask_b32_e64 v38, 0, 1, vcc_lo
	v_add_co_ci_u32_e32 v27, vcc_lo, 0, v27, vcc_lo
	s_delay_alu instid0(VALU_DEP_2)
	v_lshrrev_b32_e32 v32, v38, v32
; %bb.4847:                             ;   in Loop: Header=BB6_4010 Depth=4
	s_and_not1_saveexec_b32 s13, s13
; %bb.4848:                             ;   in Loop: Header=BB6_4010 Depth=4
	s_delay_alu instid0(VALU_DEP_1)
	v_bfe_u32 v27, v32, 23, 1
; %bb.4849:                             ;   in Loop: Header=BB6_4010 Depth=4
	s_or_b32 exec_lo, exec_lo, s13
	v_lshrrev_b32_e32 v32, 20, v32
	s_delay_alu instid0(VALU_DEP_2) | instskip(SKIP_2) | instid1(VALU_DEP_2)
	v_cmp_gt_i32_e32 vcc_lo, 16, v27
	v_lshrrev_b32_e32 v35, 24, v35
	v_min_i32_e32 v38, 15, v27
	v_dual_cndmask_b32 v32, 7, v32 :: v_dual_and_b32 v35, 0x80, v35
	s_delay_alu instid0(VALU_DEP_1) | instskip(SKIP_1) | instid1(VALU_DEP_2)
	v_or_b32_e32 v27, v27, v32
	v_and_b32_e32 v49, 7, v32
	v_cmp_ne_u32_e32 vcc_lo, 0, v27
	v_lshlrev_b32_e32 v38, 3, v38
	s_delay_alu instid0(VALU_DEP_1) | instskip(NEXT) | instid1(VALU_DEP_1)
	v_or3_b32 v32, v38, v35, v49
	v_cndmask_b32_e32 v27, 0, v32, vcc_lo
.LBB6_4850:                             ;   in Loop: Header=BB6_4010 Depth=4
	s_or_b32 exec_lo, exec_lo, s38
.LBB6_4851:                             ;   in Loop: Header=BB6_4010 Depth=4
	s_delay_alu instid0(SALU_CYCLE_1) | instskip(NEXT) | instid1(SALU_CYCLE_1)
	s_or_b32 exec_lo, exec_lo, s37
	s_and_not1_b32 vcc_lo, exec_lo, s35
	s_cbranch_vccnz .LBB6_4861
; %bb.4852:                             ;   in Loop: Header=BB6_4010 Depth=4
	v_and_b32_e32 v35, 0xff, v25
	s_mov_b32 s13, 0
	s_mov_b32 s38, exec_lo
                                        ; implicit-def: $sgpr37
	s_delay_alu instid0(VALU_DEP_1)
	v_cmpx_lt_i16_e32 0x7f, v35
	s_xor_b32 s38, exec_lo, s38
	s_cbranch_execnz .LBB6_5400
; %bb.4853:                             ;   in Loop: Header=BB6_4010 Depth=4
	s_or_saveexec_b32 s38, s38
	v_mov_b32_e32 v32, s37
	s_xor_b32 exec_lo, exec_lo, s38
	s_cbranch_execnz .LBB6_5403
.LBB6_4854:                             ;   in Loop: Header=BB6_4010 Depth=4
	s_or_b32 exec_lo, exec_lo, s38
	s_and_saveexec_b32 s37, s13
	s_cbranch_execz .LBB6_4856
.LBB6_4855:                             ;   in Loop: Header=BB6_4010 Depth=4
	v_lshrrev_b16 v49, 3, v25
	v_lshlrev_b32_e32 v112, 24, v25
	s_delay_alu instid0(VALU_DEP_2) | instskip(NEXT) | instid1(VALU_DEP_1)
	v_and_b32_e32 v49, 15, v49
	v_cmp_eq_u32_e32 vcc_lo, 0, v49
	v_and_b32_e32 v32, 7, v25
	s_delay_alu instid0(VALU_DEP_1) | instskip(NEXT) | instid1(VALU_DEP_1)
	v_clz_i32_u32_e32 v35, v32
	v_min_u32_e32 v35, 32, v35
	s_delay_alu instid0(VALU_DEP_1) | instskip(SKIP_1) | instid1(VALU_DEP_1)
	v_subrev_nc_u32_e32 v38, 28, v35
	v_sub_nc_u32_e32 v35, 29, v35
	v_dual_cndmask_b32 v35, v49, v35 :: v_dual_lshlrev_b32 v38, v38, v25
	s_delay_alu instid0(VALU_DEP_1) | instskip(NEXT) | instid1(VALU_DEP_2)
	v_and_b32_e32 v38, 7, v38
	v_lshl_add_u32 v35, v35, 23, 0x3b800000
	s_delay_alu instid0(VALU_DEP_2) | instskip(SKIP_1) | instid1(VALU_DEP_2)
	v_cndmask_b32_e32 v32, v32, v38, vcc_lo
	v_and_b32_e32 v38, 0x80000000, v112
	v_lshlrev_b32_e32 v32, 20, v32
	s_delay_alu instid0(VALU_DEP_1)
	v_or3_b32 v32, v38, v35, v32
.LBB6_4856:                             ;   in Loop: Header=BB6_4010 Depth=4
	s_or_b32 exec_lo, exec_lo, s37
	s_waitcnt vmcnt(2) lgkmcnt(2)
	v_and_b32_e32 v38, 0xff, v24
	s_mov_b32 s13, 0
	s_mov_b32 s38, exec_lo
                                        ; implicit-def: $sgpr37
	s_delay_alu instid0(VALU_DEP_1)
	v_cmpx_lt_i16_e32 0x7f, v38
	s_xor_b32 s38, exec_lo, s38
	s_cbranch_execnz .LBB6_5404
; %bb.4857:                             ;   in Loop: Header=BB6_4010 Depth=4
	s_or_saveexec_b32 s38, s38
	v_mov_b32_e32 v35, s37
	s_xor_b32 exec_lo, exec_lo, s38
	s_cbranch_execnz .LBB6_5407
.LBB6_4858:                             ;   in Loop: Header=BB6_4010 Depth=4
	s_or_b32 exec_lo, exec_lo, s38
	s_and_saveexec_b32 s37, s13
	s_cbranch_execz .LBB6_4860
.LBB6_4859:                             ;   in Loop: Header=BB6_4010 Depth=4
	v_lshrrev_b16 v112, 3, v24
	v_lshlrev_b32_e32 v115, 24, v24
	s_delay_alu instid0(VALU_DEP_2) | instskip(NEXT) | instid1(VALU_DEP_1)
	v_and_b32_e32 v112, 15, v112
	v_cmp_eq_u32_e32 vcc_lo, 0, v112
	v_and_b32_e32 v35, 7, v24
	s_delay_alu instid0(VALU_DEP_1) | instskip(NEXT) | instid1(VALU_DEP_1)
	v_clz_i32_u32_e32 v38, v35
	v_min_u32_e32 v38, 32, v38
	s_delay_alu instid0(VALU_DEP_1) | instskip(SKIP_1) | instid1(VALU_DEP_1)
	v_subrev_nc_u32_e32 v49, 28, v38
	v_sub_nc_u32_e32 v38, 29, v38
	v_dual_cndmask_b32 v38, v112, v38 :: v_dual_lshlrev_b32 v49, v49, v24
	s_delay_alu instid0(VALU_DEP_1) | instskip(NEXT) | instid1(VALU_DEP_2)
	v_and_b32_e32 v49, 7, v49
	v_lshl_add_u32 v38, v38, 23, 0x3b800000
	s_delay_alu instid0(VALU_DEP_2) | instskip(SKIP_1) | instid1(VALU_DEP_2)
	v_cndmask_b32_e32 v35, v35, v49, vcc_lo
	v_and_b32_e32 v49, 0x80000000, v115
	v_lshlrev_b32_e32 v35, 20, v35
	s_delay_alu instid0(VALU_DEP_1)
	v_or3_b32 v35, v49, v38, v35
.LBB6_4860:                             ;   in Loop: Header=BB6_4010 Depth=4
	s_or_b32 exec_lo, exec_lo, s37
	s_delay_alu instid0(VALU_DEP_1) | instskip(SKIP_1) | instid1(VALU_DEP_1)
	v_dual_max_f32 v35, v35, v35 :: v_dual_max_f32 v32, v32, v32
	s_mov_b32 s13, 0
	v_max_f32_e32 v32, v32, v35
	s_branch .LBB6_4862
.LBB6_4861:                             ;   in Loop: Header=BB6_4010 Depth=4
	s_mov_b32 s13, -1
                                        ; implicit-def: $vgpr32
.LBB6_4862:                             ;   in Loop: Header=BB6_4010 Depth=4
	s_delay_alu instid0(SALU_CYCLE_1)
	s_and_b32 vcc_lo, exec_lo, s13
	s_cbranch_vccz .LBB6_4872
; %bb.4863:                             ;   in Loop: Header=BB6_4010 Depth=4
	v_and_b32_e32 v35, 0xff, v25
	s_mov_b32 s13, 0
	s_mov_b32 s38, exec_lo
                                        ; implicit-def: $sgpr37
	s_delay_alu instid0(VALU_DEP_1)
	v_cmpx_lt_i16_e32 0x7f, v35
	s_xor_b32 s38, exec_lo, s38
	s_cbranch_execnz .LBB6_5408
; %bb.4864:                             ;   in Loop: Header=BB6_4010 Depth=4
	s_or_saveexec_b32 s38, s38
	v_mov_b32_e32 v32, s37
	s_xor_b32 exec_lo, exec_lo, s38
	s_cbranch_execnz .LBB6_5411
.LBB6_4865:                             ;   in Loop: Header=BB6_4010 Depth=4
	s_or_b32 exec_lo, exec_lo, s38
	s_and_saveexec_b32 s37, s13
	s_cbranch_execz .LBB6_4867
.LBB6_4866:                             ;   in Loop: Header=BB6_4010 Depth=4
	v_lshrrev_b16 v49, 3, v25
	s_delay_alu instid0(VALU_DEP_1) | instskip(NEXT) | instid1(VALU_DEP_1)
	v_and_b32_e32 v49, 15, v49
	v_cmp_eq_u32_e32 vcc_lo, 0, v49
	v_and_b32_e32 v32, 7, v25
	s_delay_alu instid0(VALU_DEP_1) | instskip(NEXT) | instid1(VALU_DEP_1)
	v_clz_i32_u32_e32 v35, v32
	v_min_u32_e32 v35, 32, v35
	s_delay_alu instid0(VALU_DEP_1) | instskip(SKIP_1) | instid1(VALU_DEP_1)
	v_subrev_nc_u32_e32 v38, 28, v35
	v_sub_nc_u32_e32 v35, 29, v35
	v_dual_cndmask_b32 v35, v49, v35 :: v_dual_lshlrev_b32 v38, v38, v25
	v_lshlrev_b32_e32 v25, 24, v25
	s_delay_alu instid0(VALU_DEP_2) | instskip(NEXT) | instid1(VALU_DEP_3)
	v_and_b32_e32 v38, 7, v38
	v_lshl_add_u32 v35, v35, 23, 0x3b800000
	s_delay_alu instid0(VALU_DEP_2) | instskip(NEXT) | instid1(VALU_DEP_1)
	v_dual_cndmask_b32 v32, v32, v38 :: v_dual_and_b32 v25, 0x80000000, v25
	v_lshlrev_b32_e32 v32, 20, v32
	s_delay_alu instid0(VALU_DEP_1)
	v_or3_b32 v32, v25, v35, v32
.LBB6_4867:                             ;   in Loop: Header=BB6_4010 Depth=4
	s_or_b32 exec_lo, exec_lo, s37
	s_waitcnt vmcnt(2) lgkmcnt(2)
	v_and_b32_e32 v35, 0xff, v24
	s_mov_b32 s13, 0
	s_mov_b32 s38, exec_lo
                                        ; implicit-def: $sgpr37
	s_delay_alu instid0(VALU_DEP_1)
	v_cmpx_lt_i16_e32 0x7f, v35
	s_xor_b32 s38, exec_lo, s38
	s_cbranch_execnz .LBB6_5412
; %bb.4868:                             ;   in Loop: Header=BB6_4010 Depth=4
	s_or_saveexec_b32 s38, s38
	v_mov_b32_e32 v25, s37
	s_xor_b32 exec_lo, exec_lo, s38
	s_cbranch_execnz .LBB6_5415
.LBB6_4869:                             ;   in Loop: Header=BB6_4010 Depth=4
	s_or_b32 exec_lo, exec_lo, s38
	s_and_saveexec_b32 s37, s13
	s_cbranch_execz .LBB6_4871
.LBB6_4870:                             ;   in Loop: Header=BB6_4010 Depth=4
	v_and_b32_e32 v25, 7, v24
	v_lshrrev_b16 v49, 3, v24
	s_delay_alu instid0(VALU_DEP_2) | instskip(NEXT) | instid1(VALU_DEP_2)
	v_clz_i32_u32_e32 v35, v25
	v_and_b32_e32 v49, 15, v49
	s_delay_alu instid0(VALU_DEP_2) | instskip(NEXT) | instid1(VALU_DEP_2)
	v_min_u32_e32 v35, 32, v35
	v_cmp_eq_u32_e32 vcc_lo, 0, v49
	s_delay_alu instid0(VALU_DEP_2) | instskip(SKIP_1) | instid1(VALU_DEP_1)
	v_subrev_nc_u32_e32 v38, 28, v35
	v_sub_nc_u32_e32 v35, 29, v35
	v_dual_cndmask_b32 v35, v49, v35 :: v_dual_lshlrev_b32 v38, v38, v24
	s_delay_alu instid0(VALU_DEP_1) | instskip(SKIP_1) | instid1(VALU_DEP_3)
	v_and_b32_e32 v38, 7, v38
	v_lshlrev_b32_e32 v24, 24, v24
	v_lshl_add_u32 v35, v35, 23, 0x3b800000
	s_delay_alu instid0(VALU_DEP_2) | instskip(NEXT) | instid1(VALU_DEP_1)
	v_dual_cndmask_b32 v25, v25, v38 :: v_dual_and_b32 v24, 0x80000000, v24
	v_lshlrev_b32_e32 v25, 20, v25
	s_delay_alu instid0(VALU_DEP_1)
	v_or3_b32 v25, v24, v35, v25
.LBB6_4871:                             ;   in Loop: Header=BB6_4010 Depth=4
	s_or_b32 exec_lo, exec_lo, s37
	s_delay_alu instid0(VALU_DEP_1) | instskip(NEXT) | instid1(VALU_DEP_1)
	v_dual_max_f32 v24, v25, v25 :: v_dual_max_f32 v25, v32, v32
	v_min_f32_e32 v32, v25, v24
.LBB6_4872:                             ;   in Loop: Header=BB6_4010 Depth=4
	s_waitcnt vmcnt(2) lgkmcnt(2)
	s_delay_alu instid0(VALU_DEP_1) | instskip(NEXT) | instid1(VALU_DEP_1)
	v_and_b32_e32 v24, 0x7f800000, v32
	v_cmp_ne_u32_e32 vcc_lo, 0x7f800000, v24
	v_mov_b32_e32 v24, 0x80
	s_and_saveexec_b32 s37, vcc_lo
	s_cbranch_execz .LBB6_4880
; %bb.4873:                             ;   in Loop: Header=BB6_4010 Depth=4
	v_mov_b32_e32 v24, 0
	s_mov_b32 s38, exec_lo
	v_cmpx_ne_u32_e32 0, v32
	s_cbranch_execz .LBB6_4879
; %bb.4874:                             ;   in Loop: Header=BB6_4010 Depth=4
	v_bfe_u32 v24, v32, 23, 8
	v_and_b32_e32 v25, 0x7fffff, v32
	s_delay_alu instid0(VALU_DEP_2) | instskip(SKIP_1) | instid1(VALU_DEP_3)
	v_sub_nc_u32_e32 v35, 0x78, v24
	v_cmp_gt_u32_e32 vcc_lo, 0x79, v24
	v_or_b32_e32 v38, 0x800000, v25
	s_delay_alu instid0(VALU_DEP_3) | instskip(SKIP_2) | instid1(VALU_DEP_3)
	v_cndmask_b32_e32 v35, 0, v35, vcc_lo
	v_cmp_eq_u32_e32 vcc_lo, 0, v24
	v_add_nc_u32_e32 v24, 0xffffff89, v24
	v_cndmask_b32_e64 v35, v35, 0x77, vcc_lo
	v_cndmask_b32_e32 v25, v38, v25, vcc_lo
	s_delay_alu instid0(VALU_DEP_3) | instskip(NEXT) | instid1(VALU_DEP_3)
	v_cndmask_b32_e64 v24, v24, 0xffffff8a, vcc_lo
	v_lshl_add_u32 v38, 0x100000, v35, -1
	s_delay_alu instid0(VALU_DEP_3) | instskip(SKIP_1) | instid1(VALU_DEP_4)
	v_lshrrev_b32_e32 v49, v35, v25
	v_lshlrev_b32_e64 v115, v35, 0x80000
	v_add_nc_u32_e32 v35, v35, v24
	s_delay_alu instid0(VALU_DEP_4) | instskip(NEXT) | instid1(VALU_DEP_4)
	v_and_b32_e32 v25, v38, v25
	v_bfe_u32 v112, v49, 20, 1
	s_delay_alu instid0(VALU_DEP_2) | instskip(NEXT) | instid1(VALU_DEP_2)
	v_cmp_eq_u32_e64 s13, v25, v115
	v_add_nc_u32_e32 v38, -1, v112
	s_delay_alu instid0(VALU_DEP_1) | instskip(SKIP_2) | instid1(VALU_DEP_2)
	v_cndmask_b32_e64 v25, 0, v38, s13
	v_lshrrev_b32_e32 v38, 23, v49
	s_mov_b32 s13, exec_lo
	v_add_nc_u32_e32 v25, v25, v49
	s_delay_alu instid0(VALU_DEP_2) | instskip(NEXT) | instid1(VALU_DEP_2)
	v_xor_b32_e32 v38, 1, v38
	v_and_b32_e32 v24, 0xfffff, v25
	s_delay_alu instid0(VALU_DEP_1) | instskip(NEXT) | instid1(VALU_DEP_3)
	v_add_nc_u32_e32 v25, v24, v49
                                        ; implicit-def: $vgpr24
	v_cmpx_ne_u32_e64 v35, v38
	s_xor_b32 s13, exec_lo, s13
; %bb.4875:                             ;   in Loop: Header=BB6_4010 Depth=4
	s_delay_alu instid0(VALU_DEP_2) | instskip(SKIP_2) | instid1(VALU_DEP_2)
	v_cmp_lt_u32_e32 vcc_lo, 0xffffff, v25
	v_sub_nc_u32_e32 v24, v35, v38
	v_cndmask_b32_e64 v35, 0, 1, vcc_lo
	v_add_co_ci_u32_e32 v24, vcc_lo, 0, v24, vcc_lo
	s_delay_alu instid0(VALU_DEP_2)
	v_lshrrev_b32_e32 v25, v35, v25
; %bb.4876:                             ;   in Loop: Header=BB6_4010 Depth=4
	s_and_not1_saveexec_b32 s13, s13
; %bb.4877:                             ;   in Loop: Header=BB6_4010 Depth=4
	s_delay_alu instid0(VALU_DEP_1)
	v_bfe_u32 v24, v25, 23, 1
; %bb.4878:                             ;   in Loop: Header=BB6_4010 Depth=4
	s_or_b32 exec_lo, exec_lo, s13
	v_lshrrev_b32_e32 v25, 20, v25
	s_delay_alu instid0(VALU_DEP_2) | instskip(SKIP_2) | instid1(VALU_DEP_2)
	v_cmp_gt_i32_e32 vcc_lo, 16, v24
	v_lshrrev_b32_e32 v32, 24, v32
	v_min_i32_e32 v35, 15, v24
	v_dual_cndmask_b32 v25, 7, v25 :: v_dual_and_b32 v32, 0x80, v32
	s_delay_alu instid0(VALU_DEP_1) | instskip(SKIP_1) | instid1(VALU_DEP_2)
	v_or_b32_e32 v24, v24, v25
	v_and_b32_e32 v38, 7, v25
	v_cmp_ne_u32_e32 vcc_lo, 0, v24
	v_lshlrev_b32_e32 v35, 3, v35
	s_delay_alu instid0(VALU_DEP_1) | instskip(NEXT) | instid1(VALU_DEP_1)
	v_or3_b32 v25, v35, v32, v38
	v_cndmask_b32_e32 v24, 0, v25, vcc_lo
.LBB6_4879:                             ;   in Loop: Header=BB6_4010 Depth=4
	s_or_b32 exec_lo, exec_lo, s38
.LBB6_4880:                             ;   in Loop: Header=BB6_4010 Depth=4
	s_delay_alu instid0(SALU_CYCLE_1) | instskip(NEXT) | instid1(SALU_CYCLE_1)
	s_or_b32 exec_lo, exec_lo, s37
	s_and_not1_b32 vcc_lo, exec_lo, s35
	s_cbranch_vccnz .LBB6_4890
; %bb.4881:                             ;   in Loop: Header=BB6_4010 Depth=4
	v_and_b32_e32 v32, 0xff, v22
	s_mov_b32 s13, 0
	s_mov_b32 s38, exec_lo
                                        ; implicit-def: $sgpr37
	s_delay_alu instid0(VALU_DEP_1)
	v_cmpx_lt_i16_e32 0x7f, v32
	s_xor_b32 s38, exec_lo, s38
	s_cbranch_execnz .LBB6_5416
; %bb.4882:                             ;   in Loop: Header=BB6_4010 Depth=4
	s_or_saveexec_b32 s38, s38
	v_mov_b32_e32 v25, s37
	s_xor_b32 exec_lo, exec_lo, s38
	s_cbranch_execnz .LBB6_5419
.LBB6_4883:                             ;   in Loop: Header=BB6_4010 Depth=4
	s_or_b32 exec_lo, exec_lo, s38
	s_and_saveexec_b32 s37, s13
	s_cbranch_execz .LBB6_4885
.LBB6_4884:                             ;   in Loop: Header=BB6_4010 Depth=4
	v_lshrrev_b16 v38, 3, v22
	v_lshlrev_b32_e32 v49, 24, v22
	s_delay_alu instid0(VALU_DEP_2) | instskip(NEXT) | instid1(VALU_DEP_1)
	v_and_b32_e32 v38, 15, v38
	v_cmp_eq_u32_e32 vcc_lo, 0, v38
	v_and_b32_e32 v25, 7, v22
	s_delay_alu instid0(VALU_DEP_1) | instskip(NEXT) | instid1(VALU_DEP_1)
	v_clz_i32_u32_e32 v32, v25
	v_min_u32_e32 v32, 32, v32
	s_delay_alu instid0(VALU_DEP_1) | instskip(SKIP_1) | instid1(VALU_DEP_1)
	v_subrev_nc_u32_e32 v35, 28, v32
	v_sub_nc_u32_e32 v32, 29, v32
	v_dual_cndmask_b32 v32, v38, v32 :: v_dual_lshlrev_b32 v35, v35, v22
	s_delay_alu instid0(VALU_DEP_1) | instskip(NEXT) | instid1(VALU_DEP_2)
	v_and_b32_e32 v35, 7, v35
	v_lshl_add_u32 v32, v32, 23, 0x3b800000
	s_delay_alu instid0(VALU_DEP_2) | instskip(SKIP_1) | instid1(VALU_DEP_2)
	v_cndmask_b32_e32 v25, v25, v35, vcc_lo
	v_and_b32_e32 v35, 0x80000000, v49
	v_lshlrev_b32_e32 v25, 20, v25
	s_delay_alu instid0(VALU_DEP_1)
	v_or3_b32 v25, v35, v32, v25
.LBB6_4885:                             ;   in Loop: Header=BB6_4010 Depth=4
	s_or_b32 exec_lo, exec_lo, s37
	s_waitcnt vmcnt(1) lgkmcnt(1)
	v_and_b32_e32 v35, 0xff, v21
	s_mov_b32 s13, 0
	s_mov_b32 s38, exec_lo
                                        ; implicit-def: $sgpr37
	s_delay_alu instid0(VALU_DEP_1)
	v_cmpx_lt_i16_e32 0x7f, v35
	s_xor_b32 s38, exec_lo, s38
	s_cbranch_execnz .LBB6_5420
; %bb.4886:                             ;   in Loop: Header=BB6_4010 Depth=4
	s_or_saveexec_b32 s38, s38
	v_mov_b32_e32 v32, s37
	s_xor_b32 exec_lo, exec_lo, s38
	s_cbranch_execnz .LBB6_5423
.LBB6_4887:                             ;   in Loop: Header=BB6_4010 Depth=4
	s_or_b32 exec_lo, exec_lo, s38
	s_and_saveexec_b32 s37, s13
	s_cbranch_execz .LBB6_4889
.LBB6_4888:                             ;   in Loop: Header=BB6_4010 Depth=4
	v_lshrrev_b16 v49, 3, v21
	v_lshlrev_b32_e32 v112, 24, v21
	s_delay_alu instid0(VALU_DEP_2) | instskip(NEXT) | instid1(VALU_DEP_1)
	v_and_b32_e32 v49, 15, v49
	v_cmp_eq_u32_e32 vcc_lo, 0, v49
	v_and_b32_e32 v32, 7, v21
	s_delay_alu instid0(VALU_DEP_1) | instskip(NEXT) | instid1(VALU_DEP_1)
	v_clz_i32_u32_e32 v35, v32
	v_min_u32_e32 v35, 32, v35
	s_delay_alu instid0(VALU_DEP_1) | instskip(SKIP_1) | instid1(VALU_DEP_1)
	v_subrev_nc_u32_e32 v38, 28, v35
	v_sub_nc_u32_e32 v35, 29, v35
	v_dual_cndmask_b32 v35, v49, v35 :: v_dual_lshlrev_b32 v38, v38, v21
	s_delay_alu instid0(VALU_DEP_1) | instskip(NEXT) | instid1(VALU_DEP_2)
	v_and_b32_e32 v38, 7, v38
	v_lshl_add_u32 v35, v35, 23, 0x3b800000
	s_delay_alu instid0(VALU_DEP_2) | instskip(SKIP_1) | instid1(VALU_DEP_2)
	v_cndmask_b32_e32 v32, v32, v38, vcc_lo
	v_and_b32_e32 v38, 0x80000000, v112
	v_lshlrev_b32_e32 v32, 20, v32
	s_delay_alu instid0(VALU_DEP_1)
	v_or3_b32 v32, v38, v35, v32
.LBB6_4889:                             ;   in Loop: Header=BB6_4010 Depth=4
	s_or_b32 exec_lo, exec_lo, s37
	s_delay_alu instid0(VALU_DEP_1) | instskip(SKIP_1) | instid1(VALU_DEP_1)
	v_dual_max_f32 v32, v32, v32 :: v_dual_max_f32 v25, v25, v25
	s_mov_b32 s13, 0
	v_max_f32_e32 v25, v25, v32
	s_branch .LBB6_4891
.LBB6_4890:                             ;   in Loop: Header=BB6_4010 Depth=4
	s_mov_b32 s13, -1
                                        ; implicit-def: $vgpr25
.LBB6_4891:                             ;   in Loop: Header=BB6_4010 Depth=4
	s_delay_alu instid0(SALU_CYCLE_1)
	s_and_b32 vcc_lo, exec_lo, s13
	s_cbranch_vccz .LBB6_4901
; %bb.4892:                             ;   in Loop: Header=BB6_4010 Depth=4
	v_and_b32_e32 v32, 0xff, v22
	s_mov_b32 s13, 0
	s_mov_b32 s38, exec_lo
                                        ; implicit-def: $sgpr37
	s_delay_alu instid0(VALU_DEP_1)
	v_cmpx_lt_i16_e32 0x7f, v32
	s_xor_b32 s38, exec_lo, s38
	s_cbranch_execnz .LBB6_5424
; %bb.4893:                             ;   in Loop: Header=BB6_4010 Depth=4
	s_or_saveexec_b32 s38, s38
	v_mov_b32_e32 v25, s37
	s_xor_b32 exec_lo, exec_lo, s38
	s_cbranch_execnz .LBB6_5427
.LBB6_4894:                             ;   in Loop: Header=BB6_4010 Depth=4
	s_or_b32 exec_lo, exec_lo, s38
	s_and_saveexec_b32 s37, s13
	s_cbranch_execz .LBB6_4896
.LBB6_4895:                             ;   in Loop: Header=BB6_4010 Depth=4
	v_lshrrev_b16 v38, 3, v22
	s_delay_alu instid0(VALU_DEP_1) | instskip(NEXT) | instid1(VALU_DEP_1)
	v_and_b32_e32 v38, 15, v38
	v_cmp_eq_u32_e32 vcc_lo, 0, v38
	v_and_b32_e32 v25, 7, v22
	s_delay_alu instid0(VALU_DEP_1) | instskip(NEXT) | instid1(VALU_DEP_1)
	v_clz_i32_u32_e32 v32, v25
	v_min_u32_e32 v32, 32, v32
	s_delay_alu instid0(VALU_DEP_1) | instskip(SKIP_1) | instid1(VALU_DEP_1)
	v_subrev_nc_u32_e32 v35, 28, v32
	v_sub_nc_u32_e32 v32, 29, v32
	v_dual_cndmask_b32 v32, v38, v32 :: v_dual_lshlrev_b32 v35, v35, v22
	v_lshlrev_b32_e32 v22, 24, v22
	s_delay_alu instid0(VALU_DEP_2) | instskip(NEXT) | instid1(VALU_DEP_3)
	v_and_b32_e32 v35, 7, v35
	v_lshl_add_u32 v32, v32, 23, 0x3b800000
	s_delay_alu instid0(VALU_DEP_2) | instskip(NEXT) | instid1(VALU_DEP_1)
	v_dual_cndmask_b32 v25, v25, v35 :: v_dual_and_b32 v22, 0x80000000, v22
	v_lshlrev_b32_e32 v25, 20, v25
	s_delay_alu instid0(VALU_DEP_1)
	v_or3_b32 v25, v22, v32, v25
.LBB6_4896:                             ;   in Loop: Header=BB6_4010 Depth=4
	s_or_b32 exec_lo, exec_lo, s37
	s_waitcnt vmcnt(1) lgkmcnt(1)
	v_and_b32_e32 v32, 0xff, v21
	s_mov_b32 s13, 0
	s_mov_b32 s38, exec_lo
                                        ; implicit-def: $sgpr37
	s_delay_alu instid0(VALU_DEP_1)
	v_cmpx_lt_i16_e32 0x7f, v32
	s_xor_b32 s38, exec_lo, s38
	s_cbranch_execnz .LBB6_5428
; %bb.4897:                             ;   in Loop: Header=BB6_4010 Depth=4
	s_or_saveexec_b32 s38, s38
	v_mov_b32_e32 v22, s37
	s_xor_b32 exec_lo, exec_lo, s38
	s_cbranch_execnz .LBB6_5431
.LBB6_4898:                             ;   in Loop: Header=BB6_4010 Depth=4
	s_or_b32 exec_lo, exec_lo, s38
	s_and_saveexec_b32 s37, s13
	s_cbranch_execz .LBB6_4900
.LBB6_4899:                             ;   in Loop: Header=BB6_4010 Depth=4
	v_and_b32_e32 v22, 7, v21
	v_lshrrev_b16 v38, 3, v21
	s_delay_alu instid0(VALU_DEP_2) | instskip(NEXT) | instid1(VALU_DEP_2)
	v_clz_i32_u32_e32 v32, v22
	v_and_b32_e32 v38, 15, v38
	s_delay_alu instid0(VALU_DEP_2) | instskip(NEXT) | instid1(VALU_DEP_2)
	v_min_u32_e32 v32, 32, v32
	v_cmp_eq_u32_e32 vcc_lo, 0, v38
	s_delay_alu instid0(VALU_DEP_2) | instskip(SKIP_1) | instid1(VALU_DEP_1)
	v_subrev_nc_u32_e32 v35, 28, v32
	v_sub_nc_u32_e32 v32, 29, v32
	v_dual_cndmask_b32 v32, v38, v32 :: v_dual_lshlrev_b32 v35, v35, v21
	s_delay_alu instid0(VALU_DEP_1) | instskip(SKIP_1) | instid1(VALU_DEP_3)
	v_and_b32_e32 v35, 7, v35
	v_lshlrev_b32_e32 v21, 24, v21
	v_lshl_add_u32 v32, v32, 23, 0x3b800000
	s_delay_alu instid0(VALU_DEP_2) | instskip(NEXT) | instid1(VALU_DEP_1)
	v_dual_cndmask_b32 v22, v22, v35 :: v_dual_and_b32 v21, 0x80000000, v21
	v_lshlrev_b32_e32 v22, 20, v22
	s_delay_alu instid0(VALU_DEP_1)
	v_or3_b32 v22, v21, v32, v22
.LBB6_4900:                             ;   in Loop: Header=BB6_4010 Depth=4
	s_or_b32 exec_lo, exec_lo, s37
	s_delay_alu instid0(VALU_DEP_1) | instskip(NEXT) | instid1(VALU_DEP_1)
	v_dual_max_f32 v21, v22, v22 :: v_dual_max_f32 v22, v25, v25
	v_min_f32_e32 v25, v22, v21
.LBB6_4901:                             ;   in Loop: Header=BB6_4010 Depth=4
	s_waitcnt vmcnt(1) lgkmcnt(1)
	s_delay_alu instid0(VALU_DEP_1) | instskip(NEXT) | instid1(VALU_DEP_1)
	v_and_b32_e32 v21, 0x7f800000, v25
	v_cmp_ne_u32_e32 vcc_lo, 0x7f800000, v21
	v_mov_b32_e32 v21, 0x80
	s_and_saveexec_b32 s37, vcc_lo
	s_cbranch_execz .LBB6_4909
; %bb.4902:                             ;   in Loop: Header=BB6_4010 Depth=4
	v_mov_b32_e32 v21, 0
	s_mov_b32 s38, exec_lo
	v_cmpx_ne_u32_e32 0, v25
	s_cbranch_execz .LBB6_4908
; %bb.4903:                             ;   in Loop: Header=BB6_4010 Depth=4
	v_bfe_u32 v21, v25, 23, 8
	v_and_b32_e32 v22, 0x7fffff, v25
	s_delay_alu instid0(VALU_DEP_2) | instskip(SKIP_1) | instid1(VALU_DEP_3)
	v_sub_nc_u32_e32 v32, 0x78, v21
	v_cmp_gt_u32_e32 vcc_lo, 0x79, v21
	v_or_b32_e32 v35, 0x800000, v22
	s_delay_alu instid0(VALU_DEP_3) | instskip(SKIP_2) | instid1(VALU_DEP_3)
	v_cndmask_b32_e32 v32, 0, v32, vcc_lo
	v_cmp_eq_u32_e32 vcc_lo, 0, v21
	v_add_nc_u32_e32 v21, 0xffffff89, v21
	v_cndmask_b32_e64 v32, v32, 0x77, vcc_lo
	v_cndmask_b32_e32 v22, v35, v22, vcc_lo
	s_delay_alu instid0(VALU_DEP_3) | instskip(NEXT) | instid1(VALU_DEP_3)
	v_cndmask_b32_e64 v21, v21, 0xffffff8a, vcc_lo
	v_lshl_add_u32 v35, 0x100000, v32, -1
	s_delay_alu instid0(VALU_DEP_3) | instskip(SKIP_1) | instid1(VALU_DEP_4)
	v_lshrrev_b32_e32 v38, v32, v22
	v_lshlrev_b32_e64 v112, v32, 0x80000
	v_add_nc_u32_e32 v32, v32, v21
	s_delay_alu instid0(VALU_DEP_4) | instskip(NEXT) | instid1(VALU_DEP_4)
	v_and_b32_e32 v22, v35, v22
	v_bfe_u32 v49, v38, 20, 1
	s_delay_alu instid0(VALU_DEP_2) | instskip(NEXT) | instid1(VALU_DEP_2)
	v_cmp_eq_u32_e64 s13, v22, v112
	v_add_nc_u32_e32 v35, -1, v49
	s_delay_alu instid0(VALU_DEP_1) | instskip(SKIP_2) | instid1(VALU_DEP_2)
	v_cndmask_b32_e64 v22, 0, v35, s13
	v_lshrrev_b32_e32 v35, 23, v38
	s_mov_b32 s13, exec_lo
	v_add_nc_u32_e32 v22, v22, v38
	s_delay_alu instid0(VALU_DEP_2) | instskip(NEXT) | instid1(VALU_DEP_2)
	v_xor_b32_e32 v35, 1, v35
	v_and_b32_e32 v21, 0xfffff, v22
	s_delay_alu instid0(VALU_DEP_1) | instskip(NEXT) | instid1(VALU_DEP_3)
	v_add_nc_u32_e32 v22, v21, v38
                                        ; implicit-def: $vgpr21
	v_cmpx_ne_u32_e64 v32, v35
	s_xor_b32 s13, exec_lo, s13
; %bb.4904:                             ;   in Loop: Header=BB6_4010 Depth=4
	s_delay_alu instid0(VALU_DEP_2) | instskip(SKIP_2) | instid1(VALU_DEP_2)
	v_cmp_lt_u32_e32 vcc_lo, 0xffffff, v22
	v_sub_nc_u32_e32 v21, v32, v35
	v_cndmask_b32_e64 v32, 0, 1, vcc_lo
	v_add_co_ci_u32_e32 v21, vcc_lo, 0, v21, vcc_lo
	s_delay_alu instid0(VALU_DEP_2)
	v_lshrrev_b32_e32 v22, v32, v22
; %bb.4905:                             ;   in Loop: Header=BB6_4010 Depth=4
	s_and_not1_saveexec_b32 s13, s13
; %bb.4906:                             ;   in Loop: Header=BB6_4010 Depth=4
	s_delay_alu instid0(VALU_DEP_1)
	v_bfe_u32 v21, v22, 23, 1
; %bb.4907:                             ;   in Loop: Header=BB6_4010 Depth=4
	s_or_b32 exec_lo, exec_lo, s13
	v_lshrrev_b32_e32 v22, 20, v22
	s_delay_alu instid0(VALU_DEP_2) | instskip(SKIP_2) | instid1(VALU_DEP_2)
	v_cmp_gt_i32_e32 vcc_lo, 16, v21
	v_lshrrev_b32_e32 v25, 24, v25
	v_min_i32_e32 v32, 15, v21
	v_dual_cndmask_b32 v22, 7, v22 :: v_dual_and_b32 v25, 0x80, v25
	s_delay_alu instid0(VALU_DEP_1) | instskip(SKIP_1) | instid1(VALU_DEP_2)
	v_or_b32_e32 v21, v21, v22
	v_and_b32_e32 v35, 7, v22
	v_cmp_ne_u32_e32 vcc_lo, 0, v21
	v_lshlrev_b32_e32 v32, 3, v32
	s_delay_alu instid0(VALU_DEP_1) | instskip(NEXT) | instid1(VALU_DEP_1)
	v_or3_b32 v22, v32, v25, v35
	v_cndmask_b32_e32 v21, 0, v22, vcc_lo
.LBB6_4908:                             ;   in Loop: Header=BB6_4010 Depth=4
	s_or_b32 exec_lo, exec_lo, s38
.LBB6_4909:                             ;   in Loop: Header=BB6_4010 Depth=4
	s_delay_alu instid0(SALU_CYCLE_1) | instskip(NEXT) | instid1(SALU_CYCLE_1)
	s_or_b32 exec_lo, exec_lo, s37
	s_and_not1_b32 vcc_lo, exec_lo, s35
	s_cbranch_vccnz .LBB6_4919
; %bb.4910:                             ;   in Loop: Header=BB6_4010 Depth=4
	v_and_b32_e32 v25, 0xff, v19
	s_mov_b32 s13, 0
	s_mov_b32 s38, exec_lo
                                        ; implicit-def: $sgpr37
	s_delay_alu instid0(VALU_DEP_1)
	v_cmpx_lt_i16_e32 0x7f, v25
	s_xor_b32 s38, exec_lo, s38
	s_cbranch_execnz .LBB6_5432
; %bb.4911:                             ;   in Loop: Header=BB6_4010 Depth=4
	s_or_saveexec_b32 s38, s38
	v_mov_b32_e32 v22, s37
	s_xor_b32 exec_lo, exec_lo, s38
	s_cbranch_execnz .LBB6_5435
.LBB6_4912:                             ;   in Loop: Header=BB6_4010 Depth=4
	s_or_b32 exec_lo, exec_lo, s38
	s_and_saveexec_b32 s37, s13
	s_cbranch_execz .LBB6_4914
.LBB6_4913:                             ;   in Loop: Header=BB6_4010 Depth=4
	v_lshrrev_b16 v35, 3, v19
	v_lshlrev_b32_e32 v38, 24, v19
	s_delay_alu instid0(VALU_DEP_2) | instskip(NEXT) | instid1(VALU_DEP_1)
	v_and_b32_e32 v35, 15, v35
	v_cmp_eq_u32_e32 vcc_lo, 0, v35
	v_and_b32_e32 v22, 7, v19
	s_delay_alu instid0(VALU_DEP_1) | instskip(NEXT) | instid1(VALU_DEP_1)
	v_clz_i32_u32_e32 v25, v22
	v_min_u32_e32 v25, 32, v25
	s_delay_alu instid0(VALU_DEP_1) | instskip(SKIP_1) | instid1(VALU_DEP_1)
	v_subrev_nc_u32_e32 v32, 28, v25
	v_sub_nc_u32_e32 v25, 29, v25
	v_dual_cndmask_b32 v25, v35, v25 :: v_dual_lshlrev_b32 v32, v32, v19
	s_delay_alu instid0(VALU_DEP_1) | instskip(NEXT) | instid1(VALU_DEP_2)
	v_and_b32_e32 v32, 7, v32
	v_lshl_add_u32 v25, v25, 23, 0x3b800000
	s_delay_alu instid0(VALU_DEP_2) | instskip(SKIP_1) | instid1(VALU_DEP_2)
	v_cndmask_b32_e32 v22, v22, v32, vcc_lo
	v_and_b32_e32 v32, 0x80000000, v38
	v_lshlrev_b32_e32 v22, 20, v22
	s_delay_alu instid0(VALU_DEP_1)
	v_or3_b32 v22, v32, v25, v22
.LBB6_4914:                             ;   in Loop: Header=BB6_4010 Depth=4
	s_or_b32 exec_lo, exec_lo, s37
	s_waitcnt vmcnt(0) lgkmcnt(0)
	v_and_b32_e32 v32, 0xff, v18
	s_mov_b32 s13, 0
	s_mov_b32 s38, exec_lo
                                        ; implicit-def: $sgpr37
	s_delay_alu instid0(VALU_DEP_1)
	v_cmpx_lt_i16_e32 0x7f, v32
	s_xor_b32 s38, exec_lo, s38
	s_cbranch_execnz .LBB6_5436
; %bb.4915:                             ;   in Loop: Header=BB6_4010 Depth=4
	s_or_saveexec_b32 s38, s38
	v_mov_b32_e32 v25, s37
	s_xor_b32 exec_lo, exec_lo, s38
	s_cbranch_execnz .LBB6_5439
.LBB6_4916:                             ;   in Loop: Header=BB6_4010 Depth=4
	s_or_b32 exec_lo, exec_lo, s38
	s_and_saveexec_b32 s37, s13
	s_cbranch_execz .LBB6_4918
.LBB6_4917:                             ;   in Loop: Header=BB6_4010 Depth=4
	v_lshrrev_b16 v38, 3, v18
	v_lshlrev_b32_e32 v49, 24, v18
	s_delay_alu instid0(VALU_DEP_2) | instskip(NEXT) | instid1(VALU_DEP_1)
	v_and_b32_e32 v38, 15, v38
	v_cmp_eq_u32_e32 vcc_lo, 0, v38
	v_and_b32_e32 v25, 7, v18
	s_delay_alu instid0(VALU_DEP_1) | instskip(NEXT) | instid1(VALU_DEP_1)
	v_clz_i32_u32_e32 v32, v25
	v_min_u32_e32 v32, 32, v32
	s_delay_alu instid0(VALU_DEP_1) | instskip(SKIP_1) | instid1(VALU_DEP_1)
	v_subrev_nc_u32_e32 v35, 28, v32
	v_sub_nc_u32_e32 v32, 29, v32
	v_dual_cndmask_b32 v32, v38, v32 :: v_dual_lshlrev_b32 v35, v35, v18
	s_delay_alu instid0(VALU_DEP_1) | instskip(NEXT) | instid1(VALU_DEP_2)
	v_and_b32_e32 v35, 7, v35
	v_lshl_add_u32 v32, v32, 23, 0x3b800000
	s_delay_alu instid0(VALU_DEP_2) | instskip(SKIP_1) | instid1(VALU_DEP_2)
	v_cndmask_b32_e32 v25, v25, v35, vcc_lo
	v_and_b32_e32 v35, 0x80000000, v49
	v_lshlrev_b32_e32 v25, 20, v25
	s_delay_alu instid0(VALU_DEP_1)
	v_or3_b32 v25, v35, v32, v25
.LBB6_4918:                             ;   in Loop: Header=BB6_4010 Depth=4
	s_or_b32 exec_lo, exec_lo, s37
	s_delay_alu instid0(VALU_DEP_1) | instskip(SKIP_1) | instid1(VALU_DEP_1)
	v_dual_max_f32 v25, v25, v25 :: v_dual_max_f32 v22, v22, v22
	s_mov_b32 s13, 0
	v_max_f32_e32 v22, v22, v25
	s_branch .LBB6_4920
.LBB6_4919:                             ;   in Loop: Header=BB6_4010 Depth=4
	s_mov_b32 s13, -1
                                        ; implicit-def: $vgpr22
.LBB6_4920:                             ;   in Loop: Header=BB6_4010 Depth=4
	s_delay_alu instid0(SALU_CYCLE_1)
	s_and_b32 vcc_lo, exec_lo, s13
	s_cbranch_vccz .LBB6_4930
; %bb.4921:                             ;   in Loop: Header=BB6_4010 Depth=4
	v_and_b32_e32 v25, 0xff, v19
	s_mov_b32 s13, 0
	s_mov_b32 s38, exec_lo
                                        ; implicit-def: $sgpr37
	s_delay_alu instid0(VALU_DEP_1)
	v_cmpx_lt_i16_e32 0x7f, v25
	s_xor_b32 s38, exec_lo, s38
	s_cbranch_execnz .LBB6_5440
; %bb.4922:                             ;   in Loop: Header=BB6_4010 Depth=4
	s_or_saveexec_b32 s38, s38
	v_mov_b32_e32 v22, s37
	s_xor_b32 exec_lo, exec_lo, s38
	s_cbranch_execnz .LBB6_5443
.LBB6_4923:                             ;   in Loop: Header=BB6_4010 Depth=4
	s_or_b32 exec_lo, exec_lo, s38
	s_and_saveexec_b32 s37, s13
	s_cbranch_execz .LBB6_4925
.LBB6_4924:                             ;   in Loop: Header=BB6_4010 Depth=4
	v_lshrrev_b16 v35, 3, v19
	s_delay_alu instid0(VALU_DEP_1) | instskip(NEXT) | instid1(VALU_DEP_1)
	v_and_b32_e32 v35, 15, v35
	v_cmp_eq_u32_e32 vcc_lo, 0, v35
	v_and_b32_e32 v22, 7, v19
	s_delay_alu instid0(VALU_DEP_1) | instskip(NEXT) | instid1(VALU_DEP_1)
	v_clz_i32_u32_e32 v25, v22
	v_min_u32_e32 v25, 32, v25
	s_delay_alu instid0(VALU_DEP_1) | instskip(SKIP_1) | instid1(VALU_DEP_1)
	v_subrev_nc_u32_e32 v32, 28, v25
	v_sub_nc_u32_e32 v25, 29, v25
	v_dual_cndmask_b32 v25, v35, v25 :: v_dual_lshlrev_b32 v32, v32, v19
	v_lshlrev_b32_e32 v19, 24, v19
	s_delay_alu instid0(VALU_DEP_2) | instskip(NEXT) | instid1(VALU_DEP_3)
	v_and_b32_e32 v32, 7, v32
	v_lshl_add_u32 v25, v25, 23, 0x3b800000
	s_delay_alu instid0(VALU_DEP_2) | instskip(NEXT) | instid1(VALU_DEP_1)
	v_dual_cndmask_b32 v22, v22, v32 :: v_dual_and_b32 v19, 0x80000000, v19
	v_lshlrev_b32_e32 v22, 20, v22
	s_delay_alu instid0(VALU_DEP_1)
	v_or3_b32 v22, v19, v25, v22
.LBB6_4925:                             ;   in Loop: Header=BB6_4010 Depth=4
	s_or_b32 exec_lo, exec_lo, s37
	s_waitcnt vmcnt(0) lgkmcnt(0)
	v_and_b32_e32 v25, 0xff, v18
	s_mov_b32 s13, 0
	s_mov_b32 s38, exec_lo
                                        ; implicit-def: $sgpr37
	s_delay_alu instid0(VALU_DEP_1)
	v_cmpx_lt_i16_e32 0x7f, v25
	s_xor_b32 s38, exec_lo, s38
	s_cbranch_execnz .LBB6_5444
; %bb.4926:                             ;   in Loop: Header=BB6_4010 Depth=4
	s_or_saveexec_b32 s38, s38
	v_mov_b32_e32 v19, s37
	s_xor_b32 exec_lo, exec_lo, s38
	s_cbranch_execnz .LBB6_5447
.LBB6_4927:                             ;   in Loop: Header=BB6_4010 Depth=4
	s_or_b32 exec_lo, exec_lo, s38
	s_and_saveexec_b32 s37, s13
	s_cbranch_execz .LBB6_4929
.LBB6_4928:                             ;   in Loop: Header=BB6_4010 Depth=4
	v_and_b32_e32 v19, 7, v18
	v_lshrrev_b16 v35, 3, v18
	s_delay_alu instid0(VALU_DEP_2) | instskip(NEXT) | instid1(VALU_DEP_2)
	v_clz_i32_u32_e32 v25, v19
	v_and_b32_e32 v35, 15, v35
	s_delay_alu instid0(VALU_DEP_2) | instskip(NEXT) | instid1(VALU_DEP_2)
	v_min_u32_e32 v25, 32, v25
	v_cmp_eq_u32_e32 vcc_lo, 0, v35
	s_delay_alu instid0(VALU_DEP_2) | instskip(SKIP_1) | instid1(VALU_DEP_1)
	v_subrev_nc_u32_e32 v32, 28, v25
	v_sub_nc_u32_e32 v25, 29, v25
	v_dual_cndmask_b32 v25, v35, v25 :: v_dual_lshlrev_b32 v32, v32, v18
	s_delay_alu instid0(VALU_DEP_1) | instskip(SKIP_1) | instid1(VALU_DEP_3)
	v_and_b32_e32 v32, 7, v32
	v_lshlrev_b32_e32 v18, 24, v18
	v_lshl_add_u32 v25, v25, 23, 0x3b800000
	s_delay_alu instid0(VALU_DEP_2) | instskip(NEXT) | instid1(VALU_DEP_1)
	v_dual_cndmask_b32 v19, v19, v32 :: v_dual_and_b32 v18, 0x80000000, v18
	v_lshlrev_b32_e32 v19, 20, v19
	s_delay_alu instid0(VALU_DEP_1)
	v_or3_b32 v19, v18, v25, v19
.LBB6_4929:                             ;   in Loop: Header=BB6_4010 Depth=4
	s_or_b32 exec_lo, exec_lo, s37
	s_delay_alu instid0(VALU_DEP_1) | instskip(NEXT) | instid1(VALU_DEP_1)
	v_dual_max_f32 v18, v19, v19 :: v_dual_max_f32 v19, v22, v22
	v_min_f32_e32 v22, v19, v18
.LBB6_4930:                             ;   in Loop: Header=BB6_4010 Depth=4
	s_waitcnt vmcnt(0) lgkmcnt(0)
	s_delay_alu instid0(VALU_DEP_1) | instskip(NEXT) | instid1(VALU_DEP_1)
	v_and_b32_e32 v18, 0x7f800000, v22
	v_cmp_ne_u32_e32 vcc_lo, 0x7f800000, v18
	v_mov_b32_e32 v18, 0x80
	s_and_saveexec_b32 s37, vcc_lo
	s_cbranch_execz .LBB6_4009
; %bb.4931:                             ;   in Loop: Header=BB6_4010 Depth=4
	v_mov_b32_e32 v18, 0
	s_mov_b32 s38, exec_lo
	v_cmpx_ne_u32_e32 0, v22
	s_cbranch_execz .LBB6_4008
; %bb.4932:                             ;   in Loop: Header=BB6_4010 Depth=4
	v_bfe_u32 v18, v22, 23, 8
	v_and_b32_e32 v19, 0x7fffff, v22
	s_delay_alu instid0(VALU_DEP_2) | instskip(SKIP_1) | instid1(VALU_DEP_3)
	v_sub_nc_u32_e32 v25, 0x78, v18
	v_cmp_gt_u32_e32 vcc_lo, 0x79, v18
	v_or_b32_e32 v32, 0x800000, v19
	s_delay_alu instid0(VALU_DEP_3) | instskip(SKIP_2) | instid1(VALU_DEP_3)
	v_cndmask_b32_e32 v25, 0, v25, vcc_lo
	v_cmp_eq_u32_e32 vcc_lo, 0, v18
	v_add_nc_u32_e32 v18, 0xffffff89, v18
	v_cndmask_b32_e64 v25, v25, 0x77, vcc_lo
	v_cndmask_b32_e32 v19, v32, v19, vcc_lo
	s_delay_alu instid0(VALU_DEP_3) | instskip(NEXT) | instid1(VALU_DEP_3)
	v_cndmask_b32_e64 v18, v18, 0xffffff8a, vcc_lo
	v_lshl_add_u32 v32, 0x100000, v25, -1
	s_delay_alu instid0(VALU_DEP_3) | instskip(SKIP_1) | instid1(VALU_DEP_4)
	v_lshrrev_b32_e32 v35, v25, v19
	v_lshlrev_b32_e64 v49, v25, 0x80000
	v_add_nc_u32_e32 v25, v25, v18
	s_delay_alu instid0(VALU_DEP_4) | instskip(NEXT) | instid1(VALU_DEP_4)
	v_and_b32_e32 v19, v32, v19
	v_bfe_u32 v38, v35, 20, 1
	s_delay_alu instid0(VALU_DEP_2) | instskip(NEXT) | instid1(VALU_DEP_2)
	v_cmp_eq_u32_e64 s13, v19, v49
	v_add_nc_u32_e32 v32, -1, v38
	s_delay_alu instid0(VALU_DEP_1) | instskip(SKIP_2) | instid1(VALU_DEP_2)
	v_cndmask_b32_e64 v19, 0, v32, s13
	v_lshrrev_b32_e32 v32, 23, v35
	s_mov_b32 s13, exec_lo
	v_add_nc_u32_e32 v19, v19, v35
	s_delay_alu instid0(VALU_DEP_2) | instskip(NEXT) | instid1(VALU_DEP_2)
	v_xor_b32_e32 v32, 1, v32
	v_and_b32_e32 v18, 0xfffff, v19
	s_delay_alu instid0(VALU_DEP_1) | instskip(NEXT) | instid1(VALU_DEP_3)
	v_add_nc_u32_e32 v19, v18, v35
                                        ; implicit-def: $vgpr18
	v_cmpx_ne_u32_e64 v25, v32
	s_xor_b32 s13, exec_lo, s13
; %bb.4933:                             ;   in Loop: Header=BB6_4010 Depth=4
	s_delay_alu instid0(VALU_DEP_2) | instskip(SKIP_2) | instid1(VALU_DEP_2)
	v_cmp_lt_u32_e32 vcc_lo, 0xffffff, v19
	v_sub_nc_u32_e32 v18, v25, v32
	v_cndmask_b32_e64 v25, 0, 1, vcc_lo
	v_add_co_ci_u32_e32 v18, vcc_lo, 0, v18, vcc_lo
	s_delay_alu instid0(VALU_DEP_2)
	v_lshrrev_b32_e32 v19, v25, v19
; %bb.4934:                             ;   in Loop: Header=BB6_4010 Depth=4
	s_and_not1_saveexec_b32 s13, s13
	s_cbranch_execz .LBB6_4007
; %bb.4935:                             ;   in Loop: Header=BB6_4010 Depth=4
	s_delay_alu instid0(VALU_DEP_1)
	v_bfe_u32 v18, v19, 23, 1
	s_branch .LBB6_4007
.LBB6_4936:                             ;   in Loop: Header=BB6_4010 Depth=4
	s_mov_b32 s13, -1
	s_mov_b32 s39, exec_lo
                                        ; implicit-def: $sgpr37
	v_cmpx_eq_u16_e32 0x80, v106
; %bb.4937:                             ;   in Loop: Header=BB6_4010 Depth=4
	s_mov_b32 s37, 0x7f800001
	s_xor_b32 s13, exec_lo, -1
; %bb.4938:                             ;   in Loop: Header=BB6_4010 Depth=4
	s_or_b32 exec_lo, exec_lo, s39
	s_delay_alu instid0(SALU_CYCLE_1)
	s_and_b32 s13, s13, exec_lo
                                        ; implicit-def: $vgpr106
	s_or_saveexec_b32 s38, s38
	v_mov_b32_e32 v105, s37
	s_xor_b32 exec_lo, exec_lo, s38
	s_cbranch_execz .LBB6_4013
.LBB6_4939:                             ;   in Loop: Header=BB6_4010 Depth=4
	v_cmp_ne_u16_e32 vcc_lo, 0, v106
	v_mov_b32_e32 v105, 0
	s_and_not1_b32 s13, s13, exec_lo
	s_and_b32 vcc_lo, vcc_lo, exec_lo
	s_delay_alu instid0(SALU_CYCLE_1)
	s_or_b32 s13, s13, vcc_lo
	s_or_b32 exec_lo, exec_lo, s38
	s_and_saveexec_b32 s37, s13
	s_cbranch_execnz .LBB6_4014
	s_branch .LBB6_4015
.LBB6_4940:                             ;   in Loop: Header=BB6_4010 Depth=4
	s_mov_b32 s13, -1
	s_mov_b32 s39, exec_lo
                                        ; implicit-def: $sgpr37
	v_cmpx_eq_u16_e32 0x80, v107
; %bb.4941:                             ;   in Loop: Header=BB6_4010 Depth=4
	s_mov_b32 s37, 0x7f800001
	s_xor_b32 s13, exec_lo, -1
; %bb.4942:                             ;   in Loop: Header=BB6_4010 Depth=4
	s_or_b32 exec_lo, exec_lo, s39
	s_delay_alu instid0(SALU_CYCLE_1)
	s_and_b32 s13, s13, exec_lo
                                        ; implicit-def: $vgpr107
	s_or_saveexec_b32 s38, s38
	v_mov_b32_e32 v106, s37
	s_xor_b32 exec_lo, exec_lo, s38
	s_cbranch_execz .LBB6_4017
.LBB6_4943:                             ;   in Loop: Header=BB6_4010 Depth=4
	v_cmp_ne_u16_e32 vcc_lo, 0, v107
	v_mov_b32_e32 v106, 0
	s_and_not1_b32 s13, s13, exec_lo
	s_and_b32 vcc_lo, vcc_lo, exec_lo
	s_delay_alu instid0(SALU_CYCLE_1)
	s_or_b32 s13, s13, vcc_lo
	s_or_b32 exec_lo, exec_lo, s38
	s_and_saveexec_b32 s37, s13
	s_cbranch_execnz .LBB6_4018
	s_branch .LBB6_4019
.LBB6_4944:                             ;   in Loop: Header=BB6_4010 Depth=4
	s_mov_b32 s13, -1
	s_mov_b32 s39, exec_lo
                                        ; implicit-def: $sgpr37
	v_cmpx_eq_u16_e32 0x80, v106
; %bb.4945:                             ;   in Loop: Header=BB6_4010 Depth=4
	s_mov_b32 s37, 0x7f800001
	s_xor_b32 s13, exec_lo, -1
; %bb.4946:                             ;   in Loop: Header=BB6_4010 Depth=4
	s_or_b32 exec_lo, exec_lo, s39
	s_delay_alu instid0(SALU_CYCLE_1)
	s_and_b32 s13, s13, exec_lo
                                        ; implicit-def: $vgpr106
	s_or_saveexec_b32 s38, s38
	v_mov_b32_e32 v105, s37
	s_xor_b32 exec_lo, exec_lo, s38
	s_cbranch_execz .LBB6_4024
.LBB6_4947:                             ;   in Loop: Header=BB6_4010 Depth=4
	v_cmp_ne_u16_e32 vcc_lo, 0, v106
	v_mov_b32_e32 v105, 0
	s_and_not1_b32 s13, s13, exec_lo
	s_and_b32 vcc_lo, vcc_lo, exec_lo
	s_delay_alu instid0(SALU_CYCLE_1)
	s_or_b32 s13, s13, vcc_lo
	s_or_b32 exec_lo, exec_lo, s38
	s_and_saveexec_b32 s37, s13
	s_cbranch_execnz .LBB6_4025
	s_branch .LBB6_4026
.LBB6_4948:                             ;   in Loop: Header=BB6_4010 Depth=4
	s_mov_b32 s13, -1
	s_mov_b32 s39, exec_lo
                                        ; implicit-def: $sgpr37
	v_cmpx_eq_u16_e32 0x80, v106
; %bb.4949:                             ;   in Loop: Header=BB6_4010 Depth=4
	s_mov_b32 s37, 0x7f800001
	s_xor_b32 s13, exec_lo, -1
; %bb.4950:                             ;   in Loop: Header=BB6_4010 Depth=4
	s_or_b32 exec_lo, exec_lo, s39
	s_delay_alu instid0(SALU_CYCLE_1)
	s_and_b32 s13, s13, exec_lo
                                        ; implicit-def: $vgpr106
	s_or_saveexec_b32 s38, s38
	v_mov_b32_e32 v104, s37
	s_xor_b32 exec_lo, exec_lo, s38
	s_cbranch_execz .LBB6_4028
.LBB6_4951:                             ;   in Loop: Header=BB6_4010 Depth=4
	v_cmp_ne_u16_e32 vcc_lo, 0, v106
	v_mov_b32_e32 v104, 0
	s_and_not1_b32 s13, s13, exec_lo
	s_and_b32 vcc_lo, vcc_lo, exec_lo
	s_delay_alu instid0(SALU_CYCLE_1)
	s_or_b32 s13, s13, vcc_lo
	s_or_b32 exec_lo, exec_lo, s38
	s_and_saveexec_b32 s37, s13
	s_cbranch_execnz .LBB6_4029
	s_branch .LBB6_4030
.LBB6_4952:                             ;   in Loop: Header=BB6_4010 Depth=4
	s_mov_b32 s13, -1
	s_mov_b32 s39, exec_lo
                                        ; implicit-def: $sgpr37
	v_cmpx_eq_u16_e32 0x80, v105
; %bb.4953:                             ;   in Loop: Header=BB6_4010 Depth=4
	s_mov_b32 s37, 0x7f800001
	s_xor_b32 s13, exec_lo, -1
; %bb.4954:                             ;   in Loop: Header=BB6_4010 Depth=4
	s_or_b32 exec_lo, exec_lo, s39
	s_delay_alu instid0(SALU_CYCLE_1)
	s_and_b32 s13, s13, exec_lo
                                        ; implicit-def: $vgpr105
	s_or_saveexec_b32 s38, s38
	v_mov_b32_e32 v104, s37
	s_xor_b32 exec_lo, exec_lo, s38
	s_cbranch_execz .LBB6_4042
.LBB6_4955:                             ;   in Loop: Header=BB6_4010 Depth=4
	v_cmp_ne_u16_e32 vcc_lo, 0, v105
	v_mov_b32_e32 v104, 0
	s_and_not1_b32 s13, s13, exec_lo
	s_and_b32 vcc_lo, vcc_lo, exec_lo
	s_delay_alu instid0(SALU_CYCLE_1)
	s_or_b32 s13, s13, vcc_lo
	s_or_b32 exec_lo, exec_lo, s38
	s_and_saveexec_b32 s37, s13
	s_cbranch_execnz .LBB6_4043
	s_branch .LBB6_4044
.LBB6_4956:                             ;   in Loop: Header=BB6_4010 Depth=4
	s_mov_b32 s13, -1
	s_mov_b32 s39, exec_lo
                                        ; implicit-def: $sgpr37
	v_cmpx_eq_u16_e32 0x80, v106
; %bb.4957:                             ;   in Loop: Header=BB6_4010 Depth=4
	s_mov_b32 s37, 0x7f800001
	s_xor_b32 s13, exec_lo, -1
; %bb.4958:                             ;   in Loop: Header=BB6_4010 Depth=4
	s_or_b32 exec_lo, exec_lo, s39
	s_delay_alu instid0(SALU_CYCLE_1)
	s_and_b32 s13, s13, exec_lo
                                        ; implicit-def: $vgpr106
	s_or_saveexec_b32 s38, s38
	v_mov_b32_e32 v105, s37
	s_xor_b32 exec_lo, exec_lo, s38
	s_cbranch_execz .LBB6_4046
.LBB6_4959:                             ;   in Loop: Header=BB6_4010 Depth=4
	v_cmp_ne_u16_e32 vcc_lo, 0, v106
	v_mov_b32_e32 v105, 0
	s_and_not1_b32 s13, s13, exec_lo
	s_and_b32 vcc_lo, vcc_lo, exec_lo
	s_delay_alu instid0(SALU_CYCLE_1)
	s_or_b32 s13, s13, vcc_lo
	s_or_b32 exec_lo, exec_lo, s38
	s_and_saveexec_b32 s37, s13
	s_cbranch_execnz .LBB6_4047
	s_branch .LBB6_4048
.LBB6_4960:                             ;   in Loop: Header=BB6_4010 Depth=4
	s_mov_b32 s13, -1
	s_mov_b32 s39, exec_lo
                                        ; implicit-def: $sgpr37
	v_cmpx_eq_u16_e32 0x80, v105
; %bb.4961:                             ;   in Loop: Header=BB6_4010 Depth=4
	s_mov_b32 s37, 0x7f800001
	s_xor_b32 s13, exec_lo, -1
; %bb.4962:                             ;   in Loop: Header=BB6_4010 Depth=4
	s_or_b32 exec_lo, exec_lo, s39
	s_delay_alu instid0(SALU_CYCLE_1)
	s_and_b32 s13, s13, exec_lo
                                        ; implicit-def: $vgpr105
	s_or_saveexec_b32 s38, s38
	v_mov_b32_e32 v104, s37
	s_xor_b32 exec_lo, exec_lo, s38
	s_cbranch_execz .LBB6_4053
.LBB6_4963:                             ;   in Loop: Header=BB6_4010 Depth=4
	v_cmp_ne_u16_e32 vcc_lo, 0, v105
	v_mov_b32_e32 v104, 0
	s_and_not1_b32 s13, s13, exec_lo
	s_and_b32 vcc_lo, vcc_lo, exec_lo
	s_delay_alu instid0(SALU_CYCLE_1)
	s_or_b32 s13, s13, vcc_lo
	s_or_b32 exec_lo, exec_lo, s38
	s_and_saveexec_b32 s37, s13
	s_cbranch_execnz .LBB6_4054
	s_branch .LBB6_4055
.LBB6_4964:                             ;   in Loop: Header=BB6_4010 Depth=4
	s_mov_b32 s13, -1
	s_mov_b32 s39, exec_lo
                                        ; implicit-def: $sgpr37
	v_cmpx_eq_u16_e32 0x80, v105
; %bb.4965:                             ;   in Loop: Header=BB6_4010 Depth=4
	s_mov_b32 s37, 0x7f800001
	s_xor_b32 s13, exec_lo, -1
; %bb.4966:                             ;   in Loop: Header=BB6_4010 Depth=4
	s_or_b32 exec_lo, exec_lo, s39
	s_delay_alu instid0(SALU_CYCLE_1)
	s_and_b32 s13, s13, exec_lo
                                        ; implicit-def: $vgpr105
	s_or_saveexec_b32 s38, s38
	v_mov_b32_e32 v95, s37
	s_xor_b32 exec_lo, exec_lo, s38
	s_cbranch_execz .LBB6_4057
.LBB6_4967:                             ;   in Loop: Header=BB6_4010 Depth=4
	v_cmp_ne_u16_e32 vcc_lo, 0, v105
	v_mov_b32_e32 v95, 0
	s_and_not1_b32 s13, s13, exec_lo
	s_and_b32 vcc_lo, vcc_lo, exec_lo
	s_delay_alu instid0(SALU_CYCLE_1)
	s_or_b32 s13, s13, vcc_lo
	s_or_b32 exec_lo, exec_lo, s38
	s_and_saveexec_b32 s37, s13
	s_cbranch_execnz .LBB6_4058
	s_branch .LBB6_4059
.LBB6_4968:                             ;   in Loop: Header=BB6_4010 Depth=4
	s_mov_b32 s13, -1
	s_mov_b32 s39, exec_lo
                                        ; implicit-def: $sgpr37
	v_cmpx_eq_u16_e32 0x80, v104
; %bb.4969:                             ;   in Loop: Header=BB6_4010 Depth=4
	s_mov_b32 s37, 0x7f800001
	s_xor_b32 s13, exec_lo, -1
; %bb.4970:                             ;   in Loop: Header=BB6_4010 Depth=4
	s_or_b32 exec_lo, exec_lo, s39
	s_delay_alu instid0(SALU_CYCLE_1)
	s_and_b32 s13, s13, exec_lo
                                        ; implicit-def: $vgpr104
	s_or_saveexec_b32 s38, s38
	v_mov_b32_e32 v95, s37
	s_xor_b32 exec_lo, exec_lo, s38
	s_cbranch_execz .LBB6_4071
.LBB6_4971:                             ;   in Loop: Header=BB6_4010 Depth=4
	v_cmp_ne_u16_e32 vcc_lo, 0, v104
	v_mov_b32_e32 v95, 0
	s_and_not1_b32 s13, s13, exec_lo
	s_and_b32 vcc_lo, vcc_lo, exec_lo
	s_delay_alu instid0(SALU_CYCLE_1)
	s_or_b32 s13, s13, vcc_lo
	s_or_b32 exec_lo, exec_lo, s38
	s_and_saveexec_b32 s37, s13
	s_cbranch_execnz .LBB6_4072
	s_branch .LBB6_4073
.LBB6_4972:                             ;   in Loop: Header=BB6_4010 Depth=4
	s_mov_b32 s13, -1
	s_mov_b32 s39, exec_lo
                                        ; implicit-def: $sgpr37
	v_cmpx_eq_u16_e32 0x80, v105
; %bb.4973:                             ;   in Loop: Header=BB6_4010 Depth=4
	s_mov_b32 s37, 0x7f800001
	s_xor_b32 s13, exec_lo, -1
; %bb.4974:                             ;   in Loop: Header=BB6_4010 Depth=4
	s_or_b32 exec_lo, exec_lo, s39
	s_delay_alu instid0(SALU_CYCLE_1)
	s_and_b32 s13, s13, exec_lo
                                        ; implicit-def: $vgpr105
	s_or_saveexec_b32 s38, s38
	v_mov_b32_e32 v104, s37
	s_xor_b32 exec_lo, exec_lo, s38
	s_cbranch_execz .LBB6_4075
.LBB6_4975:                             ;   in Loop: Header=BB6_4010 Depth=4
	v_cmp_ne_u16_e32 vcc_lo, 0, v105
	v_mov_b32_e32 v104, 0
	s_and_not1_b32 s13, s13, exec_lo
	s_and_b32 vcc_lo, vcc_lo, exec_lo
	s_delay_alu instid0(SALU_CYCLE_1)
	s_or_b32 s13, s13, vcc_lo
	s_or_b32 exec_lo, exec_lo, s38
	s_and_saveexec_b32 s37, s13
	s_cbranch_execnz .LBB6_4076
	s_branch .LBB6_4077
.LBB6_4976:                             ;   in Loop: Header=BB6_4010 Depth=4
	s_mov_b32 s13, -1
	s_mov_b32 s39, exec_lo
                                        ; implicit-def: $sgpr37
	v_cmpx_eq_u16_e32 0x80, v104
; %bb.4977:                             ;   in Loop: Header=BB6_4010 Depth=4
	s_mov_b32 s37, 0x7f800001
	s_xor_b32 s13, exec_lo, -1
; %bb.4978:                             ;   in Loop: Header=BB6_4010 Depth=4
	s_or_b32 exec_lo, exec_lo, s39
	s_delay_alu instid0(SALU_CYCLE_1)
	s_and_b32 s13, s13, exec_lo
                                        ; implicit-def: $vgpr104
	s_or_saveexec_b32 s38, s38
	v_mov_b32_e32 v95, s37
	s_xor_b32 exec_lo, exec_lo, s38
	s_cbranch_execz .LBB6_4082
.LBB6_4979:                             ;   in Loop: Header=BB6_4010 Depth=4
	v_cmp_ne_u16_e32 vcc_lo, 0, v104
	v_mov_b32_e32 v95, 0
	s_and_not1_b32 s13, s13, exec_lo
	s_and_b32 vcc_lo, vcc_lo, exec_lo
	s_delay_alu instid0(SALU_CYCLE_1)
	s_or_b32 s13, s13, vcc_lo
	s_or_b32 exec_lo, exec_lo, s38
	s_and_saveexec_b32 s37, s13
	s_cbranch_execnz .LBB6_4083
	s_branch .LBB6_4084
.LBB6_4980:                             ;   in Loop: Header=BB6_4010 Depth=4
	s_mov_b32 s13, -1
	s_mov_b32 s39, exec_lo
                                        ; implicit-def: $sgpr37
	v_cmpx_eq_u16_e32 0x80, v104
; %bb.4981:                             ;   in Loop: Header=BB6_4010 Depth=4
	s_mov_b32 s37, 0x7f800001
	s_xor_b32 s13, exec_lo, -1
; %bb.4982:                             ;   in Loop: Header=BB6_4010 Depth=4
	s_or_b32 exec_lo, exec_lo, s39
	s_delay_alu instid0(SALU_CYCLE_1)
	s_and_b32 s13, s13, exec_lo
                                        ; implicit-def: $vgpr104
	s_or_saveexec_b32 s38, s38
	v_mov_b32_e32 v94, s37
	s_xor_b32 exec_lo, exec_lo, s38
	s_cbranch_execz .LBB6_4086
.LBB6_4983:                             ;   in Loop: Header=BB6_4010 Depth=4
	v_cmp_ne_u16_e32 vcc_lo, 0, v104
	v_mov_b32_e32 v94, 0
	s_and_not1_b32 s13, s13, exec_lo
	s_and_b32 vcc_lo, vcc_lo, exec_lo
	s_delay_alu instid0(SALU_CYCLE_1)
	s_or_b32 s13, s13, vcc_lo
	s_or_b32 exec_lo, exec_lo, s38
	s_and_saveexec_b32 s37, s13
	s_cbranch_execnz .LBB6_4087
	s_branch .LBB6_4088
.LBB6_4984:                             ;   in Loop: Header=BB6_4010 Depth=4
	s_mov_b32 s13, -1
	s_mov_b32 s39, exec_lo
                                        ; implicit-def: $sgpr37
	v_cmpx_eq_u16_e32 0x80, v95
; %bb.4985:                             ;   in Loop: Header=BB6_4010 Depth=4
	s_mov_b32 s37, 0x7f800001
	s_xor_b32 s13, exec_lo, -1
; %bb.4986:                             ;   in Loop: Header=BB6_4010 Depth=4
	s_or_b32 exec_lo, exec_lo, s39
	s_delay_alu instid0(SALU_CYCLE_1)
	s_and_b32 s13, s13, exec_lo
                                        ; implicit-def: $vgpr95
	s_or_saveexec_b32 s38, s38
	v_mov_b32_e32 v94, s37
	s_xor_b32 exec_lo, exec_lo, s38
	s_cbranch_execz .LBB6_4100
.LBB6_4987:                             ;   in Loop: Header=BB6_4010 Depth=4
	v_cmp_ne_u16_e32 vcc_lo, 0, v95
	v_mov_b32_e32 v94, 0
	s_and_not1_b32 s13, s13, exec_lo
	s_and_b32 vcc_lo, vcc_lo, exec_lo
	s_delay_alu instid0(SALU_CYCLE_1)
	s_or_b32 s13, s13, vcc_lo
	s_or_b32 exec_lo, exec_lo, s38
	s_and_saveexec_b32 s37, s13
	s_cbranch_execnz .LBB6_4101
	s_branch .LBB6_4102
.LBB6_4988:                             ;   in Loop: Header=BB6_4010 Depth=4
	s_mov_b32 s13, -1
	s_mov_b32 s39, exec_lo
                                        ; implicit-def: $sgpr37
	v_cmpx_eq_u16_e32 0x80, v104
; %bb.4989:                             ;   in Loop: Header=BB6_4010 Depth=4
	s_mov_b32 s37, 0x7f800001
	s_xor_b32 s13, exec_lo, -1
; %bb.4990:                             ;   in Loop: Header=BB6_4010 Depth=4
	s_or_b32 exec_lo, exec_lo, s39
	s_delay_alu instid0(SALU_CYCLE_1)
	s_and_b32 s13, s13, exec_lo
                                        ; implicit-def: $vgpr104
	s_or_saveexec_b32 s38, s38
	v_mov_b32_e32 v95, s37
	s_xor_b32 exec_lo, exec_lo, s38
	s_cbranch_execz .LBB6_4104
.LBB6_4991:                             ;   in Loop: Header=BB6_4010 Depth=4
	v_cmp_ne_u16_e32 vcc_lo, 0, v104
	v_mov_b32_e32 v95, 0
	s_and_not1_b32 s13, s13, exec_lo
	s_and_b32 vcc_lo, vcc_lo, exec_lo
	s_delay_alu instid0(SALU_CYCLE_1)
	s_or_b32 s13, s13, vcc_lo
	s_or_b32 exec_lo, exec_lo, s38
	s_and_saveexec_b32 s37, s13
	s_cbranch_execnz .LBB6_4105
	s_branch .LBB6_4106
.LBB6_4992:                             ;   in Loop: Header=BB6_4010 Depth=4
	s_mov_b32 s13, -1
	s_mov_b32 s39, exec_lo
                                        ; implicit-def: $sgpr37
	v_cmpx_eq_u16_e32 0x80, v95
; %bb.4993:                             ;   in Loop: Header=BB6_4010 Depth=4
	s_mov_b32 s37, 0x7f800001
	s_xor_b32 s13, exec_lo, -1
; %bb.4994:                             ;   in Loop: Header=BB6_4010 Depth=4
	s_or_b32 exec_lo, exec_lo, s39
	s_delay_alu instid0(SALU_CYCLE_1)
	s_and_b32 s13, s13, exec_lo
                                        ; implicit-def: $vgpr95
	s_or_saveexec_b32 s38, s38
	v_mov_b32_e32 v94, s37
	s_xor_b32 exec_lo, exec_lo, s38
	s_cbranch_execz .LBB6_4111
.LBB6_4995:                             ;   in Loop: Header=BB6_4010 Depth=4
	v_cmp_ne_u16_e32 vcc_lo, 0, v95
	v_mov_b32_e32 v94, 0
	s_and_not1_b32 s13, s13, exec_lo
	s_and_b32 vcc_lo, vcc_lo, exec_lo
	s_delay_alu instid0(SALU_CYCLE_1)
	s_or_b32 s13, s13, vcc_lo
	s_or_b32 exec_lo, exec_lo, s38
	s_and_saveexec_b32 s37, s13
	s_cbranch_execnz .LBB6_4112
	s_branch .LBB6_4113
.LBB6_4996:                             ;   in Loop: Header=BB6_4010 Depth=4
	s_mov_b32 s13, -1
	s_mov_b32 s39, exec_lo
                                        ; implicit-def: $sgpr37
	v_cmpx_eq_u16_e32 0x80, v95
; %bb.4997:                             ;   in Loop: Header=BB6_4010 Depth=4
	s_mov_b32 s37, 0x7f800001
	s_xor_b32 s13, exec_lo, -1
; %bb.4998:                             ;   in Loop: Header=BB6_4010 Depth=4
	s_or_b32 exec_lo, exec_lo, s39
	s_delay_alu instid0(SALU_CYCLE_1)
	s_and_b32 s13, s13, exec_lo
                                        ; implicit-def: $vgpr95
	s_or_saveexec_b32 s38, s38
	v_mov_b32_e32 v93, s37
	s_xor_b32 exec_lo, exec_lo, s38
	s_cbranch_execz .LBB6_4115
.LBB6_4999:                             ;   in Loop: Header=BB6_4010 Depth=4
	v_cmp_ne_u16_e32 vcc_lo, 0, v95
	v_mov_b32_e32 v93, 0
	s_and_not1_b32 s13, s13, exec_lo
	s_and_b32 vcc_lo, vcc_lo, exec_lo
	s_delay_alu instid0(SALU_CYCLE_1)
	s_or_b32 s13, s13, vcc_lo
	s_or_b32 exec_lo, exec_lo, s38
	s_and_saveexec_b32 s37, s13
	s_cbranch_execnz .LBB6_4116
	s_branch .LBB6_4117
.LBB6_5000:                             ;   in Loop: Header=BB6_4010 Depth=4
	s_mov_b32 s13, -1
	s_mov_b32 s39, exec_lo
                                        ; implicit-def: $sgpr37
	v_cmpx_eq_u16_e32 0x80, v94
; %bb.5001:                             ;   in Loop: Header=BB6_4010 Depth=4
	s_mov_b32 s37, 0x7f800001
	s_xor_b32 s13, exec_lo, -1
; %bb.5002:                             ;   in Loop: Header=BB6_4010 Depth=4
	s_or_b32 exec_lo, exec_lo, s39
	s_delay_alu instid0(SALU_CYCLE_1)
	s_and_b32 s13, s13, exec_lo
                                        ; implicit-def: $vgpr94
	s_or_saveexec_b32 s38, s38
	v_mov_b32_e32 v93, s37
	s_xor_b32 exec_lo, exec_lo, s38
	s_cbranch_execz .LBB6_4129
.LBB6_5003:                             ;   in Loop: Header=BB6_4010 Depth=4
	v_cmp_ne_u16_e32 vcc_lo, 0, v94
	v_mov_b32_e32 v93, 0
	s_and_not1_b32 s13, s13, exec_lo
	s_and_b32 vcc_lo, vcc_lo, exec_lo
	s_delay_alu instid0(SALU_CYCLE_1)
	s_or_b32 s13, s13, vcc_lo
	s_or_b32 exec_lo, exec_lo, s38
	s_and_saveexec_b32 s37, s13
	s_cbranch_execnz .LBB6_4130
	s_branch .LBB6_4131
.LBB6_5004:                             ;   in Loop: Header=BB6_4010 Depth=4
	s_mov_b32 s13, -1
	s_mov_b32 s39, exec_lo
                                        ; implicit-def: $sgpr37
	v_cmpx_eq_u16_e32 0x80, v95
; %bb.5005:                             ;   in Loop: Header=BB6_4010 Depth=4
	s_mov_b32 s37, 0x7f800001
	s_xor_b32 s13, exec_lo, -1
; %bb.5006:                             ;   in Loop: Header=BB6_4010 Depth=4
	s_or_b32 exec_lo, exec_lo, s39
	s_delay_alu instid0(SALU_CYCLE_1)
	s_and_b32 s13, s13, exec_lo
                                        ; implicit-def: $vgpr95
	s_or_saveexec_b32 s38, s38
	v_mov_b32_e32 v94, s37
	s_xor_b32 exec_lo, exec_lo, s38
	s_cbranch_execz .LBB6_4133
.LBB6_5007:                             ;   in Loop: Header=BB6_4010 Depth=4
	v_cmp_ne_u16_e32 vcc_lo, 0, v95
	v_mov_b32_e32 v94, 0
	s_and_not1_b32 s13, s13, exec_lo
	s_and_b32 vcc_lo, vcc_lo, exec_lo
	s_delay_alu instid0(SALU_CYCLE_1)
	s_or_b32 s13, s13, vcc_lo
	s_or_b32 exec_lo, exec_lo, s38
	s_and_saveexec_b32 s37, s13
	s_cbranch_execnz .LBB6_4134
	s_branch .LBB6_4135
.LBB6_5008:                             ;   in Loop: Header=BB6_4010 Depth=4
	s_mov_b32 s13, -1
	s_mov_b32 s39, exec_lo
                                        ; implicit-def: $sgpr37
	v_cmpx_eq_u16_e32 0x80, v94
; %bb.5009:                             ;   in Loop: Header=BB6_4010 Depth=4
	s_mov_b32 s37, 0x7f800001
	s_xor_b32 s13, exec_lo, -1
; %bb.5010:                             ;   in Loop: Header=BB6_4010 Depth=4
	s_or_b32 exec_lo, exec_lo, s39
	s_delay_alu instid0(SALU_CYCLE_1)
	s_and_b32 s13, s13, exec_lo
                                        ; implicit-def: $vgpr94
	s_or_saveexec_b32 s38, s38
	v_mov_b32_e32 v93, s37
	s_xor_b32 exec_lo, exec_lo, s38
	s_cbranch_execz .LBB6_4140
.LBB6_5011:                             ;   in Loop: Header=BB6_4010 Depth=4
	v_cmp_ne_u16_e32 vcc_lo, 0, v94
	v_mov_b32_e32 v93, 0
	s_and_not1_b32 s13, s13, exec_lo
	s_and_b32 vcc_lo, vcc_lo, exec_lo
	s_delay_alu instid0(SALU_CYCLE_1)
	s_or_b32 s13, s13, vcc_lo
	s_or_b32 exec_lo, exec_lo, s38
	s_and_saveexec_b32 s37, s13
	s_cbranch_execnz .LBB6_4141
	s_branch .LBB6_4142
.LBB6_5012:                             ;   in Loop: Header=BB6_4010 Depth=4
	s_mov_b32 s13, -1
	s_mov_b32 s39, exec_lo
                                        ; implicit-def: $sgpr37
	v_cmpx_eq_u16_e32 0x80, v94
; %bb.5013:                             ;   in Loop: Header=BB6_4010 Depth=4
	s_mov_b32 s37, 0x7f800001
	s_xor_b32 s13, exec_lo, -1
; %bb.5014:                             ;   in Loop: Header=BB6_4010 Depth=4
	s_or_b32 exec_lo, exec_lo, s39
	s_delay_alu instid0(SALU_CYCLE_1)
	s_and_b32 s13, s13, exec_lo
                                        ; implicit-def: $vgpr94
	s_or_saveexec_b32 s38, s38
	v_mov_b32_e32 v92, s37
	s_xor_b32 exec_lo, exec_lo, s38
	s_cbranch_execz .LBB6_4144
.LBB6_5015:                             ;   in Loop: Header=BB6_4010 Depth=4
	v_cmp_ne_u16_e32 vcc_lo, 0, v94
	v_mov_b32_e32 v92, 0
	s_and_not1_b32 s13, s13, exec_lo
	s_and_b32 vcc_lo, vcc_lo, exec_lo
	s_delay_alu instid0(SALU_CYCLE_1)
	s_or_b32 s13, s13, vcc_lo
	s_or_b32 exec_lo, exec_lo, s38
	s_and_saveexec_b32 s37, s13
	s_cbranch_execnz .LBB6_4145
	s_branch .LBB6_4146
.LBB6_5016:                             ;   in Loop: Header=BB6_4010 Depth=4
	s_mov_b32 s13, -1
	s_mov_b32 s39, exec_lo
                                        ; implicit-def: $sgpr37
	v_cmpx_eq_u16_e32 0x80, v93
; %bb.5017:                             ;   in Loop: Header=BB6_4010 Depth=4
	s_mov_b32 s37, 0x7f800001
	s_xor_b32 s13, exec_lo, -1
; %bb.5018:                             ;   in Loop: Header=BB6_4010 Depth=4
	s_or_b32 exec_lo, exec_lo, s39
	s_delay_alu instid0(SALU_CYCLE_1)
	s_and_b32 s13, s13, exec_lo
                                        ; implicit-def: $vgpr93
	s_or_saveexec_b32 s38, s38
	v_mov_b32_e32 v92, s37
	s_xor_b32 exec_lo, exec_lo, s38
	s_cbranch_execz .LBB6_4158
.LBB6_5019:                             ;   in Loop: Header=BB6_4010 Depth=4
	v_cmp_ne_u16_e32 vcc_lo, 0, v93
	v_mov_b32_e32 v92, 0
	s_and_not1_b32 s13, s13, exec_lo
	s_and_b32 vcc_lo, vcc_lo, exec_lo
	s_delay_alu instid0(SALU_CYCLE_1)
	s_or_b32 s13, s13, vcc_lo
	s_or_b32 exec_lo, exec_lo, s38
	s_and_saveexec_b32 s37, s13
	s_cbranch_execnz .LBB6_4159
	s_branch .LBB6_4160
.LBB6_5020:                             ;   in Loop: Header=BB6_4010 Depth=4
	s_mov_b32 s13, -1
	s_mov_b32 s39, exec_lo
                                        ; implicit-def: $sgpr37
	v_cmpx_eq_u16_e32 0x80, v94
; %bb.5021:                             ;   in Loop: Header=BB6_4010 Depth=4
	s_mov_b32 s37, 0x7f800001
	s_xor_b32 s13, exec_lo, -1
; %bb.5022:                             ;   in Loop: Header=BB6_4010 Depth=4
	s_or_b32 exec_lo, exec_lo, s39
	s_delay_alu instid0(SALU_CYCLE_1)
	s_and_b32 s13, s13, exec_lo
                                        ; implicit-def: $vgpr94
	s_or_saveexec_b32 s38, s38
	v_mov_b32_e32 v93, s37
	s_xor_b32 exec_lo, exec_lo, s38
	s_cbranch_execz .LBB6_4162
.LBB6_5023:                             ;   in Loop: Header=BB6_4010 Depth=4
	v_cmp_ne_u16_e32 vcc_lo, 0, v94
	v_mov_b32_e32 v93, 0
	s_and_not1_b32 s13, s13, exec_lo
	s_and_b32 vcc_lo, vcc_lo, exec_lo
	s_delay_alu instid0(SALU_CYCLE_1)
	s_or_b32 s13, s13, vcc_lo
	s_or_b32 exec_lo, exec_lo, s38
	s_and_saveexec_b32 s37, s13
	s_cbranch_execnz .LBB6_4163
	s_branch .LBB6_4164
.LBB6_5024:                             ;   in Loop: Header=BB6_4010 Depth=4
	s_mov_b32 s13, -1
	s_mov_b32 s39, exec_lo
                                        ; implicit-def: $sgpr37
	v_cmpx_eq_u16_e32 0x80, v93
; %bb.5025:                             ;   in Loop: Header=BB6_4010 Depth=4
	s_mov_b32 s37, 0x7f800001
	s_xor_b32 s13, exec_lo, -1
; %bb.5026:                             ;   in Loop: Header=BB6_4010 Depth=4
	s_or_b32 exec_lo, exec_lo, s39
	s_delay_alu instid0(SALU_CYCLE_1)
	s_and_b32 s13, s13, exec_lo
                                        ; implicit-def: $vgpr93
	s_or_saveexec_b32 s38, s38
	v_mov_b32_e32 v92, s37
	s_xor_b32 exec_lo, exec_lo, s38
	s_cbranch_execz .LBB6_4169
.LBB6_5027:                             ;   in Loop: Header=BB6_4010 Depth=4
	v_cmp_ne_u16_e32 vcc_lo, 0, v93
	v_mov_b32_e32 v92, 0
	s_and_not1_b32 s13, s13, exec_lo
	s_and_b32 vcc_lo, vcc_lo, exec_lo
	s_delay_alu instid0(SALU_CYCLE_1)
	s_or_b32 s13, s13, vcc_lo
	s_or_b32 exec_lo, exec_lo, s38
	s_and_saveexec_b32 s37, s13
	s_cbranch_execnz .LBB6_4170
	s_branch .LBB6_4171
.LBB6_5028:                             ;   in Loop: Header=BB6_4010 Depth=4
	s_mov_b32 s13, -1
	s_mov_b32 s39, exec_lo
                                        ; implicit-def: $sgpr37
	v_cmpx_eq_u16_e32 0x80, v93
; %bb.5029:                             ;   in Loop: Header=BB6_4010 Depth=4
	s_mov_b32 s37, 0x7f800001
	s_xor_b32 s13, exec_lo, -1
; %bb.5030:                             ;   in Loop: Header=BB6_4010 Depth=4
	s_or_b32 exec_lo, exec_lo, s39
	s_delay_alu instid0(SALU_CYCLE_1)
	s_and_b32 s13, s13, exec_lo
                                        ; implicit-def: $vgpr93
	s_or_saveexec_b32 s38, s38
	v_mov_b32_e32 v91, s37
	s_xor_b32 exec_lo, exec_lo, s38
	s_cbranch_execz .LBB6_4173
.LBB6_5031:                             ;   in Loop: Header=BB6_4010 Depth=4
	v_cmp_ne_u16_e32 vcc_lo, 0, v93
	v_mov_b32_e32 v91, 0
	s_and_not1_b32 s13, s13, exec_lo
	s_and_b32 vcc_lo, vcc_lo, exec_lo
	s_delay_alu instid0(SALU_CYCLE_1)
	s_or_b32 s13, s13, vcc_lo
	s_or_b32 exec_lo, exec_lo, s38
	s_and_saveexec_b32 s37, s13
	s_cbranch_execnz .LBB6_4174
	s_branch .LBB6_4175
.LBB6_5032:                             ;   in Loop: Header=BB6_4010 Depth=4
	s_mov_b32 s13, -1
	s_mov_b32 s39, exec_lo
                                        ; implicit-def: $sgpr37
	v_cmpx_eq_u16_e32 0x80, v92
; %bb.5033:                             ;   in Loop: Header=BB6_4010 Depth=4
	s_mov_b32 s37, 0x7f800001
	s_xor_b32 s13, exec_lo, -1
; %bb.5034:                             ;   in Loop: Header=BB6_4010 Depth=4
	s_or_b32 exec_lo, exec_lo, s39
	s_delay_alu instid0(SALU_CYCLE_1)
	s_and_b32 s13, s13, exec_lo
                                        ; implicit-def: $vgpr92
	s_or_saveexec_b32 s38, s38
	v_mov_b32_e32 v91, s37
	s_xor_b32 exec_lo, exec_lo, s38
	s_cbranch_execz .LBB6_4187
.LBB6_5035:                             ;   in Loop: Header=BB6_4010 Depth=4
	v_cmp_ne_u16_e32 vcc_lo, 0, v92
	v_mov_b32_e32 v91, 0
	s_and_not1_b32 s13, s13, exec_lo
	s_and_b32 vcc_lo, vcc_lo, exec_lo
	s_delay_alu instid0(SALU_CYCLE_1)
	s_or_b32 s13, s13, vcc_lo
	s_or_b32 exec_lo, exec_lo, s38
	s_and_saveexec_b32 s37, s13
	s_cbranch_execnz .LBB6_4188
	s_branch .LBB6_4189
.LBB6_5036:                             ;   in Loop: Header=BB6_4010 Depth=4
	s_mov_b32 s13, -1
	s_mov_b32 s39, exec_lo
                                        ; implicit-def: $sgpr37
	v_cmpx_eq_u16_e32 0x80, v93
; %bb.5037:                             ;   in Loop: Header=BB6_4010 Depth=4
	s_mov_b32 s37, 0x7f800001
	s_xor_b32 s13, exec_lo, -1
; %bb.5038:                             ;   in Loop: Header=BB6_4010 Depth=4
	s_or_b32 exec_lo, exec_lo, s39
	s_delay_alu instid0(SALU_CYCLE_1)
	s_and_b32 s13, s13, exec_lo
                                        ; implicit-def: $vgpr93
	s_or_saveexec_b32 s38, s38
	v_mov_b32_e32 v92, s37
	s_xor_b32 exec_lo, exec_lo, s38
	s_cbranch_execz .LBB6_4191
.LBB6_5039:                             ;   in Loop: Header=BB6_4010 Depth=4
	v_cmp_ne_u16_e32 vcc_lo, 0, v93
	v_mov_b32_e32 v92, 0
	s_and_not1_b32 s13, s13, exec_lo
	s_and_b32 vcc_lo, vcc_lo, exec_lo
	s_delay_alu instid0(SALU_CYCLE_1)
	s_or_b32 s13, s13, vcc_lo
	s_or_b32 exec_lo, exec_lo, s38
	s_and_saveexec_b32 s37, s13
	s_cbranch_execnz .LBB6_4192
	s_branch .LBB6_4193
.LBB6_5040:                             ;   in Loop: Header=BB6_4010 Depth=4
	s_mov_b32 s13, -1
	s_mov_b32 s39, exec_lo
                                        ; implicit-def: $sgpr37
	v_cmpx_eq_u16_e32 0x80, v92
; %bb.5041:                             ;   in Loop: Header=BB6_4010 Depth=4
	s_mov_b32 s37, 0x7f800001
	s_xor_b32 s13, exec_lo, -1
; %bb.5042:                             ;   in Loop: Header=BB6_4010 Depth=4
	s_or_b32 exec_lo, exec_lo, s39
	s_delay_alu instid0(SALU_CYCLE_1)
	s_and_b32 s13, s13, exec_lo
                                        ; implicit-def: $vgpr92
	s_or_saveexec_b32 s38, s38
	v_mov_b32_e32 v91, s37
	s_xor_b32 exec_lo, exec_lo, s38
	s_cbranch_execz .LBB6_4198
.LBB6_5043:                             ;   in Loop: Header=BB6_4010 Depth=4
	v_cmp_ne_u16_e32 vcc_lo, 0, v92
	v_mov_b32_e32 v91, 0
	s_and_not1_b32 s13, s13, exec_lo
	s_and_b32 vcc_lo, vcc_lo, exec_lo
	s_delay_alu instid0(SALU_CYCLE_1)
	s_or_b32 s13, s13, vcc_lo
	s_or_b32 exec_lo, exec_lo, s38
	s_and_saveexec_b32 s37, s13
	s_cbranch_execnz .LBB6_4199
	s_branch .LBB6_4200
.LBB6_5044:                             ;   in Loop: Header=BB6_4010 Depth=4
	s_mov_b32 s13, -1
	s_mov_b32 s39, exec_lo
                                        ; implicit-def: $sgpr37
	v_cmpx_eq_u16_e32 0x80, v92
; %bb.5045:                             ;   in Loop: Header=BB6_4010 Depth=4
	s_mov_b32 s37, 0x7f800001
	s_xor_b32 s13, exec_lo, -1
; %bb.5046:                             ;   in Loop: Header=BB6_4010 Depth=4
	s_or_b32 exec_lo, exec_lo, s39
	s_delay_alu instid0(SALU_CYCLE_1)
	s_and_b32 s13, s13, exec_lo
                                        ; implicit-def: $vgpr92
	s_or_saveexec_b32 s38, s38
	v_mov_b32_e32 v90, s37
	s_xor_b32 exec_lo, exec_lo, s38
	s_cbranch_execz .LBB6_4202
.LBB6_5047:                             ;   in Loop: Header=BB6_4010 Depth=4
	v_cmp_ne_u16_e32 vcc_lo, 0, v92
	v_mov_b32_e32 v90, 0
	s_and_not1_b32 s13, s13, exec_lo
	s_and_b32 vcc_lo, vcc_lo, exec_lo
	s_delay_alu instid0(SALU_CYCLE_1)
	s_or_b32 s13, s13, vcc_lo
	s_or_b32 exec_lo, exec_lo, s38
	s_and_saveexec_b32 s37, s13
	s_cbranch_execnz .LBB6_4203
	s_branch .LBB6_4204
.LBB6_5048:                             ;   in Loop: Header=BB6_4010 Depth=4
	s_mov_b32 s13, -1
	s_mov_b32 s39, exec_lo
                                        ; implicit-def: $sgpr37
	v_cmpx_eq_u16_e32 0x80, v91
; %bb.5049:                             ;   in Loop: Header=BB6_4010 Depth=4
	s_mov_b32 s37, 0x7f800001
	s_xor_b32 s13, exec_lo, -1
; %bb.5050:                             ;   in Loop: Header=BB6_4010 Depth=4
	s_or_b32 exec_lo, exec_lo, s39
	s_delay_alu instid0(SALU_CYCLE_1)
	s_and_b32 s13, s13, exec_lo
                                        ; implicit-def: $vgpr91
	s_or_saveexec_b32 s38, s38
	v_mov_b32_e32 v90, s37
	s_xor_b32 exec_lo, exec_lo, s38
	s_cbranch_execz .LBB6_4216
.LBB6_5051:                             ;   in Loop: Header=BB6_4010 Depth=4
	v_cmp_ne_u16_e32 vcc_lo, 0, v91
	v_mov_b32_e32 v90, 0
	s_and_not1_b32 s13, s13, exec_lo
	s_and_b32 vcc_lo, vcc_lo, exec_lo
	s_delay_alu instid0(SALU_CYCLE_1)
	s_or_b32 s13, s13, vcc_lo
	s_or_b32 exec_lo, exec_lo, s38
	s_and_saveexec_b32 s37, s13
	s_cbranch_execnz .LBB6_4217
	s_branch .LBB6_4218
.LBB6_5052:                             ;   in Loop: Header=BB6_4010 Depth=4
	s_mov_b32 s13, -1
	s_mov_b32 s39, exec_lo
                                        ; implicit-def: $sgpr37
	v_cmpx_eq_u16_e32 0x80, v92
; %bb.5053:                             ;   in Loop: Header=BB6_4010 Depth=4
	s_mov_b32 s37, 0x7f800001
	s_xor_b32 s13, exec_lo, -1
; %bb.5054:                             ;   in Loop: Header=BB6_4010 Depth=4
	s_or_b32 exec_lo, exec_lo, s39
	s_delay_alu instid0(SALU_CYCLE_1)
	s_and_b32 s13, s13, exec_lo
                                        ; implicit-def: $vgpr92
	s_or_saveexec_b32 s38, s38
	v_mov_b32_e32 v91, s37
	s_xor_b32 exec_lo, exec_lo, s38
	s_cbranch_execz .LBB6_4220
.LBB6_5055:                             ;   in Loop: Header=BB6_4010 Depth=4
	v_cmp_ne_u16_e32 vcc_lo, 0, v92
	v_mov_b32_e32 v91, 0
	s_and_not1_b32 s13, s13, exec_lo
	s_and_b32 vcc_lo, vcc_lo, exec_lo
	s_delay_alu instid0(SALU_CYCLE_1)
	s_or_b32 s13, s13, vcc_lo
	s_or_b32 exec_lo, exec_lo, s38
	s_and_saveexec_b32 s37, s13
	s_cbranch_execnz .LBB6_4221
	s_branch .LBB6_4222
.LBB6_5056:                             ;   in Loop: Header=BB6_4010 Depth=4
	s_mov_b32 s13, -1
	s_mov_b32 s39, exec_lo
                                        ; implicit-def: $sgpr37
	v_cmpx_eq_u16_e32 0x80, v91
; %bb.5057:                             ;   in Loop: Header=BB6_4010 Depth=4
	s_mov_b32 s37, 0x7f800001
	s_xor_b32 s13, exec_lo, -1
; %bb.5058:                             ;   in Loop: Header=BB6_4010 Depth=4
	s_or_b32 exec_lo, exec_lo, s39
	s_delay_alu instid0(SALU_CYCLE_1)
	s_and_b32 s13, s13, exec_lo
                                        ; implicit-def: $vgpr91
	s_or_saveexec_b32 s38, s38
	v_mov_b32_e32 v90, s37
	s_xor_b32 exec_lo, exec_lo, s38
	s_cbranch_execz .LBB6_4227
.LBB6_5059:                             ;   in Loop: Header=BB6_4010 Depth=4
	v_cmp_ne_u16_e32 vcc_lo, 0, v91
	v_mov_b32_e32 v90, 0
	s_and_not1_b32 s13, s13, exec_lo
	s_and_b32 vcc_lo, vcc_lo, exec_lo
	s_delay_alu instid0(SALU_CYCLE_1)
	s_or_b32 s13, s13, vcc_lo
	s_or_b32 exec_lo, exec_lo, s38
	s_and_saveexec_b32 s37, s13
	s_cbranch_execnz .LBB6_4228
	s_branch .LBB6_4229
.LBB6_5060:                             ;   in Loop: Header=BB6_4010 Depth=4
	s_mov_b32 s13, -1
	s_mov_b32 s39, exec_lo
                                        ; implicit-def: $sgpr37
	v_cmpx_eq_u16_e32 0x80, v91
; %bb.5061:                             ;   in Loop: Header=BB6_4010 Depth=4
	s_mov_b32 s37, 0x7f800001
	s_xor_b32 s13, exec_lo, -1
; %bb.5062:                             ;   in Loop: Header=BB6_4010 Depth=4
	s_or_b32 exec_lo, exec_lo, s39
	s_delay_alu instid0(SALU_CYCLE_1)
	s_and_b32 s13, s13, exec_lo
                                        ; implicit-def: $vgpr91
	s_or_saveexec_b32 s38, s38
	v_mov_b32_e32 v89, s37
	s_xor_b32 exec_lo, exec_lo, s38
	s_cbranch_execz .LBB6_4231
.LBB6_5063:                             ;   in Loop: Header=BB6_4010 Depth=4
	v_cmp_ne_u16_e32 vcc_lo, 0, v91
	v_mov_b32_e32 v89, 0
	s_and_not1_b32 s13, s13, exec_lo
	s_and_b32 vcc_lo, vcc_lo, exec_lo
	s_delay_alu instid0(SALU_CYCLE_1)
	s_or_b32 s13, s13, vcc_lo
	s_or_b32 exec_lo, exec_lo, s38
	s_and_saveexec_b32 s37, s13
	s_cbranch_execnz .LBB6_4232
	s_branch .LBB6_4233
.LBB6_5064:                             ;   in Loop: Header=BB6_4010 Depth=4
	s_mov_b32 s13, -1
	s_mov_b32 s39, exec_lo
                                        ; implicit-def: $sgpr37
	v_cmpx_eq_u16_e32 0x80, v90
; %bb.5065:                             ;   in Loop: Header=BB6_4010 Depth=4
	s_mov_b32 s37, 0x7f800001
	s_xor_b32 s13, exec_lo, -1
; %bb.5066:                             ;   in Loop: Header=BB6_4010 Depth=4
	s_or_b32 exec_lo, exec_lo, s39
	s_delay_alu instid0(SALU_CYCLE_1)
	s_and_b32 s13, s13, exec_lo
                                        ; implicit-def: $vgpr90
	s_or_saveexec_b32 s38, s38
	v_mov_b32_e32 v89, s37
	s_xor_b32 exec_lo, exec_lo, s38
	s_cbranch_execz .LBB6_4245
.LBB6_5067:                             ;   in Loop: Header=BB6_4010 Depth=4
	v_cmp_ne_u16_e32 vcc_lo, 0, v90
	v_mov_b32_e32 v89, 0
	s_and_not1_b32 s13, s13, exec_lo
	s_and_b32 vcc_lo, vcc_lo, exec_lo
	s_delay_alu instid0(SALU_CYCLE_1)
	s_or_b32 s13, s13, vcc_lo
	s_or_b32 exec_lo, exec_lo, s38
	s_and_saveexec_b32 s37, s13
	s_cbranch_execnz .LBB6_4246
	s_branch .LBB6_4247
.LBB6_5068:                             ;   in Loop: Header=BB6_4010 Depth=4
	s_mov_b32 s13, -1
	s_mov_b32 s39, exec_lo
                                        ; implicit-def: $sgpr37
	v_cmpx_eq_u16_e32 0x80, v91
; %bb.5069:                             ;   in Loop: Header=BB6_4010 Depth=4
	s_mov_b32 s37, 0x7f800001
	s_xor_b32 s13, exec_lo, -1
; %bb.5070:                             ;   in Loop: Header=BB6_4010 Depth=4
	s_or_b32 exec_lo, exec_lo, s39
	s_delay_alu instid0(SALU_CYCLE_1)
	s_and_b32 s13, s13, exec_lo
                                        ; implicit-def: $vgpr91
	s_or_saveexec_b32 s38, s38
	v_mov_b32_e32 v90, s37
	s_xor_b32 exec_lo, exec_lo, s38
	s_cbranch_execz .LBB6_4249
.LBB6_5071:                             ;   in Loop: Header=BB6_4010 Depth=4
	v_cmp_ne_u16_e32 vcc_lo, 0, v91
	v_mov_b32_e32 v90, 0
	s_and_not1_b32 s13, s13, exec_lo
	s_and_b32 vcc_lo, vcc_lo, exec_lo
	s_delay_alu instid0(SALU_CYCLE_1)
	s_or_b32 s13, s13, vcc_lo
	s_or_b32 exec_lo, exec_lo, s38
	s_and_saveexec_b32 s37, s13
	s_cbranch_execnz .LBB6_4250
	s_branch .LBB6_4251
.LBB6_5072:                             ;   in Loop: Header=BB6_4010 Depth=4
	s_mov_b32 s13, -1
	s_mov_b32 s39, exec_lo
                                        ; implicit-def: $sgpr37
	v_cmpx_eq_u16_e32 0x80, v90
; %bb.5073:                             ;   in Loop: Header=BB6_4010 Depth=4
	s_mov_b32 s37, 0x7f800001
	s_xor_b32 s13, exec_lo, -1
; %bb.5074:                             ;   in Loop: Header=BB6_4010 Depth=4
	s_or_b32 exec_lo, exec_lo, s39
	s_delay_alu instid0(SALU_CYCLE_1)
	s_and_b32 s13, s13, exec_lo
                                        ; implicit-def: $vgpr90
	s_or_saveexec_b32 s38, s38
	v_mov_b32_e32 v89, s37
	s_xor_b32 exec_lo, exec_lo, s38
	s_cbranch_execz .LBB6_4256
.LBB6_5075:                             ;   in Loop: Header=BB6_4010 Depth=4
	v_cmp_ne_u16_e32 vcc_lo, 0, v90
	v_mov_b32_e32 v89, 0
	s_and_not1_b32 s13, s13, exec_lo
	s_and_b32 vcc_lo, vcc_lo, exec_lo
	s_delay_alu instid0(SALU_CYCLE_1)
	s_or_b32 s13, s13, vcc_lo
	s_or_b32 exec_lo, exec_lo, s38
	s_and_saveexec_b32 s37, s13
	s_cbranch_execnz .LBB6_4257
	s_branch .LBB6_4258
.LBB6_5076:                             ;   in Loop: Header=BB6_4010 Depth=4
	s_mov_b32 s13, -1
	s_mov_b32 s39, exec_lo
                                        ; implicit-def: $sgpr37
	v_cmpx_eq_u16_e32 0x80, v90
; %bb.5077:                             ;   in Loop: Header=BB6_4010 Depth=4
	s_mov_b32 s37, 0x7f800001
	s_xor_b32 s13, exec_lo, -1
; %bb.5078:                             ;   in Loop: Header=BB6_4010 Depth=4
	s_or_b32 exec_lo, exec_lo, s39
	s_delay_alu instid0(SALU_CYCLE_1)
	s_and_b32 s13, s13, exec_lo
                                        ; implicit-def: $vgpr90
	s_or_saveexec_b32 s38, s38
	v_mov_b32_e32 v88, s37
	s_xor_b32 exec_lo, exec_lo, s38
	s_cbranch_execz .LBB6_4260
.LBB6_5079:                             ;   in Loop: Header=BB6_4010 Depth=4
	v_cmp_ne_u16_e32 vcc_lo, 0, v90
	v_mov_b32_e32 v88, 0
	s_and_not1_b32 s13, s13, exec_lo
	s_and_b32 vcc_lo, vcc_lo, exec_lo
	s_delay_alu instid0(SALU_CYCLE_1)
	s_or_b32 s13, s13, vcc_lo
	s_or_b32 exec_lo, exec_lo, s38
	s_and_saveexec_b32 s37, s13
	s_cbranch_execnz .LBB6_4261
	s_branch .LBB6_4262
.LBB6_5080:                             ;   in Loop: Header=BB6_4010 Depth=4
	s_mov_b32 s13, -1
	s_mov_b32 s39, exec_lo
                                        ; implicit-def: $sgpr37
	v_cmpx_eq_u16_e32 0x80, v89
; %bb.5081:                             ;   in Loop: Header=BB6_4010 Depth=4
	s_mov_b32 s37, 0x7f800001
	s_xor_b32 s13, exec_lo, -1
; %bb.5082:                             ;   in Loop: Header=BB6_4010 Depth=4
	s_or_b32 exec_lo, exec_lo, s39
	s_delay_alu instid0(SALU_CYCLE_1)
	s_and_b32 s13, s13, exec_lo
                                        ; implicit-def: $vgpr89
	s_or_saveexec_b32 s38, s38
	v_mov_b32_e32 v88, s37
	s_xor_b32 exec_lo, exec_lo, s38
	s_cbranch_execz .LBB6_4274
.LBB6_5083:                             ;   in Loop: Header=BB6_4010 Depth=4
	v_cmp_ne_u16_e32 vcc_lo, 0, v89
	v_mov_b32_e32 v88, 0
	s_and_not1_b32 s13, s13, exec_lo
	s_and_b32 vcc_lo, vcc_lo, exec_lo
	s_delay_alu instid0(SALU_CYCLE_1)
	s_or_b32 s13, s13, vcc_lo
	s_or_b32 exec_lo, exec_lo, s38
	s_and_saveexec_b32 s37, s13
	s_cbranch_execnz .LBB6_4275
	s_branch .LBB6_4276
.LBB6_5084:                             ;   in Loop: Header=BB6_4010 Depth=4
	s_mov_b32 s13, -1
	s_mov_b32 s39, exec_lo
                                        ; implicit-def: $sgpr37
	v_cmpx_eq_u16_e32 0x80, v90
; %bb.5085:                             ;   in Loop: Header=BB6_4010 Depth=4
	s_mov_b32 s37, 0x7f800001
	s_xor_b32 s13, exec_lo, -1
; %bb.5086:                             ;   in Loop: Header=BB6_4010 Depth=4
	s_or_b32 exec_lo, exec_lo, s39
	s_delay_alu instid0(SALU_CYCLE_1)
	s_and_b32 s13, s13, exec_lo
                                        ; implicit-def: $vgpr90
	s_or_saveexec_b32 s38, s38
	v_mov_b32_e32 v89, s37
	s_xor_b32 exec_lo, exec_lo, s38
	s_cbranch_execz .LBB6_4278
.LBB6_5087:                             ;   in Loop: Header=BB6_4010 Depth=4
	v_cmp_ne_u16_e32 vcc_lo, 0, v90
	v_mov_b32_e32 v89, 0
	s_and_not1_b32 s13, s13, exec_lo
	s_and_b32 vcc_lo, vcc_lo, exec_lo
	s_delay_alu instid0(SALU_CYCLE_1)
	s_or_b32 s13, s13, vcc_lo
	s_or_b32 exec_lo, exec_lo, s38
	s_and_saveexec_b32 s37, s13
	s_cbranch_execnz .LBB6_4279
	s_branch .LBB6_4280
.LBB6_5088:                             ;   in Loop: Header=BB6_4010 Depth=4
	s_mov_b32 s13, -1
	s_mov_b32 s39, exec_lo
                                        ; implicit-def: $sgpr37
	v_cmpx_eq_u16_e32 0x80, v89
; %bb.5089:                             ;   in Loop: Header=BB6_4010 Depth=4
	s_mov_b32 s37, 0x7f800001
	s_xor_b32 s13, exec_lo, -1
; %bb.5090:                             ;   in Loop: Header=BB6_4010 Depth=4
	s_or_b32 exec_lo, exec_lo, s39
	s_delay_alu instid0(SALU_CYCLE_1)
	s_and_b32 s13, s13, exec_lo
                                        ; implicit-def: $vgpr89
	s_or_saveexec_b32 s38, s38
	v_mov_b32_e32 v88, s37
	s_xor_b32 exec_lo, exec_lo, s38
	s_cbranch_execz .LBB6_4285
.LBB6_5091:                             ;   in Loop: Header=BB6_4010 Depth=4
	v_cmp_ne_u16_e32 vcc_lo, 0, v89
	v_mov_b32_e32 v88, 0
	s_and_not1_b32 s13, s13, exec_lo
	s_and_b32 vcc_lo, vcc_lo, exec_lo
	s_delay_alu instid0(SALU_CYCLE_1)
	s_or_b32 s13, s13, vcc_lo
	s_or_b32 exec_lo, exec_lo, s38
	s_and_saveexec_b32 s37, s13
	s_cbranch_execnz .LBB6_4286
	s_branch .LBB6_4287
.LBB6_5092:                             ;   in Loop: Header=BB6_4010 Depth=4
	s_mov_b32 s13, -1
	s_mov_b32 s39, exec_lo
                                        ; implicit-def: $sgpr37
	v_cmpx_eq_u16_e32 0x80, v89
; %bb.5093:                             ;   in Loop: Header=BB6_4010 Depth=4
	s_mov_b32 s37, 0x7f800001
	s_xor_b32 s13, exec_lo, -1
; %bb.5094:                             ;   in Loop: Header=BB6_4010 Depth=4
	s_or_b32 exec_lo, exec_lo, s39
	s_delay_alu instid0(SALU_CYCLE_1)
	s_and_b32 s13, s13, exec_lo
                                        ; implicit-def: $vgpr89
	s_or_saveexec_b32 s38, s38
	v_mov_b32_e32 v79, s37
	s_xor_b32 exec_lo, exec_lo, s38
	s_cbranch_execz .LBB6_4289
.LBB6_5095:                             ;   in Loop: Header=BB6_4010 Depth=4
	v_cmp_ne_u16_e32 vcc_lo, 0, v89
	v_mov_b32_e32 v79, 0
	s_and_not1_b32 s13, s13, exec_lo
	s_and_b32 vcc_lo, vcc_lo, exec_lo
	s_delay_alu instid0(SALU_CYCLE_1)
	s_or_b32 s13, s13, vcc_lo
	s_or_b32 exec_lo, exec_lo, s38
	s_and_saveexec_b32 s37, s13
	s_cbranch_execnz .LBB6_4290
	s_branch .LBB6_4291
.LBB6_5096:                             ;   in Loop: Header=BB6_4010 Depth=4
	s_mov_b32 s13, -1
	s_mov_b32 s39, exec_lo
                                        ; implicit-def: $sgpr37
	v_cmpx_eq_u16_e32 0x80, v88
; %bb.5097:                             ;   in Loop: Header=BB6_4010 Depth=4
	s_mov_b32 s37, 0x7f800001
	s_xor_b32 s13, exec_lo, -1
; %bb.5098:                             ;   in Loop: Header=BB6_4010 Depth=4
	s_or_b32 exec_lo, exec_lo, s39
	s_delay_alu instid0(SALU_CYCLE_1)
	s_and_b32 s13, s13, exec_lo
                                        ; implicit-def: $vgpr88
	s_or_saveexec_b32 s38, s38
	v_mov_b32_e32 v79, s37
	s_xor_b32 exec_lo, exec_lo, s38
	s_cbranch_execz .LBB6_4303
.LBB6_5099:                             ;   in Loop: Header=BB6_4010 Depth=4
	v_cmp_ne_u16_e32 vcc_lo, 0, v88
	v_mov_b32_e32 v79, 0
	s_and_not1_b32 s13, s13, exec_lo
	s_and_b32 vcc_lo, vcc_lo, exec_lo
	s_delay_alu instid0(SALU_CYCLE_1)
	s_or_b32 s13, s13, vcc_lo
	s_or_b32 exec_lo, exec_lo, s38
	s_and_saveexec_b32 s37, s13
	s_cbranch_execnz .LBB6_4304
	s_branch .LBB6_4305
.LBB6_5100:                             ;   in Loop: Header=BB6_4010 Depth=4
	s_mov_b32 s13, -1
	s_mov_b32 s39, exec_lo
                                        ; implicit-def: $sgpr37
	v_cmpx_eq_u16_e32 0x80, v89
; %bb.5101:                             ;   in Loop: Header=BB6_4010 Depth=4
	s_mov_b32 s37, 0x7f800001
	s_xor_b32 s13, exec_lo, -1
; %bb.5102:                             ;   in Loop: Header=BB6_4010 Depth=4
	s_or_b32 exec_lo, exec_lo, s39
	s_delay_alu instid0(SALU_CYCLE_1)
	s_and_b32 s13, s13, exec_lo
                                        ; implicit-def: $vgpr89
	s_or_saveexec_b32 s38, s38
	v_mov_b32_e32 v88, s37
	s_xor_b32 exec_lo, exec_lo, s38
	s_cbranch_execz .LBB6_4307
.LBB6_5103:                             ;   in Loop: Header=BB6_4010 Depth=4
	v_cmp_ne_u16_e32 vcc_lo, 0, v89
	v_mov_b32_e32 v88, 0
	s_and_not1_b32 s13, s13, exec_lo
	s_and_b32 vcc_lo, vcc_lo, exec_lo
	s_delay_alu instid0(SALU_CYCLE_1)
	s_or_b32 s13, s13, vcc_lo
	s_or_b32 exec_lo, exec_lo, s38
	s_and_saveexec_b32 s37, s13
	s_cbranch_execnz .LBB6_4308
	s_branch .LBB6_4309
.LBB6_5104:                             ;   in Loop: Header=BB6_4010 Depth=4
	s_mov_b32 s13, -1
	s_mov_b32 s39, exec_lo
                                        ; implicit-def: $sgpr37
	v_cmpx_eq_u16_e32 0x80, v88
; %bb.5105:                             ;   in Loop: Header=BB6_4010 Depth=4
	s_mov_b32 s37, 0x7f800001
	s_xor_b32 s13, exec_lo, -1
; %bb.5106:                             ;   in Loop: Header=BB6_4010 Depth=4
	s_or_b32 exec_lo, exec_lo, s39
	s_delay_alu instid0(SALU_CYCLE_1)
	s_and_b32 s13, s13, exec_lo
                                        ; implicit-def: $vgpr88
	s_or_saveexec_b32 s38, s38
	v_mov_b32_e32 v79, s37
	s_xor_b32 exec_lo, exec_lo, s38
	s_cbranch_execz .LBB6_4314
.LBB6_5107:                             ;   in Loop: Header=BB6_4010 Depth=4
	v_cmp_ne_u16_e32 vcc_lo, 0, v88
	v_mov_b32_e32 v79, 0
	s_and_not1_b32 s13, s13, exec_lo
	s_and_b32 vcc_lo, vcc_lo, exec_lo
	s_delay_alu instid0(SALU_CYCLE_1)
	s_or_b32 s13, s13, vcc_lo
	s_or_b32 exec_lo, exec_lo, s38
	s_and_saveexec_b32 s37, s13
	s_cbranch_execnz .LBB6_4315
	s_branch .LBB6_4316
.LBB6_5108:                             ;   in Loop: Header=BB6_4010 Depth=4
	s_mov_b32 s13, -1
	s_mov_b32 s39, exec_lo
                                        ; implicit-def: $sgpr37
	v_cmpx_eq_u16_e32 0x80, v88
; %bb.5109:                             ;   in Loop: Header=BB6_4010 Depth=4
	s_mov_b32 s37, 0x7f800001
	s_xor_b32 s13, exec_lo, -1
; %bb.5110:                             ;   in Loop: Header=BB6_4010 Depth=4
	s_or_b32 exec_lo, exec_lo, s39
	s_delay_alu instid0(SALU_CYCLE_1)
	s_and_b32 s13, s13, exec_lo
                                        ; implicit-def: $vgpr88
	s_or_saveexec_b32 s38, s38
	v_mov_b32_e32 v78, s37
	s_xor_b32 exec_lo, exec_lo, s38
	s_cbranch_execz .LBB6_4318
.LBB6_5111:                             ;   in Loop: Header=BB6_4010 Depth=4
	v_cmp_ne_u16_e32 vcc_lo, 0, v88
	v_mov_b32_e32 v78, 0
	s_and_not1_b32 s13, s13, exec_lo
	s_and_b32 vcc_lo, vcc_lo, exec_lo
	s_delay_alu instid0(SALU_CYCLE_1)
	s_or_b32 s13, s13, vcc_lo
	s_or_b32 exec_lo, exec_lo, s38
	s_and_saveexec_b32 s37, s13
	s_cbranch_execnz .LBB6_4319
	s_branch .LBB6_4320
.LBB6_5112:                             ;   in Loop: Header=BB6_4010 Depth=4
	s_mov_b32 s13, -1
	s_mov_b32 s39, exec_lo
                                        ; implicit-def: $sgpr37
	v_cmpx_eq_u16_e32 0x80, v79
; %bb.5113:                             ;   in Loop: Header=BB6_4010 Depth=4
	s_mov_b32 s37, 0x7f800001
	s_xor_b32 s13, exec_lo, -1
; %bb.5114:                             ;   in Loop: Header=BB6_4010 Depth=4
	s_or_b32 exec_lo, exec_lo, s39
	s_delay_alu instid0(SALU_CYCLE_1)
	s_and_b32 s13, s13, exec_lo
                                        ; implicit-def: $vgpr79
	s_or_saveexec_b32 s38, s38
	v_mov_b32_e32 v78, s37
	s_xor_b32 exec_lo, exec_lo, s38
	s_cbranch_execz .LBB6_4332
.LBB6_5115:                             ;   in Loop: Header=BB6_4010 Depth=4
	v_cmp_ne_u16_e32 vcc_lo, 0, v79
	v_mov_b32_e32 v78, 0
	s_and_not1_b32 s13, s13, exec_lo
	s_and_b32 vcc_lo, vcc_lo, exec_lo
	s_delay_alu instid0(SALU_CYCLE_1)
	s_or_b32 s13, s13, vcc_lo
	s_or_b32 exec_lo, exec_lo, s38
	s_and_saveexec_b32 s37, s13
	s_cbranch_execnz .LBB6_4333
	s_branch .LBB6_4334
.LBB6_5116:                             ;   in Loop: Header=BB6_4010 Depth=4
	s_mov_b32 s13, -1
	s_mov_b32 s39, exec_lo
                                        ; implicit-def: $sgpr37
	v_cmpx_eq_u16_e32 0x80, v88
; %bb.5117:                             ;   in Loop: Header=BB6_4010 Depth=4
	s_mov_b32 s37, 0x7f800001
	s_xor_b32 s13, exec_lo, -1
; %bb.5118:                             ;   in Loop: Header=BB6_4010 Depth=4
	s_or_b32 exec_lo, exec_lo, s39
	s_delay_alu instid0(SALU_CYCLE_1)
	s_and_b32 s13, s13, exec_lo
                                        ; implicit-def: $vgpr88
	s_or_saveexec_b32 s38, s38
	v_mov_b32_e32 v79, s37
	s_xor_b32 exec_lo, exec_lo, s38
	s_cbranch_execz .LBB6_4336
.LBB6_5119:                             ;   in Loop: Header=BB6_4010 Depth=4
	v_cmp_ne_u16_e32 vcc_lo, 0, v88
	v_mov_b32_e32 v79, 0
	s_and_not1_b32 s13, s13, exec_lo
	s_and_b32 vcc_lo, vcc_lo, exec_lo
	s_delay_alu instid0(SALU_CYCLE_1)
	s_or_b32 s13, s13, vcc_lo
	s_or_b32 exec_lo, exec_lo, s38
	s_and_saveexec_b32 s37, s13
	s_cbranch_execnz .LBB6_4337
	s_branch .LBB6_4338
.LBB6_5120:                             ;   in Loop: Header=BB6_4010 Depth=4
	s_mov_b32 s13, -1
	s_mov_b32 s39, exec_lo
                                        ; implicit-def: $sgpr37
	v_cmpx_eq_u16_e32 0x80, v79
; %bb.5121:                             ;   in Loop: Header=BB6_4010 Depth=4
	s_mov_b32 s37, 0x7f800001
	s_xor_b32 s13, exec_lo, -1
; %bb.5122:                             ;   in Loop: Header=BB6_4010 Depth=4
	s_or_b32 exec_lo, exec_lo, s39
	s_delay_alu instid0(SALU_CYCLE_1)
	s_and_b32 s13, s13, exec_lo
                                        ; implicit-def: $vgpr79
	s_or_saveexec_b32 s38, s38
	v_mov_b32_e32 v78, s37
	s_xor_b32 exec_lo, exec_lo, s38
	s_cbranch_execz .LBB6_4343
.LBB6_5123:                             ;   in Loop: Header=BB6_4010 Depth=4
	v_cmp_ne_u16_e32 vcc_lo, 0, v79
	v_mov_b32_e32 v78, 0
	s_and_not1_b32 s13, s13, exec_lo
	s_and_b32 vcc_lo, vcc_lo, exec_lo
	s_delay_alu instid0(SALU_CYCLE_1)
	s_or_b32 s13, s13, vcc_lo
	s_or_b32 exec_lo, exec_lo, s38
	s_and_saveexec_b32 s37, s13
	s_cbranch_execnz .LBB6_4344
	s_branch .LBB6_4345
.LBB6_5124:                             ;   in Loop: Header=BB6_4010 Depth=4
	s_mov_b32 s13, -1
	s_mov_b32 s39, exec_lo
                                        ; implicit-def: $sgpr37
	v_cmpx_eq_u16_e32 0x80, v79
; %bb.5125:                             ;   in Loop: Header=BB6_4010 Depth=4
	s_mov_b32 s37, 0x7f800001
	s_xor_b32 s13, exec_lo, -1
; %bb.5126:                             ;   in Loop: Header=BB6_4010 Depth=4
	s_or_b32 exec_lo, exec_lo, s39
	s_delay_alu instid0(SALU_CYCLE_1)
	s_and_b32 s13, s13, exec_lo
                                        ; implicit-def: $vgpr79
	s_or_saveexec_b32 s38, s38
	v_mov_b32_e32 v77, s37
	s_xor_b32 exec_lo, exec_lo, s38
	s_cbranch_execz .LBB6_4347
.LBB6_5127:                             ;   in Loop: Header=BB6_4010 Depth=4
	v_cmp_ne_u16_e32 vcc_lo, 0, v79
	v_mov_b32_e32 v77, 0
	s_and_not1_b32 s13, s13, exec_lo
	s_and_b32 vcc_lo, vcc_lo, exec_lo
	s_delay_alu instid0(SALU_CYCLE_1)
	s_or_b32 s13, s13, vcc_lo
	s_or_b32 exec_lo, exec_lo, s38
	s_and_saveexec_b32 s37, s13
	s_cbranch_execnz .LBB6_4348
	s_branch .LBB6_4349
.LBB6_5128:                             ;   in Loop: Header=BB6_4010 Depth=4
	s_mov_b32 s13, -1
	s_mov_b32 s39, exec_lo
                                        ; implicit-def: $sgpr37
	v_cmpx_eq_u16_e32 0x80, v78
; %bb.5129:                             ;   in Loop: Header=BB6_4010 Depth=4
	s_mov_b32 s37, 0x7f800001
	s_xor_b32 s13, exec_lo, -1
; %bb.5130:                             ;   in Loop: Header=BB6_4010 Depth=4
	s_or_b32 exec_lo, exec_lo, s39
	s_delay_alu instid0(SALU_CYCLE_1)
	s_and_b32 s13, s13, exec_lo
                                        ; implicit-def: $vgpr78
	s_or_saveexec_b32 s38, s38
	v_mov_b32_e32 v77, s37
	s_xor_b32 exec_lo, exec_lo, s38
	s_cbranch_execz .LBB6_4361
.LBB6_5131:                             ;   in Loop: Header=BB6_4010 Depth=4
	v_cmp_ne_u16_e32 vcc_lo, 0, v78
	v_mov_b32_e32 v77, 0
	s_and_not1_b32 s13, s13, exec_lo
	s_and_b32 vcc_lo, vcc_lo, exec_lo
	s_delay_alu instid0(SALU_CYCLE_1)
	s_or_b32 s13, s13, vcc_lo
	s_or_b32 exec_lo, exec_lo, s38
	s_and_saveexec_b32 s37, s13
	s_cbranch_execnz .LBB6_4362
	s_branch .LBB6_4363
.LBB6_5132:                             ;   in Loop: Header=BB6_4010 Depth=4
	s_mov_b32 s13, -1
	s_mov_b32 s39, exec_lo
                                        ; implicit-def: $sgpr37
	v_cmpx_eq_u16_e32 0x80, v79
; %bb.5133:                             ;   in Loop: Header=BB6_4010 Depth=4
	s_mov_b32 s37, 0x7f800001
	s_xor_b32 s13, exec_lo, -1
; %bb.5134:                             ;   in Loop: Header=BB6_4010 Depth=4
	s_or_b32 exec_lo, exec_lo, s39
	s_delay_alu instid0(SALU_CYCLE_1)
	s_and_b32 s13, s13, exec_lo
                                        ; implicit-def: $vgpr79
	s_or_saveexec_b32 s38, s38
	v_mov_b32_e32 v78, s37
	s_xor_b32 exec_lo, exec_lo, s38
	s_cbranch_execz .LBB6_4365
.LBB6_5135:                             ;   in Loop: Header=BB6_4010 Depth=4
	v_cmp_ne_u16_e32 vcc_lo, 0, v79
	v_mov_b32_e32 v78, 0
	s_and_not1_b32 s13, s13, exec_lo
	s_and_b32 vcc_lo, vcc_lo, exec_lo
	s_delay_alu instid0(SALU_CYCLE_1)
	s_or_b32 s13, s13, vcc_lo
	s_or_b32 exec_lo, exec_lo, s38
	s_and_saveexec_b32 s37, s13
	s_cbranch_execnz .LBB6_4366
	s_branch .LBB6_4367
.LBB6_5136:                             ;   in Loop: Header=BB6_4010 Depth=4
	s_mov_b32 s13, -1
	s_mov_b32 s39, exec_lo
                                        ; implicit-def: $sgpr37
	v_cmpx_eq_u16_e32 0x80, v78
; %bb.5137:                             ;   in Loop: Header=BB6_4010 Depth=4
	s_mov_b32 s37, 0x7f800001
	s_xor_b32 s13, exec_lo, -1
; %bb.5138:                             ;   in Loop: Header=BB6_4010 Depth=4
	s_or_b32 exec_lo, exec_lo, s39
	s_delay_alu instid0(SALU_CYCLE_1)
	s_and_b32 s13, s13, exec_lo
                                        ; implicit-def: $vgpr78
	s_or_saveexec_b32 s38, s38
	v_mov_b32_e32 v77, s37
	s_xor_b32 exec_lo, exec_lo, s38
	s_cbranch_execz .LBB6_4372
.LBB6_5139:                             ;   in Loop: Header=BB6_4010 Depth=4
	v_cmp_ne_u16_e32 vcc_lo, 0, v78
	v_mov_b32_e32 v77, 0
	s_and_not1_b32 s13, s13, exec_lo
	s_and_b32 vcc_lo, vcc_lo, exec_lo
	s_delay_alu instid0(SALU_CYCLE_1)
	s_or_b32 s13, s13, vcc_lo
	s_or_b32 exec_lo, exec_lo, s38
	s_and_saveexec_b32 s37, s13
	s_cbranch_execnz .LBB6_4373
	s_branch .LBB6_4374
.LBB6_5140:                             ;   in Loop: Header=BB6_4010 Depth=4
	s_mov_b32 s13, -1
	s_mov_b32 s39, exec_lo
                                        ; implicit-def: $sgpr37
	v_cmpx_eq_u16_e32 0x80, v78
; %bb.5141:                             ;   in Loop: Header=BB6_4010 Depth=4
	s_mov_b32 s37, 0x7f800001
	s_xor_b32 s13, exec_lo, -1
; %bb.5142:                             ;   in Loop: Header=BB6_4010 Depth=4
	s_or_b32 exec_lo, exec_lo, s39
	s_delay_alu instid0(SALU_CYCLE_1)
	s_and_b32 s13, s13, exec_lo
                                        ; implicit-def: $vgpr78
	s_or_saveexec_b32 s38, s38
	v_mov_b32_e32 v76, s37
	s_xor_b32 exec_lo, exec_lo, s38
	s_cbranch_execz .LBB6_4376
.LBB6_5143:                             ;   in Loop: Header=BB6_4010 Depth=4
	v_cmp_ne_u16_e32 vcc_lo, 0, v78
	v_mov_b32_e32 v76, 0
	s_and_not1_b32 s13, s13, exec_lo
	s_and_b32 vcc_lo, vcc_lo, exec_lo
	s_delay_alu instid0(SALU_CYCLE_1)
	s_or_b32 s13, s13, vcc_lo
	s_or_b32 exec_lo, exec_lo, s38
	s_and_saveexec_b32 s37, s13
	s_cbranch_execnz .LBB6_4377
	s_branch .LBB6_4378
.LBB6_5144:                             ;   in Loop: Header=BB6_4010 Depth=4
	s_mov_b32 s13, -1
	s_mov_b32 s39, exec_lo
                                        ; implicit-def: $sgpr37
	v_cmpx_eq_u16_e32 0x80, v77
; %bb.5145:                             ;   in Loop: Header=BB6_4010 Depth=4
	s_mov_b32 s37, 0x7f800001
	s_xor_b32 s13, exec_lo, -1
; %bb.5146:                             ;   in Loop: Header=BB6_4010 Depth=4
	s_or_b32 exec_lo, exec_lo, s39
	s_delay_alu instid0(SALU_CYCLE_1)
	s_and_b32 s13, s13, exec_lo
                                        ; implicit-def: $vgpr77
	s_or_saveexec_b32 s38, s38
	v_mov_b32_e32 v76, s37
	s_xor_b32 exec_lo, exec_lo, s38
	s_cbranch_execz .LBB6_4390
.LBB6_5147:                             ;   in Loop: Header=BB6_4010 Depth=4
	v_cmp_ne_u16_e32 vcc_lo, 0, v77
	v_mov_b32_e32 v76, 0
	s_and_not1_b32 s13, s13, exec_lo
	s_and_b32 vcc_lo, vcc_lo, exec_lo
	s_delay_alu instid0(SALU_CYCLE_1)
	s_or_b32 s13, s13, vcc_lo
	s_or_b32 exec_lo, exec_lo, s38
	s_and_saveexec_b32 s37, s13
	s_cbranch_execnz .LBB6_4391
	s_branch .LBB6_4392
.LBB6_5148:                             ;   in Loop: Header=BB6_4010 Depth=4
	s_mov_b32 s13, -1
	s_mov_b32 s39, exec_lo
                                        ; implicit-def: $sgpr37
	v_cmpx_eq_u16_e32 0x80, v78
; %bb.5149:                             ;   in Loop: Header=BB6_4010 Depth=4
	s_mov_b32 s37, 0x7f800001
	s_xor_b32 s13, exec_lo, -1
; %bb.5150:                             ;   in Loop: Header=BB6_4010 Depth=4
	s_or_b32 exec_lo, exec_lo, s39
	s_delay_alu instid0(SALU_CYCLE_1)
	s_and_b32 s13, s13, exec_lo
                                        ; implicit-def: $vgpr78
	s_or_saveexec_b32 s38, s38
	v_mov_b32_e32 v77, s37
	s_xor_b32 exec_lo, exec_lo, s38
	s_cbranch_execz .LBB6_4394
.LBB6_5151:                             ;   in Loop: Header=BB6_4010 Depth=4
	v_cmp_ne_u16_e32 vcc_lo, 0, v78
	v_mov_b32_e32 v77, 0
	s_and_not1_b32 s13, s13, exec_lo
	s_and_b32 vcc_lo, vcc_lo, exec_lo
	s_delay_alu instid0(SALU_CYCLE_1)
	s_or_b32 s13, s13, vcc_lo
	s_or_b32 exec_lo, exec_lo, s38
	s_and_saveexec_b32 s37, s13
	s_cbranch_execnz .LBB6_4395
	s_branch .LBB6_4396
.LBB6_5152:                             ;   in Loop: Header=BB6_4010 Depth=4
	s_mov_b32 s13, -1
	s_mov_b32 s39, exec_lo
                                        ; implicit-def: $sgpr37
	v_cmpx_eq_u16_e32 0x80, v77
; %bb.5153:                             ;   in Loop: Header=BB6_4010 Depth=4
	s_mov_b32 s37, 0x7f800001
	s_xor_b32 s13, exec_lo, -1
; %bb.5154:                             ;   in Loop: Header=BB6_4010 Depth=4
	s_or_b32 exec_lo, exec_lo, s39
	s_delay_alu instid0(SALU_CYCLE_1)
	s_and_b32 s13, s13, exec_lo
                                        ; implicit-def: $vgpr77
	s_or_saveexec_b32 s38, s38
	v_mov_b32_e32 v76, s37
	s_xor_b32 exec_lo, exec_lo, s38
	s_cbranch_execz .LBB6_4401
.LBB6_5155:                             ;   in Loop: Header=BB6_4010 Depth=4
	v_cmp_ne_u16_e32 vcc_lo, 0, v77
	v_mov_b32_e32 v76, 0
	s_and_not1_b32 s13, s13, exec_lo
	s_and_b32 vcc_lo, vcc_lo, exec_lo
	s_delay_alu instid0(SALU_CYCLE_1)
	s_or_b32 s13, s13, vcc_lo
	s_or_b32 exec_lo, exec_lo, s38
	s_and_saveexec_b32 s37, s13
	s_cbranch_execnz .LBB6_4402
	s_branch .LBB6_4403
.LBB6_5156:                             ;   in Loop: Header=BB6_4010 Depth=4
	s_mov_b32 s13, -1
	s_mov_b32 s39, exec_lo
                                        ; implicit-def: $sgpr37
	v_cmpx_eq_u16_e32 0x80, v77
; %bb.5157:                             ;   in Loop: Header=BB6_4010 Depth=4
	s_mov_b32 s37, 0x7f800001
	s_xor_b32 s13, exec_lo, -1
; %bb.5158:                             ;   in Loop: Header=BB6_4010 Depth=4
	s_or_b32 exec_lo, exec_lo, s39
	s_delay_alu instid0(SALU_CYCLE_1)
	s_and_b32 s13, s13, exec_lo
                                        ; implicit-def: $vgpr77
	s_or_saveexec_b32 s38, s38
	v_mov_b32_e32 v75, s37
	s_xor_b32 exec_lo, exec_lo, s38
	s_cbranch_execz .LBB6_4405
.LBB6_5159:                             ;   in Loop: Header=BB6_4010 Depth=4
	v_cmp_ne_u16_e32 vcc_lo, 0, v77
	v_mov_b32_e32 v75, 0
	s_and_not1_b32 s13, s13, exec_lo
	s_and_b32 vcc_lo, vcc_lo, exec_lo
	s_delay_alu instid0(SALU_CYCLE_1)
	s_or_b32 s13, s13, vcc_lo
	s_or_b32 exec_lo, exec_lo, s38
	s_and_saveexec_b32 s37, s13
	s_cbranch_execnz .LBB6_4406
	s_branch .LBB6_4407
.LBB6_5160:                             ;   in Loop: Header=BB6_4010 Depth=4
	s_mov_b32 s13, -1
	s_mov_b32 s39, exec_lo
                                        ; implicit-def: $sgpr37
	v_cmpx_eq_u16_e32 0x80, v76
; %bb.5161:                             ;   in Loop: Header=BB6_4010 Depth=4
	s_mov_b32 s37, 0x7f800001
	s_xor_b32 s13, exec_lo, -1
; %bb.5162:                             ;   in Loop: Header=BB6_4010 Depth=4
	s_or_b32 exec_lo, exec_lo, s39
	s_delay_alu instid0(SALU_CYCLE_1)
	s_and_b32 s13, s13, exec_lo
                                        ; implicit-def: $vgpr76
	s_or_saveexec_b32 s38, s38
	v_mov_b32_e32 v75, s37
	s_xor_b32 exec_lo, exec_lo, s38
	s_cbranch_execz .LBB6_4419
.LBB6_5163:                             ;   in Loop: Header=BB6_4010 Depth=4
	v_cmp_ne_u16_e32 vcc_lo, 0, v76
	v_mov_b32_e32 v75, 0
	s_and_not1_b32 s13, s13, exec_lo
	s_and_b32 vcc_lo, vcc_lo, exec_lo
	s_delay_alu instid0(SALU_CYCLE_1)
	s_or_b32 s13, s13, vcc_lo
	s_or_b32 exec_lo, exec_lo, s38
	s_and_saveexec_b32 s37, s13
	s_cbranch_execnz .LBB6_4420
	s_branch .LBB6_4421
.LBB6_5164:                             ;   in Loop: Header=BB6_4010 Depth=4
	s_mov_b32 s13, -1
	s_mov_b32 s39, exec_lo
                                        ; implicit-def: $sgpr37
	v_cmpx_eq_u16_e32 0x80, v77
; %bb.5165:                             ;   in Loop: Header=BB6_4010 Depth=4
	s_mov_b32 s37, 0x7f800001
	s_xor_b32 s13, exec_lo, -1
; %bb.5166:                             ;   in Loop: Header=BB6_4010 Depth=4
	s_or_b32 exec_lo, exec_lo, s39
	s_delay_alu instid0(SALU_CYCLE_1)
	s_and_b32 s13, s13, exec_lo
                                        ; implicit-def: $vgpr77
	s_or_saveexec_b32 s38, s38
	v_mov_b32_e32 v76, s37
	s_xor_b32 exec_lo, exec_lo, s38
	s_cbranch_execz .LBB6_4423
.LBB6_5167:                             ;   in Loop: Header=BB6_4010 Depth=4
	v_cmp_ne_u16_e32 vcc_lo, 0, v77
	v_mov_b32_e32 v76, 0
	s_and_not1_b32 s13, s13, exec_lo
	s_and_b32 vcc_lo, vcc_lo, exec_lo
	s_delay_alu instid0(SALU_CYCLE_1)
	s_or_b32 s13, s13, vcc_lo
	s_or_b32 exec_lo, exec_lo, s38
	s_and_saveexec_b32 s37, s13
	s_cbranch_execnz .LBB6_4424
	s_branch .LBB6_4425
.LBB6_5168:                             ;   in Loop: Header=BB6_4010 Depth=4
	s_mov_b32 s13, -1
	s_mov_b32 s39, exec_lo
                                        ; implicit-def: $sgpr37
	v_cmpx_eq_u16_e32 0x80, v76
; %bb.5169:                             ;   in Loop: Header=BB6_4010 Depth=4
	s_mov_b32 s37, 0x7f800001
	s_xor_b32 s13, exec_lo, -1
; %bb.5170:                             ;   in Loop: Header=BB6_4010 Depth=4
	s_or_b32 exec_lo, exec_lo, s39
	s_delay_alu instid0(SALU_CYCLE_1)
	s_and_b32 s13, s13, exec_lo
                                        ; implicit-def: $vgpr76
	s_or_saveexec_b32 s38, s38
	v_mov_b32_e32 v75, s37
	s_xor_b32 exec_lo, exec_lo, s38
	s_cbranch_execz .LBB6_4430
.LBB6_5171:                             ;   in Loop: Header=BB6_4010 Depth=4
	v_cmp_ne_u16_e32 vcc_lo, 0, v76
	v_mov_b32_e32 v75, 0
	s_and_not1_b32 s13, s13, exec_lo
	s_and_b32 vcc_lo, vcc_lo, exec_lo
	s_delay_alu instid0(SALU_CYCLE_1)
	s_or_b32 s13, s13, vcc_lo
	s_or_b32 exec_lo, exec_lo, s38
	s_and_saveexec_b32 s37, s13
	s_cbranch_execnz .LBB6_4431
	s_branch .LBB6_4432
.LBB6_5172:                             ;   in Loop: Header=BB6_4010 Depth=4
	s_mov_b32 s13, -1
	s_mov_b32 s39, exec_lo
                                        ; implicit-def: $sgpr37
	v_cmpx_eq_u16_e32 0x80, v76
; %bb.5173:                             ;   in Loop: Header=BB6_4010 Depth=4
	s_mov_b32 s37, 0x7f800001
	s_xor_b32 s13, exec_lo, -1
; %bb.5174:                             ;   in Loop: Header=BB6_4010 Depth=4
	s_or_b32 exec_lo, exec_lo, s39
	s_delay_alu instid0(SALU_CYCLE_1)
	s_and_b32 s13, s13, exec_lo
                                        ; implicit-def: $vgpr76
	s_or_saveexec_b32 s38, s38
	v_mov_b32_e32 v74, s37
	s_xor_b32 exec_lo, exec_lo, s38
	s_cbranch_execz .LBB6_4434
.LBB6_5175:                             ;   in Loop: Header=BB6_4010 Depth=4
	v_cmp_ne_u16_e32 vcc_lo, 0, v76
	v_mov_b32_e32 v74, 0
	s_and_not1_b32 s13, s13, exec_lo
	s_and_b32 vcc_lo, vcc_lo, exec_lo
	s_delay_alu instid0(SALU_CYCLE_1)
	s_or_b32 s13, s13, vcc_lo
	s_or_b32 exec_lo, exec_lo, s38
	s_and_saveexec_b32 s37, s13
	s_cbranch_execnz .LBB6_4435
	s_branch .LBB6_4436
.LBB6_5176:                             ;   in Loop: Header=BB6_4010 Depth=4
	s_mov_b32 s13, -1
	s_mov_b32 s39, exec_lo
                                        ; implicit-def: $sgpr37
	v_cmpx_eq_u16_e32 0x80, v75
; %bb.5177:                             ;   in Loop: Header=BB6_4010 Depth=4
	s_mov_b32 s37, 0x7f800001
	s_xor_b32 s13, exec_lo, -1
; %bb.5178:                             ;   in Loop: Header=BB6_4010 Depth=4
	s_or_b32 exec_lo, exec_lo, s39
	s_delay_alu instid0(SALU_CYCLE_1)
	s_and_b32 s13, s13, exec_lo
                                        ; implicit-def: $vgpr75
	s_or_saveexec_b32 s38, s38
	v_mov_b32_e32 v74, s37
	s_xor_b32 exec_lo, exec_lo, s38
	s_cbranch_execz .LBB6_4448
.LBB6_5179:                             ;   in Loop: Header=BB6_4010 Depth=4
	v_cmp_ne_u16_e32 vcc_lo, 0, v75
	v_mov_b32_e32 v74, 0
	s_and_not1_b32 s13, s13, exec_lo
	s_and_b32 vcc_lo, vcc_lo, exec_lo
	s_delay_alu instid0(SALU_CYCLE_1)
	s_or_b32 s13, s13, vcc_lo
	s_or_b32 exec_lo, exec_lo, s38
	s_and_saveexec_b32 s37, s13
	s_cbranch_execnz .LBB6_4449
	s_branch .LBB6_4450
.LBB6_5180:                             ;   in Loop: Header=BB6_4010 Depth=4
	s_mov_b32 s13, -1
	s_mov_b32 s39, exec_lo
                                        ; implicit-def: $sgpr37
	v_cmpx_eq_u16_e32 0x80, v76
; %bb.5181:                             ;   in Loop: Header=BB6_4010 Depth=4
	s_mov_b32 s37, 0x7f800001
	s_xor_b32 s13, exec_lo, -1
; %bb.5182:                             ;   in Loop: Header=BB6_4010 Depth=4
	s_or_b32 exec_lo, exec_lo, s39
	s_delay_alu instid0(SALU_CYCLE_1)
	s_and_b32 s13, s13, exec_lo
                                        ; implicit-def: $vgpr76
	s_or_saveexec_b32 s38, s38
	v_mov_b32_e32 v75, s37
	s_xor_b32 exec_lo, exec_lo, s38
	s_cbranch_execz .LBB6_4452
.LBB6_5183:                             ;   in Loop: Header=BB6_4010 Depth=4
	v_cmp_ne_u16_e32 vcc_lo, 0, v76
	v_mov_b32_e32 v75, 0
	s_and_not1_b32 s13, s13, exec_lo
	s_and_b32 vcc_lo, vcc_lo, exec_lo
	s_delay_alu instid0(SALU_CYCLE_1)
	s_or_b32 s13, s13, vcc_lo
	s_or_b32 exec_lo, exec_lo, s38
	s_and_saveexec_b32 s37, s13
	s_cbranch_execnz .LBB6_4453
	s_branch .LBB6_4454
.LBB6_5184:                             ;   in Loop: Header=BB6_4010 Depth=4
	s_mov_b32 s13, -1
	s_mov_b32 s39, exec_lo
                                        ; implicit-def: $sgpr37
	v_cmpx_eq_u16_e32 0x80, v75
; %bb.5185:                             ;   in Loop: Header=BB6_4010 Depth=4
	s_mov_b32 s37, 0x7f800001
	s_xor_b32 s13, exec_lo, -1
; %bb.5186:                             ;   in Loop: Header=BB6_4010 Depth=4
	s_or_b32 exec_lo, exec_lo, s39
	s_delay_alu instid0(SALU_CYCLE_1)
	s_and_b32 s13, s13, exec_lo
                                        ; implicit-def: $vgpr75
	s_or_saveexec_b32 s38, s38
	v_mov_b32_e32 v74, s37
	s_xor_b32 exec_lo, exec_lo, s38
	s_cbranch_execz .LBB6_4459
.LBB6_5187:                             ;   in Loop: Header=BB6_4010 Depth=4
	v_cmp_ne_u16_e32 vcc_lo, 0, v75
	v_mov_b32_e32 v74, 0
	s_and_not1_b32 s13, s13, exec_lo
	s_and_b32 vcc_lo, vcc_lo, exec_lo
	s_delay_alu instid0(SALU_CYCLE_1)
	s_or_b32 s13, s13, vcc_lo
	s_or_b32 exec_lo, exec_lo, s38
	s_and_saveexec_b32 s37, s13
	s_cbranch_execnz .LBB6_4460
	s_branch .LBB6_4461
.LBB6_5188:                             ;   in Loop: Header=BB6_4010 Depth=4
	s_mov_b32 s13, -1
	s_mov_b32 s39, exec_lo
                                        ; implicit-def: $sgpr37
	v_cmpx_eq_u16_e32 0x80, v75
; %bb.5189:                             ;   in Loop: Header=BB6_4010 Depth=4
	s_mov_b32 s37, 0x7f800001
	s_xor_b32 s13, exec_lo, -1
; %bb.5190:                             ;   in Loop: Header=BB6_4010 Depth=4
	s_or_b32 exec_lo, exec_lo, s39
	s_delay_alu instid0(SALU_CYCLE_1)
	s_and_b32 s13, s13, exec_lo
                                        ; implicit-def: $vgpr75
	s_or_saveexec_b32 s38, s38
	v_mov_b32_e32 v73, s37
	s_xor_b32 exec_lo, exec_lo, s38
	s_cbranch_execz .LBB6_4463
.LBB6_5191:                             ;   in Loop: Header=BB6_4010 Depth=4
	v_cmp_ne_u16_e32 vcc_lo, 0, v75
	v_mov_b32_e32 v73, 0
	s_and_not1_b32 s13, s13, exec_lo
	s_and_b32 vcc_lo, vcc_lo, exec_lo
	s_delay_alu instid0(SALU_CYCLE_1)
	s_or_b32 s13, s13, vcc_lo
	s_or_b32 exec_lo, exec_lo, s38
	s_and_saveexec_b32 s37, s13
	s_cbranch_execnz .LBB6_4464
	s_branch .LBB6_4465
.LBB6_5192:                             ;   in Loop: Header=BB6_4010 Depth=4
	s_mov_b32 s13, -1
	s_mov_b32 s39, exec_lo
                                        ; implicit-def: $sgpr37
	v_cmpx_eq_u16_e32 0x80, v74
; %bb.5193:                             ;   in Loop: Header=BB6_4010 Depth=4
	s_mov_b32 s37, 0x7f800001
	s_xor_b32 s13, exec_lo, -1
; %bb.5194:                             ;   in Loop: Header=BB6_4010 Depth=4
	s_or_b32 exec_lo, exec_lo, s39
	s_delay_alu instid0(SALU_CYCLE_1)
	s_and_b32 s13, s13, exec_lo
                                        ; implicit-def: $vgpr74
	s_or_saveexec_b32 s38, s38
	v_mov_b32_e32 v73, s37
	s_xor_b32 exec_lo, exec_lo, s38
	s_cbranch_execz .LBB6_4477
.LBB6_5195:                             ;   in Loop: Header=BB6_4010 Depth=4
	v_cmp_ne_u16_e32 vcc_lo, 0, v74
	v_mov_b32_e32 v73, 0
	s_and_not1_b32 s13, s13, exec_lo
	s_and_b32 vcc_lo, vcc_lo, exec_lo
	s_delay_alu instid0(SALU_CYCLE_1)
	s_or_b32 s13, s13, vcc_lo
	s_or_b32 exec_lo, exec_lo, s38
	s_and_saveexec_b32 s37, s13
	s_cbranch_execnz .LBB6_4478
	s_branch .LBB6_4479
.LBB6_5196:                             ;   in Loop: Header=BB6_4010 Depth=4
	s_mov_b32 s13, -1
	s_mov_b32 s39, exec_lo
                                        ; implicit-def: $sgpr37
	v_cmpx_eq_u16_e32 0x80, v75
; %bb.5197:                             ;   in Loop: Header=BB6_4010 Depth=4
	s_mov_b32 s37, 0x7f800001
	s_xor_b32 s13, exec_lo, -1
; %bb.5198:                             ;   in Loop: Header=BB6_4010 Depth=4
	s_or_b32 exec_lo, exec_lo, s39
	s_delay_alu instid0(SALU_CYCLE_1)
	s_and_b32 s13, s13, exec_lo
                                        ; implicit-def: $vgpr75
	s_or_saveexec_b32 s38, s38
	v_mov_b32_e32 v74, s37
	s_xor_b32 exec_lo, exec_lo, s38
	s_cbranch_execz .LBB6_4481
.LBB6_5199:                             ;   in Loop: Header=BB6_4010 Depth=4
	v_cmp_ne_u16_e32 vcc_lo, 0, v75
	v_mov_b32_e32 v74, 0
	s_and_not1_b32 s13, s13, exec_lo
	s_and_b32 vcc_lo, vcc_lo, exec_lo
	s_delay_alu instid0(SALU_CYCLE_1)
	s_or_b32 s13, s13, vcc_lo
	s_or_b32 exec_lo, exec_lo, s38
	s_and_saveexec_b32 s37, s13
	s_cbranch_execnz .LBB6_4482
	s_branch .LBB6_4483
.LBB6_5200:                             ;   in Loop: Header=BB6_4010 Depth=4
	s_mov_b32 s13, -1
	s_mov_b32 s39, exec_lo
                                        ; implicit-def: $sgpr37
	v_cmpx_eq_u16_e32 0x80, v74
; %bb.5201:                             ;   in Loop: Header=BB6_4010 Depth=4
	s_mov_b32 s37, 0x7f800001
	s_xor_b32 s13, exec_lo, -1
; %bb.5202:                             ;   in Loop: Header=BB6_4010 Depth=4
	s_or_b32 exec_lo, exec_lo, s39
	s_delay_alu instid0(SALU_CYCLE_1)
	s_and_b32 s13, s13, exec_lo
                                        ; implicit-def: $vgpr74
	s_or_saveexec_b32 s38, s38
	v_mov_b32_e32 v73, s37
	s_xor_b32 exec_lo, exec_lo, s38
	s_cbranch_execz .LBB6_4488
.LBB6_5203:                             ;   in Loop: Header=BB6_4010 Depth=4
	v_cmp_ne_u16_e32 vcc_lo, 0, v74
	v_mov_b32_e32 v73, 0
	s_and_not1_b32 s13, s13, exec_lo
	s_and_b32 vcc_lo, vcc_lo, exec_lo
	s_delay_alu instid0(SALU_CYCLE_1)
	s_or_b32 s13, s13, vcc_lo
	s_or_b32 exec_lo, exec_lo, s38
	s_and_saveexec_b32 s37, s13
	s_cbranch_execnz .LBB6_4489
	s_branch .LBB6_4490
.LBB6_5204:                             ;   in Loop: Header=BB6_4010 Depth=4
	s_mov_b32 s13, -1
	s_mov_b32 s39, exec_lo
                                        ; implicit-def: $sgpr37
	v_cmpx_eq_u16_e32 0x80, v74
; %bb.5205:                             ;   in Loop: Header=BB6_4010 Depth=4
	s_mov_b32 s37, 0x7f800001
	s_xor_b32 s13, exec_lo, -1
; %bb.5206:                             ;   in Loop: Header=BB6_4010 Depth=4
	s_or_b32 exec_lo, exec_lo, s39
	s_delay_alu instid0(SALU_CYCLE_1)
	s_and_b32 s13, s13, exec_lo
                                        ; implicit-def: $vgpr74
	s_or_saveexec_b32 s38, s38
	v_mov_b32_e32 v63, s37
	s_xor_b32 exec_lo, exec_lo, s38
	s_cbranch_execz .LBB6_4492
.LBB6_5207:                             ;   in Loop: Header=BB6_4010 Depth=4
	v_cmp_ne_u16_e32 vcc_lo, 0, v74
	v_mov_b32_e32 v63, 0
	s_and_not1_b32 s13, s13, exec_lo
	s_and_b32 vcc_lo, vcc_lo, exec_lo
	s_delay_alu instid0(SALU_CYCLE_1)
	s_or_b32 s13, s13, vcc_lo
	s_or_b32 exec_lo, exec_lo, s38
	s_and_saveexec_b32 s37, s13
	s_cbranch_execnz .LBB6_4493
	s_branch .LBB6_4494
.LBB6_5208:                             ;   in Loop: Header=BB6_4010 Depth=4
	s_mov_b32 s13, -1
	s_mov_b32 s39, exec_lo
                                        ; implicit-def: $sgpr37
	v_cmpx_eq_u16_e32 0x80, v73
; %bb.5209:                             ;   in Loop: Header=BB6_4010 Depth=4
	s_mov_b32 s37, 0x7f800001
	s_xor_b32 s13, exec_lo, -1
; %bb.5210:                             ;   in Loop: Header=BB6_4010 Depth=4
	s_or_b32 exec_lo, exec_lo, s39
	s_delay_alu instid0(SALU_CYCLE_1)
	s_and_b32 s13, s13, exec_lo
                                        ; implicit-def: $vgpr73
	s_or_saveexec_b32 s38, s38
	v_mov_b32_e32 v63, s37
	s_xor_b32 exec_lo, exec_lo, s38
	s_cbranch_execz .LBB6_4506
.LBB6_5211:                             ;   in Loop: Header=BB6_4010 Depth=4
	v_cmp_ne_u16_e32 vcc_lo, 0, v73
	v_mov_b32_e32 v63, 0
	s_and_not1_b32 s13, s13, exec_lo
	s_and_b32 vcc_lo, vcc_lo, exec_lo
	s_delay_alu instid0(SALU_CYCLE_1)
	s_or_b32 s13, s13, vcc_lo
	s_or_b32 exec_lo, exec_lo, s38
	s_and_saveexec_b32 s37, s13
	s_cbranch_execnz .LBB6_4507
	s_branch .LBB6_4508
.LBB6_5212:                             ;   in Loop: Header=BB6_4010 Depth=4
	s_mov_b32 s13, -1
	s_mov_b32 s39, exec_lo
                                        ; implicit-def: $sgpr37
	v_cmpx_eq_u16_e32 0x80, v74
; %bb.5213:                             ;   in Loop: Header=BB6_4010 Depth=4
	s_mov_b32 s37, 0x7f800001
	s_xor_b32 s13, exec_lo, -1
; %bb.5214:                             ;   in Loop: Header=BB6_4010 Depth=4
	s_or_b32 exec_lo, exec_lo, s39
	s_delay_alu instid0(SALU_CYCLE_1)
	s_and_b32 s13, s13, exec_lo
                                        ; implicit-def: $vgpr74
	s_or_saveexec_b32 s38, s38
	v_mov_b32_e32 v73, s37
	s_xor_b32 exec_lo, exec_lo, s38
	s_cbranch_execz .LBB6_4510
.LBB6_5215:                             ;   in Loop: Header=BB6_4010 Depth=4
	v_cmp_ne_u16_e32 vcc_lo, 0, v74
	v_mov_b32_e32 v73, 0
	s_and_not1_b32 s13, s13, exec_lo
	s_and_b32 vcc_lo, vcc_lo, exec_lo
	s_delay_alu instid0(SALU_CYCLE_1)
	s_or_b32 s13, s13, vcc_lo
	s_or_b32 exec_lo, exec_lo, s38
	s_and_saveexec_b32 s37, s13
	s_cbranch_execnz .LBB6_4511
	s_branch .LBB6_4512
.LBB6_5216:                             ;   in Loop: Header=BB6_4010 Depth=4
	s_mov_b32 s13, -1
	s_mov_b32 s39, exec_lo
                                        ; implicit-def: $sgpr37
	v_cmpx_eq_u16_e32 0x80, v73
; %bb.5217:                             ;   in Loop: Header=BB6_4010 Depth=4
	s_mov_b32 s37, 0x7f800001
	s_xor_b32 s13, exec_lo, -1
; %bb.5218:                             ;   in Loop: Header=BB6_4010 Depth=4
	s_or_b32 exec_lo, exec_lo, s39
	s_delay_alu instid0(SALU_CYCLE_1)
	s_and_b32 s13, s13, exec_lo
                                        ; implicit-def: $vgpr73
	s_or_saveexec_b32 s38, s38
	v_mov_b32_e32 v63, s37
	s_xor_b32 exec_lo, exec_lo, s38
	s_cbranch_execz .LBB6_4517
.LBB6_5219:                             ;   in Loop: Header=BB6_4010 Depth=4
	v_cmp_ne_u16_e32 vcc_lo, 0, v73
	v_mov_b32_e32 v63, 0
	s_and_not1_b32 s13, s13, exec_lo
	s_and_b32 vcc_lo, vcc_lo, exec_lo
	s_delay_alu instid0(SALU_CYCLE_1)
	s_or_b32 s13, s13, vcc_lo
	s_or_b32 exec_lo, exec_lo, s38
	s_and_saveexec_b32 s37, s13
	s_cbranch_execnz .LBB6_4518
	s_branch .LBB6_4519
.LBB6_5220:                             ;   in Loop: Header=BB6_4010 Depth=4
	s_mov_b32 s13, -1
	s_mov_b32 s39, exec_lo
                                        ; implicit-def: $sgpr37
	v_cmpx_eq_u16_e32 0x80, v73
; %bb.5221:                             ;   in Loop: Header=BB6_4010 Depth=4
	s_mov_b32 s37, 0x7f800001
	s_xor_b32 s13, exec_lo, -1
; %bb.5222:                             ;   in Loop: Header=BB6_4010 Depth=4
	s_or_b32 exec_lo, exec_lo, s39
	s_delay_alu instid0(SALU_CYCLE_1)
	s_and_b32 s13, s13, exec_lo
                                        ; implicit-def: $vgpr73
	s_or_saveexec_b32 s38, s38
	v_mov_b32_e32 v60, s37
	s_xor_b32 exec_lo, exec_lo, s38
	s_cbranch_execz .LBB6_4521
.LBB6_5223:                             ;   in Loop: Header=BB6_4010 Depth=4
	v_cmp_ne_u16_e32 vcc_lo, 0, v73
	v_mov_b32_e32 v60, 0
	s_and_not1_b32 s13, s13, exec_lo
	s_and_b32 vcc_lo, vcc_lo, exec_lo
	s_delay_alu instid0(SALU_CYCLE_1)
	s_or_b32 s13, s13, vcc_lo
	s_or_b32 exec_lo, exec_lo, s38
	s_and_saveexec_b32 s37, s13
	s_cbranch_execnz .LBB6_4522
	s_branch .LBB6_4523
.LBB6_5224:                             ;   in Loop: Header=BB6_4010 Depth=4
	s_mov_b32 s13, -1
	s_mov_b32 s39, exec_lo
                                        ; implicit-def: $sgpr37
	v_cmpx_eq_u16_e32 0x80, v63
; %bb.5225:                             ;   in Loop: Header=BB6_4010 Depth=4
	s_mov_b32 s37, 0x7f800001
	s_xor_b32 s13, exec_lo, -1
; %bb.5226:                             ;   in Loop: Header=BB6_4010 Depth=4
	s_or_b32 exec_lo, exec_lo, s39
	s_delay_alu instid0(SALU_CYCLE_1)
	s_and_b32 s13, s13, exec_lo
                                        ; implicit-def: $vgpr63
	s_or_saveexec_b32 s38, s38
	v_mov_b32_e32 v60, s37
	s_xor_b32 exec_lo, exec_lo, s38
	s_cbranch_execz .LBB6_4535
.LBB6_5227:                             ;   in Loop: Header=BB6_4010 Depth=4
	v_cmp_ne_u16_e32 vcc_lo, 0, v63
	v_mov_b32_e32 v60, 0
	s_and_not1_b32 s13, s13, exec_lo
	s_and_b32 vcc_lo, vcc_lo, exec_lo
	s_delay_alu instid0(SALU_CYCLE_1)
	s_or_b32 s13, s13, vcc_lo
	s_or_b32 exec_lo, exec_lo, s38
	s_and_saveexec_b32 s37, s13
	s_cbranch_execnz .LBB6_4536
	s_branch .LBB6_4537
.LBB6_5228:                             ;   in Loop: Header=BB6_4010 Depth=4
	s_mov_b32 s13, -1
	s_mov_b32 s39, exec_lo
                                        ; implicit-def: $sgpr37
	v_cmpx_eq_u16_e32 0x80, v73
; %bb.5229:                             ;   in Loop: Header=BB6_4010 Depth=4
	s_mov_b32 s37, 0x7f800001
	s_xor_b32 s13, exec_lo, -1
; %bb.5230:                             ;   in Loop: Header=BB6_4010 Depth=4
	s_or_b32 exec_lo, exec_lo, s39
	s_delay_alu instid0(SALU_CYCLE_1)
	s_and_b32 s13, s13, exec_lo
                                        ; implicit-def: $vgpr73
	s_or_saveexec_b32 s38, s38
	v_mov_b32_e32 v63, s37
	s_xor_b32 exec_lo, exec_lo, s38
	s_cbranch_execz .LBB6_4539
.LBB6_5231:                             ;   in Loop: Header=BB6_4010 Depth=4
	v_cmp_ne_u16_e32 vcc_lo, 0, v73
	v_mov_b32_e32 v63, 0
	s_and_not1_b32 s13, s13, exec_lo
	s_and_b32 vcc_lo, vcc_lo, exec_lo
	s_delay_alu instid0(SALU_CYCLE_1)
	s_or_b32 s13, s13, vcc_lo
	s_or_b32 exec_lo, exec_lo, s38
	s_and_saveexec_b32 s37, s13
	s_cbranch_execnz .LBB6_4540
	s_branch .LBB6_4541
.LBB6_5232:                             ;   in Loop: Header=BB6_4010 Depth=4
	s_mov_b32 s13, -1
	s_mov_b32 s39, exec_lo
                                        ; implicit-def: $sgpr37
	v_cmpx_eq_u16_e32 0x80, v63
; %bb.5233:                             ;   in Loop: Header=BB6_4010 Depth=4
	s_mov_b32 s37, 0x7f800001
	s_xor_b32 s13, exec_lo, -1
; %bb.5234:                             ;   in Loop: Header=BB6_4010 Depth=4
	s_or_b32 exec_lo, exec_lo, s39
	s_delay_alu instid0(SALU_CYCLE_1)
	s_and_b32 s13, s13, exec_lo
                                        ; implicit-def: $vgpr63
	s_or_saveexec_b32 s38, s38
	v_mov_b32_e32 v60, s37
	s_xor_b32 exec_lo, exec_lo, s38
	s_cbranch_execz .LBB6_4546
.LBB6_5235:                             ;   in Loop: Header=BB6_4010 Depth=4
	v_cmp_ne_u16_e32 vcc_lo, 0, v63
	v_mov_b32_e32 v60, 0
	s_and_not1_b32 s13, s13, exec_lo
	s_and_b32 vcc_lo, vcc_lo, exec_lo
	s_delay_alu instid0(SALU_CYCLE_1)
	s_or_b32 s13, s13, vcc_lo
	s_or_b32 exec_lo, exec_lo, s38
	s_and_saveexec_b32 s37, s13
	s_cbranch_execnz .LBB6_4547
	s_branch .LBB6_4548
.LBB6_5236:                             ;   in Loop: Header=BB6_4010 Depth=4
	s_mov_b32 s13, -1
	s_mov_b32 s39, exec_lo
                                        ; implicit-def: $sgpr37
	v_cmpx_eq_u16_e32 0x80, v63
; %bb.5237:                             ;   in Loop: Header=BB6_4010 Depth=4
	s_mov_b32 s37, 0x7f800001
	s_xor_b32 s13, exec_lo, -1
; %bb.5238:                             ;   in Loop: Header=BB6_4010 Depth=4
	s_or_b32 exec_lo, exec_lo, s39
	s_delay_alu instid0(SALU_CYCLE_1)
	s_and_b32 s13, s13, exec_lo
                                        ; implicit-def: $vgpr63
	s_or_saveexec_b32 s38, s38
	v_mov_b32_e32 v57, s37
	s_xor_b32 exec_lo, exec_lo, s38
	s_cbranch_execz .LBB6_4550
.LBB6_5239:                             ;   in Loop: Header=BB6_4010 Depth=4
	v_cmp_ne_u16_e32 vcc_lo, 0, v63
	v_mov_b32_e32 v57, 0
	s_and_not1_b32 s13, s13, exec_lo
	s_and_b32 vcc_lo, vcc_lo, exec_lo
	s_delay_alu instid0(SALU_CYCLE_1)
	s_or_b32 s13, s13, vcc_lo
	s_or_b32 exec_lo, exec_lo, s38
	s_and_saveexec_b32 s37, s13
	s_cbranch_execnz .LBB6_4551
	s_branch .LBB6_4552
.LBB6_5240:                             ;   in Loop: Header=BB6_4010 Depth=4
	s_mov_b32 s13, -1
	s_mov_b32 s39, exec_lo
                                        ; implicit-def: $sgpr37
	v_cmpx_eq_u16_e32 0x80, v60
; %bb.5241:                             ;   in Loop: Header=BB6_4010 Depth=4
	s_mov_b32 s37, 0x7f800001
	s_xor_b32 s13, exec_lo, -1
; %bb.5242:                             ;   in Loop: Header=BB6_4010 Depth=4
	s_or_b32 exec_lo, exec_lo, s39
	s_delay_alu instid0(SALU_CYCLE_1)
	s_and_b32 s13, s13, exec_lo
                                        ; implicit-def: $vgpr60
	s_or_saveexec_b32 s38, s38
	v_mov_b32_e32 v57, s37
	s_xor_b32 exec_lo, exec_lo, s38
	s_cbranch_execz .LBB6_4564
.LBB6_5243:                             ;   in Loop: Header=BB6_4010 Depth=4
	v_cmp_ne_u16_e32 vcc_lo, 0, v60
	v_mov_b32_e32 v57, 0
	s_and_not1_b32 s13, s13, exec_lo
	s_and_b32 vcc_lo, vcc_lo, exec_lo
	s_delay_alu instid0(SALU_CYCLE_1)
	s_or_b32 s13, s13, vcc_lo
	s_or_b32 exec_lo, exec_lo, s38
	s_and_saveexec_b32 s37, s13
	s_cbranch_execnz .LBB6_4565
	s_branch .LBB6_4566
.LBB6_5244:                             ;   in Loop: Header=BB6_4010 Depth=4
	s_mov_b32 s13, -1
	s_mov_b32 s39, exec_lo
                                        ; implicit-def: $sgpr37
	v_cmpx_eq_u16_e32 0x80, v63
; %bb.5245:                             ;   in Loop: Header=BB6_4010 Depth=4
	s_mov_b32 s37, 0x7f800001
	s_xor_b32 s13, exec_lo, -1
; %bb.5246:                             ;   in Loop: Header=BB6_4010 Depth=4
	s_or_b32 exec_lo, exec_lo, s39
	s_delay_alu instid0(SALU_CYCLE_1)
	s_and_b32 s13, s13, exec_lo
                                        ; implicit-def: $vgpr63
	s_or_saveexec_b32 s38, s38
	v_mov_b32_e32 v60, s37
	s_xor_b32 exec_lo, exec_lo, s38
	s_cbranch_execz .LBB6_4568
.LBB6_5247:                             ;   in Loop: Header=BB6_4010 Depth=4
	v_cmp_ne_u16_e32 vcc_lo, 0, v63
	v_mov_b32_e32 v60, 0
	s_and_not1_b32 s13, s13, exec_lo
	s_and_b32 vcc_lo, vcc_lo, exec_lo
	s_delay_alu instid0(SALU_CYCLE_1)
	s_or_b32 s13, s13, vcc_lo
	s_or_b32 exec_lo, exec_lo, s38
	s_and_saveexec_b32 s37, s13
	s_cbranch_execnz .LBB6_4569
	s_branch .LBB6_4570
.LBB6_5248:                             ;   in Loop: Header=BB6_4010 Depth=4
	s_mov_b32 s13, -1
	s_mov_b32 s39, exec_lo
                                        ; implicit-def: $sgpr37
	v_cmpx_eq_u16_e32 0x80, v60
; %bb.5249:                             ;   in Loop: Header=BB6_4010 Depth=4
	s_mov_b32 s37, 0x7f800001
	s_xor_b32 s13, exec_lo, -1
; %bb.5250:                             ;   in Loop: Header=BB6_4010 Depth=4
	s_or_b32 exec_lo, exec_lo, s39
	s_delay_alu instid0(SALU_CYCLE_1)
	s_and_b32 s13, s13, exec_lo
                                        ; implicit-def: $vgpr60
	s_or_saveexec_b32 s38, s38
	v_mov_b32_e32 v57, s37
	s_xor_b32 exec_lo, exec_lo, s38
	s_cbranch_execz .LBB6_4575
.LBB6_5251:                             ;   in Loop: Header=BB6_4010 Depth=4
	v_cmp_ne_u16_e32 vcc_lo, 0, v60
	v_mov_b32_e32 v57, 0
	s_and_not1_b32 s13, s13, exec_lo
	s_and_b32 vcc_lo, vcc_lo, exec_lo
	s_delay_alu instid0(SALU_CYCLE_1)
	s_or_b32 s13, s13, vcc_lo
	s_or_b32 exec_lo, exec_lo, s38
	s_and_saveexec_b32 s37, s13
	s_cbranch_execnz .LBB6_4576
	s_branch .LBB6_4577
.LBB6_5252:                             ;   in Loop: Header=BB6_4010 Depth=4
	s_mov_b32 s13, -1
	s_mov_b32 s39, exec_lo
                                        ; implicit-def: $sgpr37
	v_cmpx_eq_u16_e32 0x80, v60
; %bb.5253:                             ;   in Loop: Header=BB6_4010 Depth=4
	s_mov_b32 s37, 0x7f800001
	s_xor_b32 s13, exec_lo, -1
; %bb.5254:                             ;   in Loop: Header=BB6_4010 Depth=4
	s_or_b32 exec_lo, exec_lo, s39
	s_delay_alu instid0(SALU_CYCLE_1)
	s_and_b32 s13, s13, exec_lo
                                        ; implicit-def: $vgpr60
	s_or_saveexec_b32 s38, s38
	v_mov_b32_e32 v46, s37
	s_xor_b32 exec_lo, exec_lo, s38
	s_cbranch_execz .LBB6_4579
.LBB6_5255:                             ;   in Loop: Header=BB6_4010 Depth=4
	v_cmp_ne_u16_e32 vcc_lo, 0, v60
	v_mov_b32_e32 v46, 0
	s_and_not1_b32 s13, s13, exec_lo
	s_and_b32 vcc_lo, vcc_lo, exec_lo
	s_delay_alu instid0(SALU_CYCLE_1)
	s_or_b32 s13, s13, vcc_lo
	s_or_b32 exec_lo, exec_lo, s38
	s_and_saveexec_b32 s37, s13
	s_cbranch_execnz .LBB6_4580
	s_branch .LBB6_4581
.LBB6_5256:                             ;   in Loop: Header=BB6_4010 Depth=4
	s_mov_b32 s13, -1
	s_mov_b32 s39, exec_lo
                                        ; implicit-def: $sgpr37
	v_cmpx_eq_u16_e32 0x80, v57
; %bb.5257:                             ;   in Loop: Header=BB6_4010 Depth=4
	s_mov_b32 s37, 0x7f800001
	s_xor_b32 s13, exec_lo, -1
; %bb.5258:                             ;   in Loop: Header=BB6_4010 Depth=4
	s_or_b32 exec_lo, exec_lo, s39
	s_delay_alu instid0(SALU_CYCLE_1)
	s_and_b32 s13, s13, exec_lo
                                        ; implicit-def: $vgpr57
	s_or_saveexec_b32 s38, s38
	v_mov_b32_e32 v46, s37
	s_xor_b32 exec_lo, exec_lo, s38
	s_cbranch_execz .LBB6_4593
.LBB6_5259:                             ;   in Loop: Header=BB6_4010 Depth=4
	v_cmp_ne_u16_e32 vcc_lo, 0, v57
	v_mov_b32_e32 v46, 0
	s_and_not1_b32 s13, s13, exec_lo
	s_and_b32 vcc_lo, vcc_lo, exec_lo
	s_delay_alu instid0(SALU_CYCLE_1)
	s_or_b32 s13, s13, vcc_lo
	s_or_b32 exec_lo, exec_lo, s38
	s_and_saveexec_b32 s37, s13
	s_cbranch_execnz .LBB6_4594
	s_branch .LBB6_4595
.LBB6_5260:                             ;   in Loop: Header=BB6_4010 Depth=4
	s_mov_b32 s13, -1
	s_mov_b32 s39, exec_lo
                                        ; implicit-def: $sgpr37
	v_cmpx_eq_u16_e32 0x80, v60
; %bb.5261:                             ;   in Loop: Header=BB6_4010 Depth=4
	s_mov_b32 s37, 0x7f800001
	s_xor_b32 s13, exec_lo, -1
; %bb.5262:                             ;   in Loop: Header=BB6_4010 Depth=4
	s_or_b32 exec_lo, exec_lo, s39
	s_delay_alu instid0(SALU_CYCLE_1)
	s_and_b32 s13, s13, exec_lo
                                        ; implicit-def: $vgpr60
	s_or_saveexec_b32 s38, s38
	v_mov_b32_e32 v57, s37
	s_xor_b32 exec_lo, exec_lo, s38
	s_cbranch_execz .LBB6_4597
.LBB6_5263:                             ;   in Loop: Header=BB6_4010 Depth=4
	v_cmp_ne_u16_e32 vcc_lo, 0, v60
	v_mov_b32_e32 v57, 0
	s_and_not1_b32 s13, s13, exec_lo
	s_and_b32 vcc_lo, vcc_lo, exec_lo
	s_delay_alu instid0(SALU_CYCLE_1)
	s_or_b32 s13, s13, vcc_lo
	s_or_b32 exec_lo, exec_lo, s38
	s_and_saveexec_b32 s37, s13
	s_cbranch_execnz .LBB6_4598
	s_branch .LBB6_4599
.LBB6_5264:                             ;   in Loop: Header=BB6_4010 Depth=4
	s_mov_b32 s13, -1
	s_mov_b32 s39, exec_lo
                                        ; implicit-def: $sgpr37
	v_cmpx_eq_u16_e32 0x80, v57
; %bb.5265:                             ;   in Loop: Header=BB6_4010 Depth=4
	s_mov_b32 s37, 0x7f800001
	s_xor_b32 s13, exec_lo, -1
; %bb.5266:                             ;   in Loop: Header=BB6_4010 Depth=4
	s_or_b32 exec_lo, exec_lo, s39
	s_delay_alu instid0(SALU_CYCLE_1)
	s_and_b32 s13, s13, exec_lo
                                        ; implicit-def: $vgpr57
	s_or_saveexec_b32 s38, s38
	v_mov_b32_e32 v46, s37
	s_xor_b32 exec_lo, exec_lo, s38
	s_cbranch_execz .LBB6_4604
.LBB6_5267:                             ;   in Loop: Header=BB6_4010 Depth=4
	v_cmp_ne_u16_e32 vcc_lo, 0, v57
	v_mov_b32_e32 v46, 0
	s_and_not1_b32 s13, s13, exec_lo
	s_and_b32 vcc_lo, vcc_lo, exec_lo
	s_delay_alu instid0(SALU_CYCLE_1)
	s_or_b32 s13, s13, vcc_lo
	s_or_b32 exec_lo, exec_lo, s38
	s_and_saveexec_b32 s37, s13
	s_cbranch_execnz .LBB6_4605
	s_branch .LBB6_4606
.LBB6_5268:                             ;   in Loop: Header=BB6_4010 Depth=4
	s_mov_b32 s13, -1
	s_mov_b32 s39, exec_lo
                                        ; implicit-def: $sgpr37
	v_cmpx_eq_u16_e32 0x80, v57
; %bb.5269:                             ;   in Loop: Header=BB6_4010 Depth=4
	s_mov_b32 s37, 0x7f800001
	s_xor_b32 s13, exec_lo, -1
; %bb.5270:                             ;   in Loop: Header=BB6_4010 Depth=4
	s_or_b32 exec_lo, exec_lo, s39
	s_delay_alu instid0(SALU_CYCLE_1)
	s_and_b32 s13, s13, exec_lo
                                        ; implicit-def: $vgpr57
	s_or_saveexec_b32 s38, s38
	v_mov_b32_e32 v43, s37
	s_xor_b32 exec_lo, exec_lo, s38
	s_cbranch_execz .LBB6_4608
.LBB6_5271:                             ;   in Loop: Header=BB6_4010 Depth=4
	v_cmp_ne_u16_e32 vcc_lo, 0, v57
	v_mov_b32_e32 v43, 0
	s_and_not1_b32 s13, s13, exec_lo
	s_and_b32 vcc_lo, vcc_lo, exec_lo
	s_delay_alu instid0(SALU_CYCLE_1)
	s_or_b32 s13, s13, vcc_lo
	s_or_b32 exec_lo, exec_lo, s38
	s_and_saveexec_b32 s37, s13
	s_cbranch_execnz .LBB6_4609
	s_branch .LBB6_4610
.LBB6_5272:                             ;   in Loop: Header=BB6_4010 Depth=4
	s_mov_b32 s13, -1
	s_mov_b32 s39, exec_lo
                                        ; implicit-def: $sgpr37
	v_cmpx_eq_u16_e32 0x80, v46
; %bb.5273:                             ;   in Loop: Header=BB6_4010 Depth=4
	s_mov_b32 s37, 0x7f800001
	s_xor_b32 s13, exec_lo, -1
; %bb.5274:                             ;   in Loop: Header=BB6_4010 Depth=4
	s_or_b32 exec_lo, exec_lo, s39
	s_delay_alu instid0(SALU_CYCLE_1)
	s_and_b32 s13, s13, exec_lo
                                        ; implicit-def: $vgpr46
	s_or_saveexec_b32 s38, s38
	v_mov_b32_e32 v43, s37
	s_xor_b32 exec_lo, exec_lo, s38
	s_cbranch_execz .LBB6_4622
.LBB6_5275:                             ;   in Loop: Header=BB6_4010 Depth=4
	v_cmp_ne_u16_e32 vcc_lo, 0, v46
	v_mov_b32_e32 v43, 0
	s_and_not1_b32 s13, s13, exec_lo
	s_and_b32 vcc_lo, vcc_lo, exec_lo
	s_delay_alu instid0(SALU_CYCLE_1)
	s_or_b32 s13, s13, vcc_lo
	s_or_b32 exec_lo, exec_lo, s38
	s_and_saveexec_b32 s37, s13
	s_cbranch_execnz .LBB6_4623
	s_branch .LBB6_4624
.LBB6_5276:                             ;   in Loop: Header=BB6_4010 Depth=4
	s_mov_b32 s13, -1
	s_mov_b32 s39, exec_lo
                                        ; implicit-def: $sgpr37
	v_cmpx_eq_u16_e32 0x80, v57
; %bb.5277:                             ;   in Loop: Header=BB6_4010 Depth=4
	s_mov_b32 s37, 0x7f800001
	s_xor_b32 s13, exec_lo, -1
; %bb.5278:                             ;   in Loop: Header=BB6_4010 Depth=4
	s_or_b32 exec_lo, exec_lo, s39
	s_delay_alu instid0(SALU_CYCLE_1)
	s_and_b32 s13, s13, exec_lo
                                        ; implicit-def: $vgpr57
	s_or_saveexec_b32 s38, s38
	v_mov_b32_e32 v46, s37
	s_xor_b32 exec_lo, exec_lo, s38
	s_cbranch_execz .LBB6_4626
.LBB6_5279:                             ;   in Loop: Header=BB6_4010 Depth=4
	v_cmp_ne_u16_e32 vcc_lo, 0, v57
	v_mov_b32_e32 v46, 0
	s_and_not1_b32 s13, s13, exec_lo
	s_and_b32 vcc_lo, vcc_lo, exec_lo
	s_delay_alu instid0(SALU_CYCLE_1)
	s_or_b32 s13, s13, vcc_lo
	s_or_b32 exec_lo, exec_lo, s38
	s_and_saveexec_b32 s37, s13
	s_cbranch_execnz .LBB6_4627
	s_branch .LBB6_4628
.LBB6_5280:                             ;   in Loop: Header=BB6_4010 Depth=4
	s_mov_b32 s13, -1
	s_mov_b32 s39, exec_lo
                                        ; implicit-def: $sgpr37
	v_cmpx_eq_u16_e32 0x80, v46
; %bb.5281:                             ;   in Loop: Header=BB6_4010 Depth=4
	s_mov_b32 s37, 0x7f800001
	s_xor_b32 s13, exec_lo, -1
; %bb.5282:                             ;   in Loop: Header=BB6_4010 Depth=4
	s_or_b32 exec_lo, exec_lo, s39
	s_delay_alu instid0(SALU_CYCLE_1)
	s_and_b32 s13, s13, exec_lo
                                        ; implicit-def: $vgpr46
	s_or_saveexec_b32 s38, s38
	v_mov_b32_e32 v43, s37
	s_xor_b32 exec_lo, exec_lo, s38
	s_cbranch_execz .LBB6_4633
.LBB6_5283:                             ;   in Loop: Header=BB6_4010 Depth=4
	v_cmp_ne_u16_e32 vcc_lo, 0, v46
	v_mov_b32_e32 v43, 0
	s_and_not1_b32 s13, s13, exec_lo
	s_and_b32 vcc_lo, vcc_lo, exec_lo
	s_delay_alu instid0(SALU_CYCLE_1)
	s_or_b32 s13, s13, vcc_lo
	s_or_b32 exec_lo, exec_lo, s38
	s_and_saveexec_b32 s37, s13
	s_cbranch_execnz .LBB6_4634
	s_branch .LBB6_4635
.LBB6_5284:                             ;   in Loop: Header=BB6_4010 Depth=4
	s_mov_b32 s13, -1
	s_mov_b32 s39, exec_lo
                                        ; implicit-def: $sgpr37
	v_cmpx_eq_u16_e32 0x80, v46
; %bb.5285:                             ;   in Loop: Header=BB6_4010 Depth=4
	s_mov_b32 s37, 0x7f800001
	s_xor_b32 s13, exec_lo, -1
; %bb.5286:                             ;   in Loop: Header=BB6_4010 Depth=4
	s_or_b32 exec_lo, exec_lo, s39
	s_delay_alu instid0(SALU_CYCLE_1)
	s_and_b32 s13, s13, exec_lo
                                        ; implicit-def: $vgpr46
	s_or_saveexec_b32 s38, s38
	v_mov_b32_e32 v40, s37
	s_xor_b32 exec_lo, exec_lo, s38
	s_cbranch_execz .LBB6_4637
.LBB6_5287:                             ;   in Loop: Header=BB6_4010 Depth=4
	v_cmp_ne_u16_e32 vcc_lo, 0, v46
	v_mov_b32_e32 v40, 0
	s_and_not1_b32 s13, s13, exec_lo
	s_and_b32 vcc_lo, vcc_lo, exec_lo
	s_delay_alu instid0(SALU_CYCLE_1)
	s_or_b32 s13, s13, vcc_lo
	s_or_b32 exec_lo, exec_lo, s38
	s_and_saveexec_b32 s37, s13
	s_cbranch_execnz .LBB6_4638
	s_branch .LBB6_4639
.LBB6_5288:                             ;   in Loop: Header=BB6_4010 Depth=4
	s_mov_b32 s13, -1
	s_mov_b32 s39, exec_lo
                                        ; implicit-def: $sgpr37
	v_cmpx_eq_u16_e32 0x80, v43
; %bb.5289:                             ;   in Loop: Header=BB6_4010 Depth=4
	s_mov_b32 s37, 0x7f800001
	s_xor_b32 s13, exec_lo, -1
; %bb.5290:                             ;   in Loop: Header=BB6_4010 Depth=4
	s_or_b32 exec_lo, exec_lo, s39
	s_delay_alu instid0(SALU_CYCLE_1)
	s_and_b32 s13, s13, exec_lo
                                        ; implicit-def: $vgpr43
	s_or_saveexec_b32 s38, s38
	v_mov_b32_e32 v40, s37
	s_xor_b32 exec_lo, exec_lo, s38
	s_cbranch_execz .LBB6_4651
.LBB6_5291:                             ;   in Loop: Header=BB6_4010 Depth=4
	v_cmp_ne_u16_e32 vcc_lo, 0, v43
	v_mov_b32_e32 v40, 0
	s_and_not1_b32 s13, s13, exec_lo
	s_and_b32 vcc_lo, vcc_lo, exec_lo
	s_delay_alu instid0(SALU_CYCLE_1)
	s_or_b32 s13, s13, vcc_lo
	s_or_b32 exec_lo, exec_lo, s38
	s_and_saveexec_b32 s37, s13
	s_cbranch_execnz .LBB6_4652
	s_branch .LBB6_4653
.LBB6_5292:                             ;   in Loop: Header=BB6_4010 Depth=4
	s_mov_b32 s13, -1
	s_mov_b32 s39, exec_lo
                                        ; implicit-def: $sgpr37
	v_cmpx_eq_u16_e32 0x80, v46
; %bb.5293:                             ;   in Loop: Header=BB6_4010 Depth=4
	s_mov_b32 s37, 0x7f800001
	s_xor_b32 s13, exec_lo, -1
; %bb.5294:                             ;   in Loop: Header=BB6_4010 Depth=4
	s_or_b32 exec_lo, exec_lo, s39
	s_delay_alu instid0(SALU_CYCLE_1)
	s_and_b32 s13, s13, exec_lo
                                        ; implicit-def: $vgpr46
	s_or_saveexec_b32 s38, s38
	v_mov_b32_e32 v43, s37
	s_xor_b32 exec_lo, exec_lo, s38
	s_cbranch_execz .LBB6_4655
.LBB6_5295:                             ;   in Loop: Header=BB6_4010 Depth=4
	v_cmp_ne_u16_e32 vcc_lo, 0, v46
	v_mov_b32_e32 v43, 0
	s_and_not1_b32 s13, s13, exec_lo
	s_and_b32 vcc_lo, vcc_lo, exec_lo
	s_delay_alu instid0(SALU_CYCLE_1)
	s_or_b32 s13, s13, vcc_lo
	s_or_b32 exec_lo, exec_lo, s38
	s_and_saveexec_b32 s37, s13
	s_cbranch_execnz .LBB6_4656
	s_branch .LBB6_4657
.LBB6_5296:                             ;   in Loop: Header=BB6_4010 Depth=4
	s_mov_b32 s13, -1
	s_mov_b32 s39, exec_lo
                                        ; implicit-def: $sgpr37
	v_cmpx_eq_u16_e32 0x80, v43
; %bb.5297:                             ;   in Loop: Header=BB6_4010 Depth=4
	s_mov_b32 s37, 0x7f800001
	s_xor_b32 s13, exec_lo, -1
; %bb.5298:                             ;   in Loop: Header=BB6_4010 Depth=4
	s_or_b32 exec_lo, exec_lo, s39
	s_delay_alu instid0(SALU_CYCLE_1)
	s_and_b32 s13, s13, exec_lo
                                        ; implicit-def: $vgpr43
	s_or_saveexec_b32 s38, s38
	v_mov_b32_e32 v40, s37
	s_xor_b32 exec_lo, exec_lo, s38
	s_cbranch_execz .LBB6_4662
.LBB6_5299:                             ;   in Loop: Header=BB6_4010 Depth=4
	v_cmp_ne_u16_e32 vcc_lo, 0, v43
	v_mov_b32_e32 v40, 0
	s_and_not1_b32 s13, s13, exec_lo
	s_and_b32 vcc_lo, vcc_lo, exec_lo
	s_delay_alu instid0(SALU_CYCLE_1)
	s_or_b32 s13, s13, vcc_lo
	s_or_b32 exec_lo, exec_lo, s38
	s_and_saveexec_b32 s37, s13
	s_cbranch_execnz .LBB6_4663
	s_branch .LBB6_4664
.LBB6_5300:                             ;   in Loop: Header=BB6_4010 Depth=4
	s_mov_b32 s13, -1
	s_mov_b32 s39, exec_lo
                                        ; implicit-def: $sgpr37
	v_cmpx_eq_u16_e32 0x80, v43
; %bb.5301:                             ;   in Loop: Header=BB6_4010 Depth=4
	s_mov_b32 s37, 0x7f800001
	s_xor_b32 s13, exec_lo, -1
; %bb.5302:                             ;   in Loop: Header=BB6_4010 Depth=4
	s_or_b32 exec_lo, exec_lo, s39
	s_delay_alu instid0(SALU_CYCLE_1)
	s_and_b32 s13, s13, exec_lo
                                        ; implicit-def: $vgpr43
	s_or_saveexec_b32 s38, s38
	v_mov_b32_e32 v181, s37
	s_xor_b32 exec_lo, exec_lo, s38
	s_cbranch_execz .LBB6_4666
.LBB6_5303:                             ;   in Loop: Header=BB6_4010 Depth=4
	v_cmp_ne_u16_e32 vcc_lo, 0, v43
	v_mov_b32_e32 v181, 0
	s_and_not1_b32 s13, s13, exec_lo
	s_and_b32 vcc_lo, vcc_lo, exec_lo
	s_delay_alu instid0(SALU_CYCLE_1)
	s_or_b32 s13, s13, vcc_lo
	s_or_b32 exec_lo, exec_lo, s38
	s_and_saveexec_b32 s37, s13
	s_cbranch_execnz .LBB6_4667
	s_branch .LBB6_4668
.LBB6_5304:                             ;   in Loop: Header=BB6_4010 Depth=4
	s_mov_b32 s13, -1
	s_mov_b32 s39, exec_lo
                                        ; implicit-def: $sgpr37
	v_cmpx_eq_u16_e32 0x80, v40
; %bb.5305:                             ;   in Loop: Header=BB6_4010 Depth=4
	s_mov_b32 s37, 0x7f800001
	s_xor_b32 s13, exec_lo, -1
; %bb.5306:                             ;   in Loop: Header=BB6_4010 Depth=4
	s_or_b32 exec_lo, exec_lo, s39
	s_delay_alu instid0(SALU_CYCLE_1)
	s_and_b32 s13, s13, exec_lo
                                        ; implicit-def: $vgpr40
	s_or_saveexec_b32 s38, s38
	v_mov_b32_e32 v181, s37
	s_xor_b32 exec_lo, exec_lo, s38
	s_cbranch_execz .LBB6_4680
.LBB6_5307:                             ;   in Loop: Header=BB6_4010 Depth=4
	v_cmp_ne_u16_e32 vcc_lo, 0, v40
	v_mov_b32_e32 v181, 0
	s_and_not1_b32 s13, s13, exec_lo
	s_and_b32 vcc_lo, vcc_lo, exec_lo
	s_delay_alu instid0(SALU_CYCLE_1)
	s_or_b32 s13, s13, vcc_lo
	s_or_b32 exec_lo, exec_lo, s38
	s_and_saveexec_b32 s37, s13
	s_cbranch_execnz .LBB6_4681
	s_branch .LBB6_4682
.LBB6_5308:                             ;   in Loop: Header=BB6_4010 Depth=4
	s_mov_b32 s13, -1
	s_mov_b32 s39, exec_lo
                                        ; implicit-def: $sgpr37
	v_cmpx_eq_u16_e32 0x80, v43
; %bb.5309:                             ;   in Loop: Header=BB6_4010 Depth=4
	s_mov_b32 s37, 0x7f800001
	s_xor_b32 s13, exec_lo, -1
; %bb.5310:                             ;   in Loop: Header=BB6_4010 Depth=4
	s_or_b32 exec_lo, exec_lo, s39
	s_delay_alu instid0(SALU_CYCLE_1)
	s_and_b32 s13, s13, exec_lo
                                        ; implicit-def: $vgpr43
	s_or_saveexec_b32 s38, s38
	v_mov_b32_e32 v40, s37
	s_xor_b32 exec_lo, exec_lo, s38
	s_cbranch_execz .LBB6_4684
.LBB6_5311:                             ;   in Loop: Header=BB6_4010 Depth=4
	v_cmp_ne_u16_e32 vcc_lo, 0, v43
	v_mov_b32_e32 v40, 0
	s_and_not1_b32 s13, s13, exec_lo
	s_and_b32 vcc_lo, vcc_lo, exec_lo
	s_delay_alu instid0(SALU_CYCLE_1)
	s_or_b32 s13, s13, vcc_lo
	s_or_b32 exec_lo, exec_lo, s38
	s_and_saveexec_b32 s37, s13
	s_cbranch_execnz .LBB6_4685
	s_branch .LBB6_4686
.LBB6_5312:                             ;   in Loop: Header=BB6_4010 Depth=4
	s_mov_b32 s13, -1
	s_mov_b32 s39, exec_lo
                                        ; implicit-def: $sgpr37
	v_cmpx_eq_u16_e32 0x80, v40
; %bb.5313:                             ;   in Loop: Header=BB6_4010 Depth=4
	s_mov_b32 s37, 0x7f800001
	s_xor_b32 s13, exec_lo, -1
; %bb.5314:                             ;   in Loop: Header=BB6_4010 Depth=4
	s_or_b32 exec_lo, exec_lo, s39
	s_delay_alu instid0(SALU_CYCLE_1)
	s_and_b32 s13, s13, exec_lo
                                        ; implicit-def: $vgpr40
	s_or_saveexec_b32 s38, s38
	v_mov_b32_e32 v181, s37
	s_xor_b32 exec_lo, exec_lo, s38
	s_cbranch_execz .LBB6_4691
.LBB6_5315:                             ;   in Loop: Header=BB6_4010 Depth=4
	v_cmp_ne_u16_e32 vcc_lo, 0, v40
	v_mov_b32_e32 v181, 0
	s_and_not1_b32 s13, s13, exec_lo
	s_and_b32 vcc_lo, vcc_lo, exec_lo
	s_delay_alu instid0(SALU_CYCLE_1)
	s_or_b32 s13, s13, vcc_lo
	s_or_b32 exec_lo, exec_lo, s38
	s_and_saveexec_b32 s37, s13
	s_cbranch_execnz .LBB6_4692
	s_branch .LBB6_4693
.LBB6_5316:                             ;   in Loop: Header=BB6_4010 Depth=4
	s_mov_b32 s13, -1
	s_mov_b32 s39, exec_lo
                                        ; implicit-def: $sgpr37
	v_cmpx_eq_u16_e32 0x80, v40
; %bb.5317:                             ;   in Loop: Header=BB6_4010 Depth=4
	s_mov_b32 s37, 0x7f800001
	s_xor_b32 s13, exec_lo, -1
; %bb.5318:                             ;   in Loop: Header=BB6_4010 Depth=4
	s_or_b32 exec_lo, exec_lo, s39
	s_delay_alu instid0(SALU_CYCLE_1)
	s_and_b32 s13, s13, exec_lo
                                        ; implicit-def: $vgpr40
	s_or_saveexec_b32 s38, s38
	v_mov_b32_e32 v115, s37
	s_xor_b32 exec_lo, exec_lo, s38
	s_cbranch_execz .LBB6_4695
.LBB6_5319:                             ;   in Loop: Header=BB6_4010 Depth=4
	v_cmp_ne_u16_e32 vcc_lo, 0, v40
	v_mov_b32_e32 v115, 0
	s_and_not1_b32 s13, s13, exec_lo
	s_and_b32 vcc_lo, vcc_lo, exec_lo
	s_delay_alu instid0(SALU_CYCLE_1)
	s_or_b32 s13, s13, vcc_lo
	s_or_b32 exec_lo, exec_lo, s38
	s_and_saveexec_b32 s37, s13
	s_cbranch_execnz .LBB6_4696
	s_branch .LBB6_4697
.LBB6_5320:                             ;   in Loop: Header=BB6_4010 Depth=4
	s_mov_b32 s13, -1
	s_mov_b32 s39, exec_lo
                                        ; implicit-def: $sgpr37
	v_cmpx_eq_u16_e64 0x80, v181
; %bb.5321:                             ;   in Loop: Header=BB6_4010 Depth=4
	s_mov_b32 s37, 0x7f800001
	s_xor_b32 s13, exec_lo, -1
; %bb.5322:                             ;   in Loop: Header=BB6_4010 Depth=4
	s_or_b32 exec_lo, exec_lo, s39
	s_delay_alu instid0(SALU_CYCLE_1)
	s_and_b32 s13, s13, exec_lo
                                        ; implicit-def: $vgpr181
	s_or_saveexec_b32 s38, s38
	v_mov_b32_e32 v115, s37
	s_xor_b32 exec_lo, exec_lo, s38
	s_cbranch_execz .LBB6_4709
.LBB6_5323:                             ;   in Loop: Header=BB6_4010 Depth=4
	v_cmp_ne_u16_e64 vcc_lo, 0, v181
	v_mov_b32_e32 v115, 0
	s_and_not1_b32 s13, s13, exec_lo
	s_delay_alu instid0(VALU_DEP_2) | instskip(NEXT) | instid1(SALU_CYCLE_1)
	s_and_b32 vcc_lo, vcc_lo, exec_lo
	s_or_b32 s13, s13, vcc_lo
	s_or_b32 exec_lo, exec_lo, s38
	s_and_saveexec_b32 s37, s13
	s_cbranch_execnz .LBB6_4710
	s_branch .LBB6_4711
.LBB6_5324:                             ;   in Loop: Header=BB6_4010 Depth=4
	s_mov_b32 s13, -1
	s_mov_b32 s39, exec_lo
                                        ; implicit-def: $sgpr37
	v_cmpx_eq_u16_e32 0x80, v40
; %bb.5325:                             ;   in Loop: Header=BB6_4010 Depth=4
	s_mov_b32 s37, 0x7f800001
	s_xor_b32 s13, exec_lo, -1
; %bb.5326:                             ;   in Loop: Header=BB6_4010 Depth=4
	s_or_b32 exec_lo, exec_lo, s39
	s_delay_alu instid0(SALU_CYCLE_1)
	s_and_b32 s13, s13, exec_lo
                                        ; implicit-def: $vgpr40
	s_or_saveexec_b32 s38, s38
	v_mov_b32_e32 v181, s37
	s_xor_b32 exec_lo, exec_lo, s38
	s_cbranch_execz .LBB6_4713
.LBB6_5327:                             ;   in Loop: Header=BB6_4010 Depth=4
	v_cmp_ne_u16_e32 vcc_lo, 0, v40
	v_mov_b32_e32 v181, 0
	s_and_not1_b32 s13, s13, exec_lo
	s_and_b32 vcc_lo, vcc_lo, exec_lo
	s_delay_alu instid0(SALU_CYCLE_1)
	s_or_b32 s13, s13, vcc_lo
	s_or_b32 exec_lo, exec_lo, s38
	s_and_saveexec_b32 s37, s13
	s_cbranch_execnz .LBB6_4714
	s_branch .LBB6_4715
.LBB6_5328:                             ;   in Loop: Header=BB6_4010 Depth=4
	s_mov_b32 s13, -1
	s_mov_b32 s39, exec_lo
                                        ; implicit-def: $sgpr37
	v_cmpx_eq_u16_e64 0x80, v181
; %bb.5329:                             ;   in Loop: Header=BB6_4010 Depth=4
	s_mov_b32 s37, 0x7f800001
	s_xor_b32 s13, exec_lo, -1
; %bb.5330:                             ;   in Loop: Header=BB6_4010 Depth=4
	s_or_b32 exec_lo, exec_lo, s39
	s_delay_alu instid0(SALU_CYCLE_1)
	s_and_b32 s13, s13, exec_lo
                                        ; implicit-def: $vgpr181
	s_or_saveexec_b32 s38, s38
	v_mov_b32_e32 v115, s37
	s_xor_b32 exec_lo, exec_lo, s38
	s_cbranch_execz .LBB6_4720
.LBB6_5331:                             ;   in Loop: Header=BB6_4010 Depth=4
	v_cmp_ne_u16_e64 vcc_lo, 0, v181
	v_mov_b32_e32 v115, 0
	s_and_not1_b32 s13, s13, exec_lo
	s_delay_alu instid0(VALU_DEP_2) | instskip(NEXT) | instid1(SALU_CYCLE_1)
	s_and_b32 vcc_lo, vcc_lo, exec_lo
	s_or_b32 s13, s13, vcc_lo
	s_or_b32 exec_lo, exec_lo, s38
	s_and_saveexec_b32 s37, s13
	s_cbranch_execnz .LBB6_4721
	s_branch .LBB6_4722
.LBB6_5332:                             ;   in Loop: Header=BB6_4010 Depth=4
	s_mov_b32 s13, -1
	s_mov_b32 s39, exec_lo
                                        ; implicit-def: $sgpr37
	v_cmpx_eq_u16_e64 0x80, v181
; %bb.5333:                             ;   in Loop: Header=BB6_4010 Depth=4
	s_mov_b32 s37, 0x7f800001
	s_xor_b32 s13, exec_lo, -1
; %bb.5334:                             ;   in Loop: Header=BB6_4010 Depth=4
	s_or_b32 exec_lo, exec_lo, s39
	s_delay_alu instid0(SALU_CYCLE_1)
	s_and_b32 s13, s13, exec_lo
                                        ; implicit-def: $vgpr181
	s_or_saveexec_b32 s38, s38
	v_mov_b32_e32 v112, s37
	s_xor_b32 exec_lo, exec_lo, s38
	s_cbranch_execz .LBB6_4724
.LBB6_5335:                             ;   in Loop: Header=BB6_4010 Depth=4
	v_cmp_ne_u16_e64 vcc_lo, 0, v181
	v_mov_b32_e32 v112, 0
	s_and_not1_b32 s13, s13, exec_lo
	s_delay_alu instid0(VALU_DEP_2) | instskip(NEXT) | instid1(SALU_CYCLE_1)
	s_and_b32 vcc_lo, vcc_lo, exec_lo
	s_or_b32 s13, s13, vcc_lo
	s_or_b32 exec_lo, exec_lo, s38
	s_and_saveexec_b32 s37, s13
	s_cbranch_execnz .LBB6_4725
	s_branch .LBB6_4726
.LBB6_5336:                             ;   in Loop: Header=BB6_4010 Depth=4
	s_mov_b32 s13, -1
	s_mov_b32 s39, exec_lo
                                        ; implicit-def: $sgpr37
	v_cmpx_eq_u16_e32 0x80, v115
; %bb.5337:                             ;   in Loop: Header=BB6_4010 Depth=4
	s_mov_b32 s37, 0x7f800001
	s_xor_b32 s13, exec_lo, -1
; %bb.5338:                             ;   in Loop: Header=BB6_4010 Depth=4
	s_or_b32 exec_lo, exec_lo, s39
	s_delay_alu instid0(SALU_CYCLE_1)
	s_and_b32 s13, s13, exec_lo
                                        ; implicit-def: $vgpr115
	s_or_saveexec_b32 s38, s38
	v_mov_b32_e32 v112, s37
	s_xor_b32 exec_lo, exec_lo, s38
	s_cbranch_execz .LBB6_4738
.LBB6_5339:                             ;   in Loop: Header=BB6_4010 Depth=4
	v_cmp_ne_u16_e32 vcc_lo, 0, v115
	v_mov_b32_e32 v112, 0
	s_and_not1_b32 s13, s13, exec_lo
	s_and_b32 vcc_lo, vcc_lo, exec_lo
	s_delay_alu instid0(SALU_CYCLE_1)
	s_or_b32 s13, s13, vcc_lo
	s_or_b32 exec_lo, exec_lo, s38
	s_and_saveexec_b32 s37, s13
	s_cbranch_execnz .LBB6_4739
	s_branch .LBB6_4740
.LBB6_5340:                             ;   in Loop: Header=BB6_4010 Depth=4
	s_mov_b32 s13, -1
	s_mov_b32 s39, exec_lo
                                        ; implicit-def: $sgpr37
	v_cmpx_eq_u16_e64 0x80, v181
; %bb.5341:                             ;   in Loop: Header=BB6_4010 Depth=4
	s_mov_b32 s37, 0x7f800001
	s_xor_b32 s13, exec_lo, -1
; %bb.5342:                             ;   in Loop: Header=BB6_4010 Depth=4
	s_or_b32 exec_lo, exec_lo, s39
	s_delay_alu instid0(SALU_CYCLE_1)
	s_and_b32 s13, s13, exec_lo
                                        ; implicit-def: $vgpr181
	s_or_saveexec_b32 s38, s38
	v_mov_b32_e32 v115, s37
	s_xor_b32 exec_lo, exec_lo, s38
	s_cbranch_execz .LBB6_4742
.LBB6_5343:                             ;   in Loop: Header=BB6_4010 Depth=4
	v_cmp_ne_u16_e64 vcc_lo, 0, v181
	v_mov_b32_e32 v115, 0
	s_and_not1_b32 s13, s13, exec_lo
	s_delay_alu instid0(VALU_DEP_2) | instskip(NEXT) | instid1(SALU_CYCLE_1)
	s_and_b32 vcc_lo, vcc_lo, exec_lo
	s_or_b32 s13, s13, vcc_lo
	s_or_b32 exec_lo, exec_lo, s38
	s_and_saveexec_b32 s37, s13
	s_cbranch_execnz .LBB6_4743
	s_branch .LBB6_4744
.LBB6_5344:                             ;   in Loop: Header=BB6_4010 Depth=4
	s_mov_b32 s13, -1
	s_mov_b32 s39, exec_lo
                                        ; implicit-def: $sgpr37
	v_cmpx_eq_u16_e32 0x80, v115
; %bb.5345:                             ;   in Loop: Header=BB6_4010 Depth=4
	s_mov_b32 s37, 0x7f800001
	s_xor_b32 s13, exec_lo, -1
; %bb.5346:                             ;   in Loop: Header=BB6_4010 Depth=4
	s_or_b32 exec_lo, exec_lo, s39
	s_delay_alu instid0(SALU_CYCLE_1)
	s_and_b32 s13, s13, exec_lo
                                        ; implicit-def: $vgpr115
	s_or_saveexec_b32 s38, s38
	v_mov_b32_e32 v112, s37
	s_xor_b32 exec_lo, exec_lo, s38
	s_cbranch_execz .LBB6_4749
.LBB6_5347:                             ;   in Loop: Header=BB6_4010 Depth=4
	v_cmp_ne_u16_e32 vcc_lo, 0, v115
	v_mov_b32_e32 v112, 0
	s_and_not1_b32 s13, s13, exec_lo
	s_and_b32 vcc_lo, vcc_lo, exec_lo
	s_delay_alu instid0(SALU_CYCLE_1)
	s_or_b32 s13, s13, vcc_lo
	s_or_b32 exec_lo, exec_lo, s38
	s_and_saveexec_b32 s37, s13
	s_cbranch_execnz .LBB6_4750
	s_branch .LBB6_4751
.LBB6_5348:                             ;   in Loop: Header=BB6_4010 Depth=4
	s_mov_b32 s13, -1
	s_mov_b32 s39, exec_lo
                                        ; implicit-def: $sgpr37
	v_cmpx_eq_u16_e32 0x80, v115
; %bb.5349:                             ;   in Loop: Header=BB6_4010 Depth=4
	s_mov_b32 s37, 0x7f800001
	s_xor_b32 s13, exec_lo, -1
; %bb.5350:                             ;   in Loop: Header=BB6_4010 Depth=4
	s_or_b32 exec_lo, exec_lo, s39
	s_delay_alu instid0(SALU_CYCLE_1)
	s_and_b32 s13, s13, exec_lo
                                        ; implicit-def: $vgpr115
	s_or_saveexec_b32 s38, s38
	v_mov_b32_e32 v49, s37
	s_xor_b32 exec_lo, exec_lo, s38
	s_cbranch_execz .LBB6_4753
.LBB6_5351:                             ;   in Loop: Header=BB6_4010 Depth=4
	v_cmp_ne_u16_e32 vcc_lo, 0, v115
	v_mov_b32_e32 v49, 0
	s_and_not1_b32 s13, s13, exec_lo
	s_and_b32 vcc_lo, vcc_lo, exec_lo
	s_delay_alu instid0(SALU_CYCLE_1)
	s_or_b32 s13, s13, vcc_lo
	s_or_b32 exec_lo, exec_lo, s38
	s_and_saveexec_b32 s37, s13
	s_cbranch_execnz .LBB6_4754
	s_branch .LBB6_4755
.LBB6_5352:                             ;   in Loop: Header=BB6_4010 Depth=4
	s_mov_b32 s13, -1
	s_mov_b32 s39, exec_lo
                                        ; implicit-def: $sgpr37
	v_cmpx_eq_u16_e32 0x80, v112
; %bb.5353:                             ;   in Loop: Header=BB6_4010 Depth=4
	s_mov_b32 s37, 0x7f800001
	s_xor_b32 s13, exec_lo, -1
; %bb.5354:                             ;   in Loop: Header=BB6_4010 Depth=4
	s_or_b32 exec_lo, exec_lo, s39
	s_delay_alu instid0(SALU_CYCLE_1)
	s_and_b32 s13, s13, exec_lo
                                        ; implicit-def: $vgpr112
	s_or_saveexec_b32 s38, s38
	v_mov_b32_e32 v49, s37
	s_xor_b32 exec_lo, exec_lo, s38
	s_cbranch_execz .LBB6_4767
.LBB6_5355:                             ;   in Loop: Header=BB6_4010 Depth=4
	v_cmp_ne_u16_e32 vcc_lo, 0, v112
	v_mov_b32_e32 v49, 0
	s_and_not1_b32 s13, s13, exec_lo
	s_and_b32 vcc_lo, vcc_lo, exec_lo
	s_delay_alu instid0(SALU_CYCLE_1)
	s_or_b32 s13, s13, vcc_lo
	s_or_b32 exec_lo, exec_lo, s38
	s_and_saveexec_b32 s37, s13
	s_cbranch_execnz .LBB6_4768
	s_branch .LBB6_4769
.LBB6_5356:                             ;   in Loop: Header=BB6_4010 Depth=4
	s_mov_b32 s13, -1
	s_mov_b32 s39, exec_lo
                                        ; implicit-def: $sgpr37
	v_cmpx_eq_u16_e32 0x80, v115
; %bb.5357:                             ;   in Loop: Header=BB6_4010 Depth=4
	s_mov_b32 s37, 0x7f800001
	s_xor_b32 s13, exec_lo, -1
; %bb.5358:                             ;   in Loop: Header=BB6_4010 Depth=4
	s_or_b32 exec_lo, exec_lo, s39
	s_delay_alu instid0(SALU_CYCLE_1)
	s_and_b32 s13, s13, exec_lo
                                        ; implicit-def: $vgpr115
	s_or_saveexec_b32 s38, s38
	v_mov_b32_e32 v112, s37
	s_xor_b32 exec_lo, exec_lo, s38
	s_cbranch_execz .LBB6_4771
.LBB6_5359:                             ;   in Loop: Header=BB6_4010 Depth=4
	v_cmp_ne_u16_e32 vcc_lo, 0, v115
	v_mov_b32_e32 v112, 0
	s_and_not1_b32 s13, s13, exec_lo
	s_and_b32 vcc_lo, vcc_lo, exec_lo
	s_delay_alu instid0(SALU_CYCLE_1)
	s_or_b32 s13, s13, vcc_lo
	s_or_b32 exec_lo, exec_lo, s38
	s_and_saveexec_b32 s37, s13
	s_cbranch_execnz .LBB6_4772
	s_branch .LBB6_4773
.LBB6_5360:                             ;   in Loop: Header=BB6_4010 Depth=4
	s_mov_b32 s13, -1
	s_mov_b32 s39, exec_lo
                                        ; implicit-def: $sgpr37
	v_cmpx_eq_u16_e32 0x80, v112
; %bb.5361:                             ;   in Loop: Header=BB6_4010 Depth=4
	s_mov_b32 s37, 0x7f800001
	s_xor_b32 s13, exec_lo, -1
; %bb.5362:                             ;   in Loop: Header=BB6_4010 Depth=4
	s_or_b32 exec_lo, exec_lo, s39
	s_delay_alu instid0(SALU_CYCLE_1)
	s_and_b32 s13, s13, exec_lo
                                        ; implicit-def: $vgpr112
	s_or_saveexec_b32 s38, s38
	v_mov_b32_e32 v49, s37
	s_xor_b32 exec_lo, exec_lo, s38
	s_cbranch_execz .LBB6_4778
.LBB6_5363:                             ;   in Loop: Header=BB6_4010 Depth=4
	v_cmp_ne_u16_e32 vcc_lo, 0, v112
	v_mov_b32_e32 v49, 0
	s_and_not1_b32 s13, s13, exec_lo
	s_and_b32 vcc_lo, vcc_lo, exec_lo
	s_delay_alu instid0(SALU_CYCLE_1)
	s_or_b32 s13, s13, vcc_lo
	s_or_b32 exec_lo, exec_lo, s38
	s_and_saveexec_b32 s37, s13
	s_cbranch_execnz .LBB6_4779
	s_branch .LBB6_4780
.LBB6_5364:                             ;   in Loop: Header=BB6_4010 Depth=4
	s_mov_b32 s13, -1
	s_mov_b32 s39, exec_lo
                                        ; implicit-def: $sgpr37
	v_cmpx_eq_u16_e32 0x80, v112
; %bb.5365:                             ;   in Loop: Header=BB6_4010 Depth=4
	s_mov_b32 s37, 0x7f800001
	s_xor_b32 s13, exec_lo, -1
; %bb.5366:                             ;   in Loop: Header=BB6_4010 Depth=4
	s_or_b32 exec_lo, exec_lo, s39
	s_delay_alu instid0(SALU_CYCLE_1)
	s_and_b32 s13, s13, exec_lo
                                        ; implicit-def: $vgpr112
	s_or_saveexec_b32 s38, s38
	v_mov_b32_e32 v38, s37
	s_xor_b32 exec_lo, exec_lo, s38
	s_cbranch_execz .LBB6_4782
.LBB6_5367:                             ;   in Loop: Header=BB6_4010 Depth=4
	v_cmp_ne_u16_e32 vcc_lo, 0, v112
	v_mov_b32_e32 v38, 0
	s_and_not1_b32 s13, s13, exec_lo
	s_and_b32 vcc_lo, vcc_lo, exec_lo
	s_delay_alu instid0(SALU_CYCLE_1)
	s_or_b32 s13, s13, vcc_lo
	s_or_b32 exec_lo, exec_lo, s38
	s_and_saveexec_b32 s37, s13
	s_cbranch_execnz .LBB6_4783
	s_branch .LBB6_4784
.LBB6_5368:                             ;   in Loop: Header=BB6_4010 Depth=4
	s_mov_b32 s13, -1
	s_mov_b32 s39, exec_lo
                                        ; implicit-def: $sgpr37
	v_cmpx_eq_u16_e32 0x80, v49
; %bb.5369:                             ;   in Loop: Header=BB6_4010 Depth=4
	s_mov_b32 s37, 0x7f800001
	s_xor_b32 s13, exec_lo, -1
; %bb.5370:                             ;   in Loop: Header=BB6_4010 Depth=4
	s_or_b32 exec_lo, exec_lo, s39
	s_delay_alu instid0(SALU_CYCLE_1)
	s_and_b32 s13, s13, exec_lo
                                        ; implicit-def: $vgpr49
	s_or_saveexec_b32 s38, s38
	v_mov_b32_e32 v38, s37
	s_xor_b32 exec_lo, exec_lo, s38
	s_cbranch_execz .LBB6_4796
.LBB6_5371:                             ;   in Loop: Header=BB6_4010 Depth=4
	v_cmp_ne_u16_e32 vcc_lo, 0, v49
	v_mov_b32_e32 v38, 0
	s_and_not1_b32 s13, s13, exec_lo
	s_and_b32 vcc_lo, vcc_lo, exec_lo
	s_delay_alu instid0(SALU_CYCLE_1)
	s_or_b32 s13, s13, vcc_lo
	s_or_b32 exec_lo, exec_lo, s38
	s_and_saveexec_b32 s37, s13
	s_cbranch_execnz .LBB6_4797
	s_branch .LBB6_4798
.LBB6_5372:                             ;   in Loop: Header=BB6_4010 Depth=4
	s_mov_b32 s13, -1
	s_mov_b32 s39, exec_lo
                                        ; implicit-def: $sgpr37
	v_cmpx_eq_u16_e32 0x80, v112
; %bb.5373:                             ;   in Loop: Header=BB6_4010 Depth=4
	s_mov_b32 s37, 0x7f800001
	s_xor_b32 s13, exec_lo, -1
; %bb.5374:                             ;   in Loop: Header=BB6_4010 Depth=4
	s_or_b32 exec_lo, exec_lo, s39
	s_delay_alu instid0(SALU_CYCLE_1)
	s_and_b32 s13, s13, exec_lo
                                        ; implicit-def: $vgpr112
	s_or_saveexec_b32 s38, s38
	v_mov_b32_e32 v49, s37
	s_xor_b32 exec_lo, exec_lo, s38
	s_cbranch_execz .LBB6_4800
.LBB6_5375:                             ;   in Loop: Header=BB6_4010 Depth=4
	v_cmp_ne_u16_e32 vcc_lo, 0, v112
	v_mov_b32_e32 v49, 0
	s_and_not1_b32 s13, s13, exec_lo
	s_and_b32 vcc_lo, vcc_lo, exec_lo
	s_delay_alu instid0(SALU_CYCLE_1)
	s_or_b32 s13, s13, vcc_lo
	s_or_b32 exec_lo, exec_lo, s38
	s_and_saveexec_b32 s37, s13
	s_cbranch_execnz .LBB6_4801
	s_branch .LBB6_4802
.LBB6_5376:                             ;   in Loop: Header=BB6_4010 Depth=4
	s_mov_b32 s13, -1
	s_mov_b32 s39, exec_lo
                                        ; implicit-def: $sgpr37
	v_cmpx_eq_u16_e32 0x80, v49
; %bb.5377:                             ;   in Loop: Header=BB6_4010 Depth=4
	s_mov_b32 s37, 0x7f800001
	s_xor_b32 s13, exec_lo, -1
; %bb.5378:                             ;   in Loop: Header=BB6_4010 Depth=4
	s_or_b32 exec_lo, exec_lo, s39
	s_delay_alu instid0(SALU_CYCLE_1)
	s_and_b32 s13, s13, exec_lo
                                        ; implicit-def: $vgpr49
	s_or_saveexec_b32 s38, s38
	v_mov_b32_e32 v38, s37
	s_xor_b32 exec_lo, exec_lo, s38
	s_cbranch_execz .LBB6_4807
.LBB6_5379:                             ;   in Loop: Header=BB6_4010 Depth=4
	v_cmp_ne_u16_e32 vcc_lo, 0, v49
	v_mov_b32_e32 v38, 0
	s_and_not1_b32 s13, s13, exec_lo
	s_and_b32 vcc_lo, vcc_lo, exec_lo
	s_delay_alu instid0(SALU_CYCLE_1)
	s_or_b32 s13, s13, vcc_lo
	s_or_b32 exec_lo, exec_lo, s38
	s_and_saveexec_b32 s37, s13
	s_cbranch_execnz .LBB6_4808
	s_branch .LBB6_4809
.LBB6_5380:                             ;   in Loop: Header=BB6_4010 Depth=4
	s_mov_b32 s13, -1
	s_mov_b32 s39, exec_lo
                                        ; implicit-def: $sgpr37
	v_cmpx_eq_u16_e32 0x80, v49
; %bb.5381:                             ;   in Loop: Header=BB6_4010 Depth=4
	s_mov_b32 s37, 0x7f800001
	s_xor_b32 s13, exec_lo, -1
; %bb.5382:                             ;   in Loop: Header=BB6_4010 Depth=4
	s_or_b32 exec_lo, exec_lo, s39
	s_delay_alu instid0(SALU_CYCLE_1)
	s_and_b32 s13, s13, exec_lo
                                        ; implicit-def: $vgpr49
	s_or_saveexec_b32 s38, s38
	v_mov_b32_e32 v35, s37
	s_xor_b32 exec_lo, exec_lo, s38
	s_cbranch_execz .LBB6_4811
.LBB6_5383:                             ;   in Loop: Header=BB6_4010 Depth=4
	v_cmp_ne_u16_e32 vcc_lo, 0, v49
	v_mov_b32_e32 v35, 0
	s_and_not1_b32 s13, s13, exec_lo
	s_and_b32 vcc_lo, vcc_lo, exec_lo
	s_delay_alu instid0(SALU_CYCLE_1)
	s_or_b32 s13, s13, vcc_lo
	s_or_b32 exec_lo, exec_lo, s38
	s_and_saveexec_b32 s37, s13
	s_cbranch_execnz .LBB6_4812
	s_branch .LBB6_4813
.LBB6_5384:                             ;   in Loop: Header=BB6_4010 Depth=4
	s_mov_b32 s13, -1
	s_mov_b32 s39, exec_lo
                                        ; implicit-def: $sgpr37
	v_cmpx_eq_u16_e32 0x80, v38
; %bb.5385:                             ;   in Loop: Header=BB6_4010 Depth=4
	s_mov_b32 s37, 0x7f800001
	s_xor_b32 s13, exec_lo, -1
; %bb.5386:                             ;   in Loop: Header=BB6_4010 Depth=4
	s_or_b32 exec_lo, exec_lo, s39
	s_delay_alu instid0(SALU_CYCLE_1)
	s_and_b32 s13, s13, exec_lo
                                        ; implicit-def: $vgpr38
	s_or_saveexec_b32 s38, s38
	v_mov_b32_e32 v35, s37
	s_xor_b32 exec_lo, exec_lo, s38
	s_cbranch_execz .LBB6_4825
.LBB6_5387:                             ;   in Loop: Header=BB6_4010 Depth=4
	v_cmp_ne_u16_e32 vcc_lo, 0, v38
	v_mov_b32_e32 v35, 0
	s_and_not1_b32 s13, s13, exec_lo
	s_and_b32 vcc_lo, vcc_lo, exec_lo
	s_delay_alu instid0(SALU_CYCLE_1)
	s_or_b32 s13, s13, vcc_lo
	s_or_b32 exec_lo, exec_lo, s38
	s_and_saveexec_b32 s37, s13
	s_cbranch_execnz .LBB6_4826
	s_branch .LBB6_4827
.LBB6_5388:                             ;   in Loop: Header=BB6_4010 Depth=4
	s_mov_b32 s13, -1
	s_mov_b32 s39, exec_lo
                                        ; implicit-def: $sgpr37
	v_cmpx_eq_u16_e32 0x80, v49
; %bb.5389:                             ;   in Loop: Header=BB6_4010 Depth=4
	s_mov_b32 s37, 0x7f800001
	s_xor_b32 s13, exec_lo, -1
; %bb.5390:                             ;   in Loop: Header=BB6_4010 Depth=4
	s_or_b32 exec_lo, exec_lo, s39
	s_delay_alu instid0(SALU_CYCLE_1)
	s_and_b32 s13, s13, exec_lo
                                        ; implicit-def: $vgpr49
	s_or_saveexec_b32 s38, s38
	v_mov_b32_e32 v38, s37
	s_xor_b32 exec_lo, exec_lo, s38
	s_cbranch_execz .LBB6_4829
.LBB6_5391:                             ;   in Loop: Header=BB6_4010 Depth=4
	v_cmp_ne_u16_e32 vcc_lo, 0, v49
	v_mov_b32_e32 v38, 0
	s_and_not1_b32 s13, s13, exec_lo
	s_and_b32 vcc_lo, vcc_lo, exec_lo
	s_delay_alu instid0(SALU_CYCLE_1)
	s_or_b32 s13, s13, vcc_lo
	s_or_b32 exec_lo, exec_lo, s38
	s_and_saveexec_b32 s37, s13
	s_cbranch_execnz .LBB6_4830
	s_branch .LBB6_4831
.LBB6_5392:                             ;   in Loop: Header=BB6_4010 Depth=4
	s_mov_b32 s13, -1
	s_mov_b32 s39, exec_lo
                                        ; implicit-def: $sgpr37
	v_cmpx_eq_u16_e32 0x80, v38
; %bb.5393:                             ;   in Loop: Header=BB6_4010 Depth=4
	s_mov_b32 s37, 0x7f800001
	s_xor_b32 s13, exec_lo, -1
; %bb.5394:                             ;   in Loop: Header=BB6_4010 Depth=4
	s_or_b32 exec_lo, exec_lo, s39
	s_delay_alu instid0(SALU_CYCLE_1)
	s_and_b32 s13, s13, exec_lo
                                        ; implicit-def: $vgpr38
	s_or_saveexec_b32 s38, s38
	v_mov_b32_e32 v35, s37
	s_xor_b32 exec_lo, exec_lo, s38
	s_cbranch_execz .LBB6_4836
.LBB6_5395:                             ;   in Loop: Header=BB6_4010 Depth=4
	v_cmp_ne_u16_e32 vcc_lo, 0, v38
	v_mov_b32_e32 v35, 0
	s_and_not1_b32 s13, s13, exec_lo
	s_and_b32 vcc_lo, vcc_lo, exec_lo
	s_delay_alu instid0(SALU_CYCLE_1)
	s_or_b32 s13, s13, vcc_lo
	s_or_b32 exec_lo, exec_lo, s38
	s_and_saveexec_b32 s37, s13
	s_cbranch_execnz .LBB6_4837
	s_branch .LBB6_4838
.LBB6_5396:                             ;   in Loop: Header=BB6_4010 Depth=4
	s_mov_b32 s13, -1
	s_mov_b32 s39, exec_lo
                                        ; implicit-def: $sgpr37
	v_cmpx_eq_u16_e32 0x80, v38
; %bb.5397:                             ;   in Loop: Header=BB6_4010 Depth=4
	s_mov_b32 s37, 0x7f800001
	s_xor_b32 s13, exec_lo, -1
; %bb.5398:                             ;   in Loop: Header=BB6_4010 Depth=4
	s_or_b32 exec_lo, exec_lo, s39
	s_delay_alu instid0(SALU_CYCLE_1)
	s_and_b32 s13, s13, exec_lo
                                        ; implicit-def: $vgpr38
	s_or_saveexec_b32 s38, s38
	v_mov_b32_e32 v32, s37
	s_xor_b32 exec_lo, exec_lo, s38
	s_cbranch_execz .LBB6_4840
.LBB6_5399:                             ;   in Loop: Header=BB6_4010 Depth=4
	v_cmp_ne_u16_e32 vcc_lo, 0, v38
	v_mov_b32_e32 v32, 0
	s_and_not1_b32 s13, s13, exec_lo
	s_and_b32 vcc_lo, vcc_lo, exec_lo
	s_delay_alu instid0(SALU_CYCLE_1)
	s_or_b32 s13, s13, vcc_lo
	s_or_b32 exec_lo, exec_lo, s38
	s_and_saveexec_b32 s37, s13
	s_cbranch_execnz .LBB6_4841
	s_branch .LBB6_4842
.LBB6_5400:                             ;   in Loop: Header=BB6_4010 Depth=4
	s_mov_b32 s13, -1
	s_mov_b32 s39, exec_lo
                                        ; implicit-def: $sgpr37
	v_cmpx_eq_u16_e32 0x80, v35
; %bb.5401:                             ;   in Loop: Header=BB6_4010 Depth=4
	s_mov_b32 s37, 0x7f800001
	s_xor_b32 s13, exec_lo, -1
; %bb.5402:                             ;   in Loop: Header=BB6_4010 Depth=4
	s_or_b32 exec_lo, exec_lo, s39
	s_delay_alu instid0(SALU_CYCLE_1)
	s_and_b32 s13, s13, exec_lo
                                        ; implicit-def: $vgpr35
	s_or_saveexec_b32 s38, s38
	v_mov_b32_e32 v32, s37
	s_xor_b32 exec_lo, exec_lo, s38
	s_cbranch_execz .LBB6_4854
.LBB6_5403:                             ;   in Loop: Header=BB6_4010 Depth=4
	v_cmp_ne_u16_e32 vcc_lo, 0, v35
	v_mov_b32_e32 v32, 0
	s_and_not1_b32 s13, s13, exec_lo
	s_and_b32 vcc_lo, vcc_lo, exec_lo
	s_delay_alu instid0(SALU_CYCLE_1)
	s_or_b32 s13, s13, vcc_lo
	s_or_b32 exec_lo, exec_lo, s38
	s_and_saveexec_b32 s37, s13
	s_cbranch_execnz .LBB6_4855
	s_branch .LBB6_4856
.LBB6_5404:                             ;   in Loop: Header=BB6_4010 Depth=4
	s_mov_b32 s13, -1
	s_mov_b32 s39, exec_lo
                                        ; implicit-def: $sgpr37
	v_cmpx_eq_u16_e32 0x80, v38
; %bb.5405:                             ;   in Loop: Header=BB6_4010 Depth=4
	s_mov_b32 s37, 0x7f800001
	s_xor_b32 s13, exec_lo, -1
; %bb.5406:                             ;   in Loop: Header=BB6_4010 Depth=4
	s_or_b32 exec_lo, exec_lo, s39
	s_delay_alu instid0(SALU_CYCLE_1)
	s_and_b32 s13, s13, exec_lo
                                        ; implicit-def: $vgpr38
	s_or_saveexec_b32 s38, s38
	v_mov_b32_e32 v35, s37
	s_xor_b32 exec_lo, exec_lo, s38
	s_cbranch_execz .LBB6_4858
.LBB6_5407:                             ;   in Loop: Header=BB6_4010 Depth=4
	v_cmp_ne_u16_e32 vcc_lo, 0, v38
	v_mov_b32_e32 v35, 0
	s_and_not1_b32 s13, s13, exec_lo
	s_and_b32 vcc_lo, vcc_lo, exec_lo
	s_delay_alu instid0(SALU_CYCLE_1)
	s_or_b32 s13, s13, vcc_lo
	s_or_b32 exec_lo, exec_lo, s38
	s_and_saveexec_b32 s37, s13
	s_cbranch_execnz .LBB6_4859
	s_branch .LBB6_4860
.LBB6_5408:                             ;   in Loop: Header=BB6_4010 Depth=4
	s_mov_b32 s13, -1
	s_mov_b32 s39, exec_lo
                                        ; implicit-def: $sgpr37
	v_cmpx_eq_u16_e32 0x80, v35
; %bb.5409:                             ;   in Loop: Header=BB6_4010 Depth=4
	s_mov_b32 s37, 0x7f800001
	s_xor_b32 s13, exec_lo, -1
; %bb.5410:                             ;   in Loop: Header=BB6_4010 Depth=4
	s_or_b32 exec_lo, exec_lo, s39
	s_delay_alu instid0(SALU_CYCLE_1)
	s_and_b32 s13, s13, exec_lo
                                        ; implicit-def: $vgpr35
	s_or_saveexec_b32 s38, s38
	v_mov_b32_e32 v32, s37
	s_xor_b32 exec_lo, exec_lo, s38
	s_cbranch_execz .LBB6_4865
.LBB6_5411:                             ;   in Loop: Header=BB6_4010 Depth=4
	v_cmp_ne_u16_e32 vcc_lo, 0, v35
	v_mov_b32_e32 v32, 0
	s_and_not1_b32 s13, s13, exec_lo
	s_and_b32 vcc_lo, vcc_lo, exec_lo
	s_delay_alu instid0(SALU_CYCLE_1)
	s_or_b32 s13, s13, vcc_lo
	s_or_b32 exec_lo, exec_lo, s38
	s_and_saveexec_b32 s37, s13
	s_cbranch_execnz .LBB6_4866
	s_branch .LBB6_4867
.LBB6_5412:                             ;   in Loop: Header=BB6_4010 Depth=4
	s_mov_b32 s13, -1
	s_mov_b32 s39, exec_lo
                                        ; implicit-def: $sgpr37
	v_cmpx_eq_u16_e32 0x80, v35
; %bb.5413:                             ;   in Loop: Header=BB6_4010 Depth=4
	s_mov_b32 s37, 0x7f800001
	s_xor_b32 s13, exec_lo, -1
; %bb.5414:                             ;   in Loop: Header=BB6_4010 Depth=4
	s_or_b32 exec_lo, exec_lo, s39
	s_delay_alu instid0(SALU_CYCLE_1)
	s_and_b32 s13, s13, exec_lo
                                        ; implicit-def: $vgpr35
	s_or_saveexec_b32 s38, s38
	v_mov_b32_e32 v25, s37
	s_xor_b32 exec_lo, exec_lo, s38
	s_cbranch_execz .LBB6_4869
.LBB6_5415:                             ;   in Loop: Header=BB6_4010 Depth=4
	v_cmp_ne_u16_e32 vcc_lo, 0, v35
	v_mov_b32_e32 v25, 0
	s_and_not1_b32 s13, s13, exec_lo
	s_and_b32 vcc_lo, vcc_lo, exec_lo
	s_delay_alu instid0(SALU_CYCLE_1)
	s_or_b32 s13, s13, vcc_lo
	s_or_b32 exec_lo, exec_lo, s38
	s_and_saveexec_b32 s37, s13
	s_cbranch_execnz .LBB6_4870
	s_branch .LBB6_4871
.LBB6_5416:                             ;   in Loop: Header=BB6_4010 Depth=4
	s_mov_b32 s13, -1
	s_mov_b32 s39, exec_lo
                                        ; implicit-def: $sgpr37
	v_cmpx_eq_u16_e32 0x80, v32
; %bb.5417:                             ;   in Loop: Header=BB6_4010 Depth=4
	s_mov_b32 s37, 0x7f800001
	s_xor_b32 s13, exec_lo, -1
; %bb.5418:                             ;   in Loop: Header=BB6_4010 Depth=4
	s_or_b32 exec_lo, exec_lo, s39
	s_delay_alu instid0(SALU_CYCLE_1)
	s_and_b32 s13, s13, exec_lo
                                        ; implicit-def: $vgpr32
	s_or_saveexec_b32 s38, s38
	v_mov_b32_e32 v25, s37
	s_xor_b32 exec_lo, exec_lo, s38
	s_cbranch_execz .LBB6_4883
.LBB6_5419:                             ;   in Loop: Header=BB6_4010 Depth=4
	v_cmp_ne_u16_e32 vcc_lo, 0, v32
	v_mov_b32_e32 v25, 0
	s_and_not1_b32 s13, s13, exec_lo
	s_and_b32 vcc_lo, vcc_lo, exec_lo
	s_delay_alu instid0(SALU_CYCLE_1)
	s_or_b32 s13, s13, vcc_lo
	s_or_b32 exec_lo, exec_lo, s38
	s_and_saveexec_b32 s37, s13
	s_cbranch_execnz .LBB6_4884
	s_branch .LBB6_4885
.LBB6_5420:                             ;   in Loop: Header=BB6_4010 Depth=4
	s_mov_b32 s13, -1
	s_mov_b32 s39, exec_lo
                                        ; implicit-def: $sgpr37
	v_cmpx_eq_u16_e32 0x80, v35
; %bb.5421:                             ;   in Loop: Header=BB6_4010 Depth=4
	s_mov_b32 s37, 0x7f800001
	s_xor_b32 s13, exec_lo, -1
; %bb.5422:                             ;   in Loop: Header=BB6_4010 Depth=4
	s_or_b32 exec_lo, exec_lo, s39
	s_delay_alu instid0(SALU_CYCLE_1)
	s_and_b32 s13, s13, exec_lo
                                        ; implicit-def: $vgpr35
	s_or_saveexec_b32 s38, s38
	v_mov_b32_e32 v32, s37
	s_xor_b32 exec_lo, exec_lo, s38
	s_cbranch_execz .LBB6_4887
.LBB6_5423:                             ;   in Loop: Header=BB6_4010 Depth=4
	v_cmp_ne_u16_e32 vcc_lo, 0, v35
	v_mov_b32_e32 v32, 0
	s_and_not1_b32 s13, s13, exec_lo
	s_and_b32 vcc_lo, vcc_lo, exec_lo
	s_delay_alu instid0(SALU_CYCLE_1)
	s_or_b32 s13, s13, vcc_lo
	s_or_b32 exec_lo, exec_lo, s38
	s_and_saveexec_b32 s37, s13
	s_cbranch_execnz .LBB6_4888
	s_branch .LBB6_4889
.LBB6_5424:                             ;   in Loop: Header=BB6_4010 Depth=4
	s_mov_b32 s13, -1
	s_mov_b32 s39, exec_lo
                                        ; implicit-def: $sgpr37
	v_cmpx_eq_u16_e32 0x80, v32
; %bb.5425:                             ;   in Loop: Header=BB6_4010 Depth=4
	s_mov_b32 s37, 0x7f800001
	s_xor_b32 s13, exec_lo, -1
; %bb.5426:                             ;   in Loop: Header=BB6_4010 Depth=4
	s_or_b32 exec_lo, exec_lo, s39
	s_delay_alu instid0(SALU_CYCLE_1)
	s_and_b32 s13, s13, exec_lo
                                        ; implicit-def: $vgpr32
	s_or_saveexec_b32 s38, s38
	v_mov_b32_e32 v25, s37
	s_xor_b32 exec_lo, exec_lo, s38
	s_cbranch_execz .LBB6_4894
.LBB6_5427:                             ;   in Loop: Header=BB6_4010 Depth=4
	v_cmp_ne_u16_e32 vcc_lo, 0, v32
	v_mov_b32_e32 v25, 0
	s_and_not1_b32 s13, s13, exec_lo
	s_and_b32 vcc_lo, vcc_lo, exec_lo
	s_delay_alu instid0(SALU_CYCLE_1)
	s_or_b32 s13, s13, vcc_lo
	s_or_b32 exec_lo, exec_lo, s38
	s_and_saveexec_b32 s37, s13
	s_cbranch_execnz .LBB6_4895
	s_branch .LBB6_4896
.LBB6_5428:                             ;   in Loop: Header=BB6_4010 Depth=4
	s_mov_b32 s13, -1
	s_mov_b32 s39, exec_lo
                                        ; implicit-def: $sgpr37
	v_cmpx_eq_u16_e32 0x80, v32
; %bb.5429:                             ;   in Loop: Header=BB6_4010 Depth=4
	s_mov_b32 s37, 0x7f800001
	s_xor_b32 s13, exec_lo, -1
; %bb.5430:                             ;   in Loop: Header=BB6_4010 Depth=4
	s_or_b32 exec_lo, exec_lo, s39
	s_delay_alu instid0(SALU_CYCLE_1)
	s_and_b32 s13, s13, exec_lo
                                        ; implicit-def: $vgpr32
	s_or_saveexec_b32 s38, s38
	v_mov_b32_e32 v22, s37
	s_xor_b32 exec_lo, exec_lo, s38
	s_cbranch_execz .LBB6_4898
.LBB6_5431:                             ;   in Loop: Header=BB6_4010 Depth=4
	v_cmp_ne_u16_e32 vcc_lo, 0, v32
	v_mov_b32_e32 v22, 0
	s_and_not1_b32 s13, s13, exec_lo
	s_and_b32 vcc_lo, vcc_lo, exec_lo
	s_delay_alu instid0(SALU_CYCLE_1)
	s_or_b32 s13, s13, vcc_lo
	s_or_b32 exec_lo, exec_lo, s38
	s_and_saveexec_b32 s37, s13
	s_cbranch_execnz .LBB6_4899
	s_branch .LBB6_4900
.LBB6_5432:                             ;   in Loop: Header=BB6_4010 Depth=4
	s_mov_b32 s13, -1
	s_mov_b32 s39, exec_lo
                                        ; implicit-def: $sgpr37
	v_cmpx_eq_u16_e32 0x80, v25
; %bb.5433:                             ;   in Loop: Header=BB6_4010 Depth=4
	s_mov_b32 s37, 0x7f800001
	s_xor_b32 s13, exec_lo, -1
; %bb.5434:                             ;   in Loop: Header=BB6_4010 Depth=4
	s_or_b32 exec_lo, exec_lo, s39
	s_delay_alu instid0(SALU_CYCLE_1)
	s_and_b32 s13, s13, exec_lo
                                        ; implicit-def: $vgpr25
	s_or_saveexec_b32 s38, s38
	v_mov_b32_e32 v22, s37
	s_xor_b32 exec_lo, exec_lo, s38
	s_cbranch_execz .LBB6_4912
.LBB6_5435:                             ;   in Loop: Header=BB6_4010 Depth=4
	v_cmp_ne_u16_e32 vcc_lo, 0, v25
	v_mov_b32_e32 v22, 0
	s_and_not1_b32 s13, s13, exec_lo
	s_and_b32 vcc_lo, vcc_lo, exec_lo
	s_delay_alu instid0(SALU_CYCLE_1)
	s_or_b32 s13, s13, vcc_lo
	s_or_b32 exec_lo, exec_lo, s38
	s_and_saveexec_b32 s37, s13
	s_cbranch_execnz .LBB6_4913
	s_branch .LBB6_4914
.LBB6_5436:                             ;   in Loop: Header=BB6_4010 Depth=4
	s_mov_b32 s13, -1
	s_mov_b32 s39, exec_lo
                                        ; implicit-def: $sgpr37
	v_cmpx_eq_u16_e32 0x80, v32
; %bb.5437:                             ;   in Loop: Header=BB6_4010 Depth=4
	s_mov_b32 s37, 0x7f800001
	s_xor_b32 s13, exec_lo, -1
; %bb.5438:                             ;   in Loop: Header=BB6_4010 Depth=4
	s_or_b32 exec_lo, exec_lo, s39
	s_delay_alu instid0(SALU_CYCLE_1)
	s_and_b32 s13, s13, exec_lo
                                        ; implicit-def: $vgpr32
	s_or_saveexec_b32 s38, s38
	v_mov_b32_e32 v25, s37
	s_xor_b32 exec_lo, exec_lo, s38
	s_cbranch_execz .LBB6_4916
.LBB6_5439:                             ;   in Loop: Header=BB6_4010 Depth=4
	v_cmp_ne_u16_e32 vcc_lo, 0, v32
	v_mov_b32_e32 v25, 0
	s_and_not1_b32 s13, s13, exec_lo
	s_and_b32 vcc_lo, vcc_lo, exec_lo
	s_delay_alu instid0(SALU_CYCLE_1)
	s_or_b32 s13, s13, vcc_lo
	s_or_b32 exec_lo, exec_lo, s38
	s_and_saveexec_b32 s37, s13
	s_cbranch_execnz .LBB6_4917
	s_branch .LBB6_4918
.LBB6_5440:                             ;   in Loop: Header=BB6_4010 Depth=4
	s_mov_b32 s13, -1
	s_mov_b32 s39, exec_lo
                                        ; implicit-def: $sgpr37
	v_cmpx_eq_u16_e32 0x80, v25
; %bb.5441:                             ;   in Loop: Header=BB6_4010 Depth=4
	s_mov_b32 s37, 0x7f800001
	s_xor_b32 s13, exec_lo, -1
; %bb.5442:                             ;   in Loop: Header=BB6_4010 Depth=4
	s_or_b32 exec_lo, exec_lo, s39
	s_delay_alu instid0(SALU_CYCLE_1)
	s_and_b32 s13, s13, exec_lo
                                        ; implicit-def: $vgpr25
	s_or_saveexec_b32 s38, s38
	v_mov_b32_e32 v22, s37
	s_xor_b32 exec_lo, exec_lo, s38
	s_cbranch_execz .LBB6_4923
.LBB6_5443:                             ;   in Loop: Header=BB6_4010 Depth=4
	v_cmp_ne_u16_e32 vcc_lo, 0, v25
	v_mov_b32_e32 v22, 0
	s_and_not1_b32 s13, s13, exec_lo
	s_and_b32 vcc_lo, vcc_lo, exec_lo
	s_delay_alu instid0(SALU_CYCLE_1)
	s_or_b32 s13, s13, vcc_lo
	s_or_b32 exec_lo, exec_lo, s38
	s_and_saveexec_b32 s37, s13
	s_cbranch_execnz .LBB6_4924
	s_branch .LBB6_4925
.LBB6_5444:                             ;   in Loop: Header=BB6_4010 Depth=4
	s_mov_b32 s13, -1
	s_mov_b32 s39, exec_lo
                                        ; implicit-def: $sgpr37
	v_cmpx_eq_u16_e32 0x80, v25
; %bb.5445:                             ;   in Loop: Header=BB6_4010 Depth=4
	s_mov_b32 s37, 0x7f800001
	s_xor_b32 s13, exec_lo, -1
; %bb.5446:                             ;   in Loop: Header=BB6_4010 Depth=4
	s_or_b32 exec_lo, exec_lo, s39
	s_delay_alu instid0(SALU_CYCLE_1)
	s_and_b32 s13, s13, exec_lo
                                        ; implicit-def: $vgpr25
	s_or_saveexec_b32 s38, s38
	v_mov_b32_e32 v19, s37
	s_xor_b32 exec_lo, exec_lo, s38
	s_cbranch_execz .LBB6_4927
.LBB6_5447:                             ;   in Loop: Header=BB6_4010 Depth=4
	v_cmp_ne_u16_e32 vcc_lo, 0, v25
	v_mov_b32_e32 v19, 0
	s_and_not1_b32 s13, s13, exec_lo
	s_and_b32 vcc_lo, vcc_lo, exec_lo
	s_delay_alu instid0(SALU_CYCLE_1)
	s_or_b32 s13, s13, vcc_lo
	s_or_b32 exec_lo, exec_lo, s38
	s_and_saveexec_b32 s37, s13
	s_cbranch_execnz .LBB6_4928
	s_branch .LBB6_4929
.LBB6_5448:                             ;   in Loop: Header=BB6_305 Depth=3
	s_or_b32 exec_lo, exec_lo, s36
.LBB6_5449:                             ;   in Loop: Header=BB6_305 Depth=3
	s_delay_alu instid0(SALU_CYCLE_1) | instskip(SKIP_2) | instid1(VALU_DEP_1)
	s_or_b32 exec_lo, exec_lo, s34
	v_lshlrev_b32_e32 v8, 10, v17
	s_mov_b32 s34, exec_lo
	v_cmpx_ne_u32_e64 v15, v8
	s_cbranch_execz .LBB6_5499
; %bb.5450:                             ;   in Loop: Header=BB6_305 Depth=3
	v_ashrrev_i32_e32 v9, 31, v16
	v_lshlrev_b32_e32 v2, 5, v2
	s_delay_alu instid0(VALU_DEP_2) | instskip(NEXT) | instid1(VALU_DEP_1)
	v_lshrrev_b32_e32 v9, 27, v9
	v_add_nc_u32_e32 v9, v16, v9
	s_delay_alu instid0(VALU_DEP_1) | instskip(NEXT) | instid1(VALU_DEP_1)
	v_and_b32_e32 v9, 0xffffffe0, v9
	v_sub_nc_u32_e32 v9, v16, v9
	s_delay_alu instid0(VALU_DEP_1) | instskip(NEXT) | instid1(VALU_DEP_1)
	v_sub_nc_u32_e32 v2, v9, v2
	v_add_nc_u32_e32 v8, v8, v2
	s_delay_alu instid0(VALU_DEP_1) | instskip(NEXT) | instid1(VALU_DEP_1)
	v_sub_nc_u32_e32 v2, v15, v8
	v_cmp_lt_i32_e32 vcc_lo, 0, v2
	s_and_b32 exec_lo, exec_lo, vcc_lo
	s_cbranch_execz .LBB6_5499
; %bb.5451:                             ;   in Loop: Header=BB6_305 Depth=3
	s_cbranch_execz .LBB6_5452
; %bb.17352:
	s_getpc_b64 s[48:49]
.Lpost_getpc347:
	s_add_u32 s48, s48, (.LBB6_17008-.Lpost_getpc347)&4294967295
	s_addc_u32 s49, s49, (.LBB6_17008-.Lpost_getpc347)>>32
	s_setpc_b64 s[48:49]
.LBB6_5452:                             ;   in Loop: Header=BB6_305 Depth=3
	ds_load_b128 v[9:12], v0
	ds_load_b64 v[15:16], v0
	v_add_nc_u32_e32 v13, v8, v14
	s_bitcmp1_b32 s31, 0
	s_mov_b32 s31, 0
	s_cselect_b32 s35, -1, 0
	s_delay_alu instid0(VALU_DEP_1) | instskip(SKIP_2) | instid1(VALU_DEP_2)
	v_ashrrev_i32_e32 v14, 31, v13
	s_waitcnt lgkmcnt(1)
	v_add_co_u32 v8, vcc_lo, v9, v13
	v_add_co_ci_u32_e32 v9, vcc_lo, v10, v14, vcc_lo
	v_add_co_u32 v10, vcc_lo, v11, v13
	v_add_co_ci_u32_e32 v11, vcc_lo, v12, v14, vcc_lo
	s_waitcnt lgkmcnt(0)
	v_add_co_u32 v12, vcc_lo, v15, v13
	v_add_co_ci_u32_e32 v13, vcc_lo, v16, v14, vcc_lo
	s_branch .LBB6_5456
.LBB6_5453:                             ;   in Loop: Header=BB6_5456 Depth=4
	s_or_b32 exec_lo, exec_lo, s13
	s_delay_alu instid0(VALU_DEP_1) | instskip(NEXT) | instid1(VALU_DEP_2)
	v_lshrrev_b32_e32 v15, 20, v15
	v_cmp_gt_i32_e32 vcc_lo, 16, v14
	v_lshrrev_b32_e32 v16, 24, v17
	v_min_i32_e32 v17, 15, v14
	s_delay_alu instid0(VALU_DEP_2) | instskip(NEXT) | instid1(VALU_DEP_1)
	v_dual_cndmask_b32 v15, 7, v15 :: v_dual_and_b32 v16, 0x80, v16
	v_or_b32_e32 v14, v14, v15
	v_and_b32_e32 v18, 7, v15
	s_delay_alu instid0(VALU_DEP_2) | instskip(SKIP_1) | instid1(VALU_DEP_1)
	v_cmp_ne_u32_e32 vcc_lo, 0, v14
	v_lshlrev_b32_e32 v17, 3, v17
	v_or3_b32 v15, v17, v16, v18
	s_delay_alu instid0(VALU_DEP_1)
	v_cndmask_b32_e32 v14, 0, v15, vcc_lo
.LBB6_5454:                             ;   in Loop: Header=BB6_5456 Depth=4
	s_or_b32 exec_lo, exec_lo, s37
.LBB6_5455:                             ;   in Loop: Header=BB6_5456 Depth=4
	s_delay_alu instid0(SALU_CYCLE_1)
	s_or_b32 exec_lo, exec_lo, s36
	v_add_co_u32 v8, vcc_lo, v8, v162
	v_sub_nc_u32_e32 v2, v2, v147
	v_add_co_ci_u32_e32 v9, vcc_lo, v9, v163, vcc_lo
	v_add_co_u32 v10, vcc_lo, v10, v162
	v_add_co_ci_u32_e32 v11, vcc_lo, v11, v163, vcc_lo
	flat_store_b8 v[12:13], v14 glc slc dlc
	v_cmp_gt_i32_e32 vcc_lo, 1, v2
	v_add_co_u32 v12, s13, v12, v162
	s_delay_alu instid0(VALU_DEP_1) | instskip(SKIP_1) | instid1(SALU_CYCLE_1)
	v_add_co_ci_u32_e64 v13, s13, v13, v163, s13
	s_or_b32 s31, vcc_lo, s31
	s_and_not1_b32 exec_lo, exec_lo, s31
	s_cbranch_execz .LBB6_5499
.LBB6_5456:                             ;   Parent Loop BB6_51 Depth=1
                                        ;     Parent Loop BB6_303 Depth=2
                                        ;       Parent Loop BB6_305 Depth=3
                                        ; =>      This Inner Loop Header: Depth=4
	flat_load_u8 v15, v[10:11] slc dlc
	s_waitcnt vmcnt(1) lgkmcnt(2)
	flat_load_u8 v16, v[8:9] slc dlc
	s_waitcnt vmcnt(1) lgkmcnt(1)
	v_bfe_u32 v19, v15, 3, 4
	v_lshlrev_b32_e32 v20, 24, v15
	s_delay_alu instid0(VALU_DEP_2) | instskip(SKIP_1) | instid1(VALU_DEP_1)
	v_cmp_eq_u32_e32 vcc_lo, 0, v19
	v_and_b32_e32 v14, 7, v15
	v_clz_i32_u32_e32 v17, v14
	s_delay_alu instid0(VALU_DEP_1) | instskip(NEXT) | instid1(VALU_DEP_1)
	v_min_u32_e32 v17, 32, v17
	v_subrev_nc_u32_e32 v18, 28, v17
	v_sub_nc_u32_e32 v17, 29, v17
	s_delay_alu instid0(VALU_DEP_1) | instskip(NEXT) | instid1(VALU_DEP_1)
	v_dual_cndmask_b32 v17, v19, v17 :: v_dual_lshlrev_b32 v18, v18, v15
	v_and_b32_e32 v18, 7, v18
	s_delay_alu instid0(VALU_DEP_2) | instskip(NEXT) | instid1(VALU_DEP_2)
	v_lshl_add_u32 v17, v17, 23, 0x3b800000
	v_cndmask_b32_e32 v14, v14, v18, vcc_lo
	v_and_b32_e32 v18, 0x80000000, v20
	s_and_b32 vcc_lo, exec_lo, s35
	s_delay_alu instid0(VALU_DEP_2) | instskip(NEXT) | instid1(VALU_DEP_1)
	v_lshlrev_b32_e32 v14, 20, v14
	v_or3_b32 v14, v18, v17, v14
	s_cbranch_vccz .LBB6_5466
; %bb.5457:                             ;   in Loop: Header=BB6_5456 Depth=4
	s_waitcnt vmcnt(0) lgkmcnt(0)
	v_and_b32_e32 v18, 0xff, v16
	s_mov_b32 s13, 0
	s_mov_b32 s37, exec_lo
                                        ; implicit-def: $sgpr36
	s_delay_alu instid0(VALU_DEP_1)
	v_cmpx_lt_i16_e32 0x7f, v18
	s_xor_b32 s37, exec_lo, s37
	s_cbranch_execnz .LBB6_5483
; %bb.5458:                             ;   in Loop: Header=BB6_5456 Depth=4
	s_or_saveexec_b32 s37, s37
	v_mov_b32_e32 v17, s36
	s_xor_b32 exec_lo, exec_lo, s37
	s_cbranch_execnz .LBB6_5486
.LBB6_5459:                             ;   in Loop: Header=BB6_5456 Depth=4
	s_or_b32 exec_lo, exec_lo, s37
	s_and_saveexec_b32 s36, s13
	s_cbranch_execz .LBB6_5461
.LBB6_5460:                             ;   in Loop: Header=BB6_5456 Depth=4
	v_lshrrev_b16 v20, 3, v16
	v_lshlrev_b32_e32 v21, 24, v16
	s_delay_alu instid0(VALU_DEP_2) | instskip(NEXT) | instid1(VALU_DEP_1)
	v_and_b32_e32 v20, 15, v20
	v_cmp_eq_u32_e32 vcc_lo, 0, v20
	v_and_b32_e32 v17, 7, v16
	s_delay_alu instid0(VALU_DEP_1) | instskip(NEXT) | instid1(VALU_DEP_1)
	v_clz_i32_u32_e32 v18, v17
	v_min_u32_e32 v18, 32, v18
	s_delay_alu instid0(VALU_DEP_1) | instskip(SKIP_1) | instid1(VALU_DEP_1)
	v_subrev_nc_u32_e32 v19, 28, v18
	v_sub_nc_u32_e32 v18, 29, v18
	v_dual_cndmask_b32 v18, v20, v18 :: v_dual_lshlrev_b32 v19, v19, v16
	s_delay_alu instid0(VALU_DEP_1) | instskip(NEXT) | instid1(VALU_DEP_2)
	v_and_b32_e32 v19, 7, v19
	v_lshl_add_u32 v18, v18, 23, 0x3b800000
	s_delay_alu instid0(VALU_DEP_2) | instskip(SKIP_1) | instid1(VALU_DEP_2)
	v_cndmask_b32_e32 v17, v17, v19, vcc_lo
	v_and_b32_e32 v19, 0x80000000, v21
	v_lshlrev_b32_e32 v17, 20, v17
	s_delay_alu instid0(VALU_DEP_1)
	v_or3_b32 v17, v19, v18, v17
.LBB6_5461:                             ;   in Loop: Header=BB6_5456 Depth=4
	s_or_b32 exec_lo, exec_lo, s36
	v_and_b32_e32 v18, 0xff, v15
	s_mov_b32 s13, 0
	s_mov_b32 s37, exec_lo
                                        ; implicit-def: $sgpr36
	s_delay_alu instid0(VALU_DEP_1)
	v_cmpx_lt_i16_e32 0x7f, v18
	s_xor_b32 s37, exec_lo, s37
	s_cbranch_execnz .LBB6_5487
; %bb.5462:                             ;   in Loop: Header=BB6_5456 Depth=4
	s_or_saveexec_b32 s37, s37
	v_mov_b32_e32 v19, s36
	s_xor_b32 exec_lo, exec_lo, s37
	s_cbranch_execnz .LBB6_5490
.LBB6_5463:                             ;   in Loop: Header=BB6_5456 Depth=4
	s_or_b32 exec_lo, exec_lo, s37
	s_and_saveexec_b32 vcc_lo, s13
.LBB6_5464:                             ;   in Loop: Header=BB6_5456 Depth=4
	v_mov_b32_e32 v19, v14
.LBB6_5465:                             ;   in Loop: Header=BB6_5456 Depth=4
	s_or_b32 exec_lo, exec_lo, vcc_lo
	s_delay_alu instid0(VALU_DEP_1) | instskip(SKIP_1) | instid1(VALU_DEP_1)
	v_dual_max_f32 v18, v19, v19 :: v_dual_max_f32 v17, v17, v17
	s_mov_b32 s13, 0
	v_max_f32_e32 v17, v17, v18
	s_branch .LBB6_5467
.LBB6_5466:                             ;   in Loop: Header=BB6_5456 Depth=4
	s_mov_b32 s13, -1
                                        ; implicit-def: $vgpr17
.LBB6_5467:                             ;   in Loop: Header=BB6_5456 Depth=4
	s_delay_alu instid0(SALU_CYCLE_1)
	s_and_b32 vcc_lo, exec_lo, s13
	s_cbranch_vccz .LBB6_5477
; %bb.5468:                             ;   in Loop: Header=BB6_5456 Depth=4
	s_waitcnt vmcnt(0) lgkmcnt(0)
	v_and_b32_e32 v18, 0xff, v16
	s_mov_b32 s13, 0
	s_mov_b32 s37, exec_lo
                                        ; implicit-def: $sgpr36
	s_delay_alu instid0(VALU_DEP_1)
	v_cmpx_lt_i16_e32 0x7f, v18
	s_xor_b32 s37, exec_lo, s37
	s_cbranch_execnz .LBB6_5491
; %bb.5469:                             ;   in Loop: Header=BB6_5456 Depth=4
	s_or_saveexec_b32 s37, s37
	v_mov_b32_e32 v17, s36
	s_xor_b32 exec_lo, exec_lo, s37
	s_cbranch_execnz .LBB6_5494
.LBB6_5470:                             ;   in Loop: Header=BB6_5456 Depth=4
	s_or_b32 exec_lo, exec_lo, s37
	s_and_saveexec_b32 s36, s13
	s_cbranch_execz .LBB6_5472
.LBB6_5471:                             ;   in Loop: Header=BB6_5456 Depth=4
	v_lshrrev_b16 v20, 3, v16
	s_delay_alu instid0(VALU_DEP_1) | instskip(NEXT) | instid1(VALU_DEP_1)
	v_and_b32_e32 v20, 15, v20
	v_cmp_eq_u32_e32 vcc_lo, 0, v20
	v_and_b32_e32 v17, 7, v16
	s_delay_alu instid0(VALU_DEP_1) | instskip(NEXT) | instid1(VALU_DEP_1)
	v_clz_i32_u32_e32 v18, v17
	v_min_u32_e32 v18, 32, v18
	s_delay_alu instid0(VALU_DEP_1) | instskip(SKIP_1) | instid1(VALU_DEP_1)
	v_subrev_nc_u32_e32 v19, 28, v18
	v_sub_nc_u32_e32 v18, 29, v18
	v_dual_cndmask_b32 v18, v20, v18 :: v_dual_lshlrev_b32 v19, v19, v16
	v_lshlrev_b32_e32 v16, 24, v16
	s_delay_alu instid0(VALU_DEP_2) | instskip(NEXT) | instid1(VALU_DEP_3)
	v_and_b32_e32 v19, 7, v19
	v_lshl_add_u32 v18, v18, 23, 0x3b800000
	s_delay_alu instid0(VALU_DEP_2) | instskip(NEXT) | instid1(VALU_DEP_1)
	v_dual_cndmask_b32 v17, v17, v19 :: v_dual_and_b32 v16, 0x80000000, v16
	v_lshlrev_b32_e32 v17, 20, v17
	s_delay_alu instid0(VALU_DEP_1)
	v_or3_b32 v17, v16, v18, v17
.LBB6_5472:                             ;   in Loop: Header=BB6_5456 Depth=4
	s_or_b32 exec_lo, exec_lo, s36
	v_and_b32_e32 v15, 0xff, v15
	s_mov_b32 s13, 0
	s_mov_b32 s37, exec_lo
                                        ; implicit-def: $sgpr36
	s_delay_alu instid0(VALU_DEP_1)
	v_cmpx_lt_i16_e32 0x7f, v15
	s_xor_b32 s37, exec_lo, s37
	s_cbranch_execnz .LBB6_5495
; %bb.5473:                             ;   in Loop: Header=BB6_5456 Depth=4
	s_or_saveexec_b32 s37, s37
	v_mov_b32_e32 v16, s36
	s_xor_b32 exec_lo, exec_lo, s37
	s_cbranch_execnz .LBB6_5498
.LBB6_5474:                             ;   in Loop: Header=BB6_5456 Depth=4
	s_or_b32 exec_lo, exec_lo, s37
	s_and_saveexec_b32 vcc_lo, s13
.LBB6_5475:                             ;   in Loop: Header=BB6_5456 Depth=4
	v_mov_b32_e32 v16, v14
.LBB6_5476:                             ;   in Loop: Header=BB6_5456 Depth=4
	s_or_b32 exec_lo, exec_lo, vcc_lo
	s_delay_alu instid0(VALU_DEP_1) | instskip(NEXT) | instid1(VALU_DEP_1)
	v_dual_max_f32 v14, v16, v16 :: v_dual_max_f32 v15, v17, v17
	v_min_f32_e32 v17, v15, v14
.LBB6_5477:                             ;   in Loop: Header=BB6_5456 Depth=4
	s_delay_alu instid0(VALU_DEP_1) | instskip(NEXT) | instid1(VALU_DEP_1)
	v_and_b32_e32 v14, 0x7f800000, v17
	v_cmp_ne_u32_e32 vcc_lo, 0x7f800000, v14
	v_mov_b32_e32 v14, 0x80
	s_and_saveexec_b32 s36, vcc_lo
	s_cbranch_execz .LBB6_5455
; %bb.5478:                             ;   in Loop: Header=BB6_5456 Depth=4
	v_mov_b32_e32 v14, 0
	s_mov_b32 s37, exec_lo
	v_cmpx_ne_u32_e32 0, v17
	s_cbranch_execz .LBB6_5454
; %bb.5479:                             ;   in Loop: Header=BB6_5456 Depth=4
	v_bfe_u32 v14, v17, 23, 8
	s_waitcnt vmcnt(0) lgkmcnt(0)
	s_delay_alu instid0(VALU_DEP_1) | instskip(SKIP_1) | instid1(VALU_DEP_2)
	v_sub_nc_u32_e32 v16, 0x78, v14
	v_cmp_gt_u32_e32 vcc_lo, 0x79, v14
	v_dual_cndmask_b32 v16, 0, v16 :: v_dual_and_b32 v15, 0x7fffff, v17
	s_delay_alu instid0(VALU_DEP_1) | instskip(SKIP_2) | instid1(VALU_DEP_4)
	v_or_b32_e32 v18, 0x800000, v15
	v_cmp_eq_u32_e32 vcc_lo, 0, v14
	v_add_nc_u32_e32 v14, 0xffffff89, v14
	v_cndmask_b32_e64 v16, v16, 0x77, vcc_lo
	s_delay_alu instid0(VALU_DEP_4) | instskip(NEXT) | instid1(VALU_DEP_3)
	v_cndmask_b32_e32 v15, v18, v15, vcc_lo
	v_cndmask_b32_e64 v14, v14, 0xffffff8a, vcc_lo
	s_delay_alu instid0(VALU_DEP_3) | instskip(NEXT) | instid1(VALU_DEP_3)
	v_lshl_add_u32 v18, 0x100000, v16, -1
	v_lshrrev_b32_e32 v19, v16, v15
	v_lshlrev_b32_e64 v21, v16, 0x80000
	s_delay_alu instid0(VALU_DEP_4) | instskip(NEXT) | instid1(VALU_DEP_4)
	v_add_nc_u32_e32 v16, v16, v14
	v_and_b32_e32 v15, v18, v15
	s_delay_alu instid0(VALU_DEP_4) | instskip(NEXT) | instid1(VALU_DEP_2)
	v_bfe_u32 v20, v19, 20, 1
	v_cmp_eq_u32_e64 s13, v15, v21
	s_delay_alu instid0(VALU_DEP_2) | instskip(NEXT) | instid1(VALU_DEP_1)
	v_add_nc_u32_e32 v18, -1, v20
	v_cndmask_b32_e64 v15, 0, v18, s13
	v_lshrrev_b32_e32 v18, 23, v19
	s_mov_b32 s13, exec_lo
	s_delay_alu instid0(VALU_DEP_2) | instskip(NEXT) | instid1(VALU_DEP_2)
	v_add_nc_u32_e32 v15, v15, v19
	v_xor_b32_e32 v18, 1, v18
	s_delay_alu instid0(VALU_DEP_2) | instskip(NEXT) | instid1(VALU_DEP_1)
	v_and_b32_e32 v14, 0xfffff, v15
	v_add_nc_u32_e32 v15, v14, v19
                                        ; implicit-def: $vgpr14
	s_delay_alu instid0(VALU_DEP_3)
	v_cmpx_ne_u32_e64 v16, v18
	s_xor_b32 s13, exec_lo, s13
; %bb.5480:                             ;   in Loop: Header=BB6_5456 Depth=4
	s_delay_alu instid0(VALU_DEP_2) | instskip(SKIP_2) | instid1(VALU_DEP_2)
	v_cmp_lt_u32_e32 vcc_lo, 0xffffff, v15
	v_sub_nc_u32_e32 v14, v16, v18
	v_cndmask_b32_e64 v16, 0, 1, vcc_lo
	v_add_co_ci_u32_e32 v14, vcc_lo, 0, v14, vcc_lo
	s_delay_alu instid0(VALU_DEP_2)
	v_lshrrev_b32_e32 v15, v16, v15
; %bb.5481:                             ;   in Loop: Header=BB6_5456 Depth=4
	s_and_not1_saveexec_b32 s13, s13
	s_cbranch_execz .LBB6_5453
; %bb.5482:                             ;   in Loop: Header=BB6_5456 Depth=4
	s_delay_alu instid0(VALU_DEP_1)
	v_bfe_u32 v14, v15, 23, 1
	s_branch .LBB6_5453
.LBB6_5483:                             ;   in Loop: Header=BB6_5456 Depth=4
	s_mov_b32 s13, -1
	s_mov_b32 s38, exec_lo
                                        ; implicit-def: $sgpr36
	v_cmpx_eq_u16_e32 0x80, v18
; %bb.5484:                             ;   in Loop: Header=BB6_5456 Depth=4
	s_mov_b32 s36, 0x7f800001
	s_xor_b32 s13, exec_lo, -1
; %bb.5485:                             ;   in Loop: Header=BB6_5456 Depth=4
	s_or_b32 exec_lo, exec_lo, s38
	s_delay_alu instid0(SALU_CYCLE_1)
	s_and_b32 s13, s13, exec_lo
                                        ; implicit-def: $vgpr18
	s_or_saveexec_b32 s37, s37
	v_mov_b32_e32 v17, s36
	s_xor_b32 exec_lo, exec_lo, s37
	s_cbranch_execz .LBB6_5459
.LBB6_5486:                             ;   in Loop: Header=BB6_5456 Depth=4
	v_cmp_ne_u16_e32 vcc_lo, 0, v18
	v_mov_b32_e32 v17, 0
	s_and_not1_b32 s13, s13, exec_lo
	s_and_b32 vcc_lo, vcc_lo, exec_lo
	s_delay_alu instid0(SALU_CYCLE_1)
	s_or_b32 s13, s13, vcc_lo
	s_or_b32 exec_lo, exec_lo, s37
	s_and_saveexec_b32 s36, s13
	s_cbranch_execnz .LBB6_5460
	s_branch .LBB6_5461
.LBB6_5487:                             ;   in Loop: Header=BB6_5456 Depth=4
	s_mov_b32 s13, -1
	s_mov_b32 s38, exec_lo
                                        ; implicit-def: $sgpr36
	v_cmpx_eq_u16_e32 0x80, v18
; %bb.5488:                             ;   in Loop: Header=BB6_5456 Depth=4
	s_mov_b32 s36, 0x7f800001
	s_xor_b32 s13, exec_lo, -1
; %bb.5489:                             ;   in Loop: Header=BB6_5456 Depth=4
	s_or_b32 exec_lo, exec_lo, s38
	s_delay_alu instid0(SALU_CYCLE_1)
	s_and_b32 s13, s13, exec_lo
                                        ; implicit-def: $vgpr18
	s_or_saveexec_b32 s37, s37
	v_mov_b32_e32 v19, s36
	s_xor_b32 exec_lo, exec_lo, s37
	s_cbranch_execz .LBB6_5463
.LBB6_5490:                             ;   in Loop: Header=BB6_5456 Depth=4
	v_cmp_ne_u16_e32 vcc_lo, 0, v18
	v_mov_b32_e32 v19, 0
	s_and_not1_b32 s13, s13, exec_lo
	s_and_b32 vcc_lo, vcc_lo, exec_lo
	s_delay_alu instid0(SALU_CYCLE_1)
	s_or_b32 s13, s13, vcc_lo
	s_or_b32 exec_lo, exec_lo, s37
	s_and_saveexec_b32 vcc_lo, s13
	s_cbranch_execnz .LBB6_5464
	s_branch .LBB6_5465
.LBB6_5491:                             ;   in Loop: Header=BB6_5456 Depth=4
	s_mov_b32 s13, -1
	s_mov_b32 s38, exec_lo
                                        ; implicit-def: $sgpr36
	v_cmpx_eq_u16_e32 0x80, v18
; %bb.5492:                             ;   in Loop: Header=BB6_5456 Depth=4
	s_mov_b32 s36, 0x7f800001
	s_xor_b32 s13, exec_lo, -1
; %bb.5493:                             ;   in Loop: Header=BB6_5456 Depth=4
	s_or_b32 exec_lo, exec_lo, s38
	s_delay_alu instid0(SALU_CYCLE_1)
	s_and_b32 s13, s13, exec_lo
                                        ; implicit-def: $vgpr18
	s_or_saveexec_b32 s37, s37
	v_mov_b32_e32 v17, s36
	s_xor_b32 exec_lo, exec_lo, s37
	s_cbranch_execz .LBB6_5470
.LBB6_5494:                             ;   in Loop: Header=BB6_5456 Depth=4
	v_cmp_ne_u16_e32 vcc_lo, 0, v18
	v_mov_b32_e32 v17, 0
	s_and_not1_b32 s13, s13, exec_lo
	s_and_b32 vcc_lo, vcc_lo, exec_lo
	s_delay_alu instid0(SALU_CYCLE_1)
	s_or_b32 s13, s13, vcc_lo
	s_or_b32 exec_lo, exec_lo, s37
	s_and_saveexec_b32 s36, s13
	s_cbranch_execnz .LBB6_5471
	s_branch .LBB6_5472
.LBB6_5495:                             ;   in Loop: Header=BB6_5456 Depth=4
	s_mov_b32 s13, -1
	s_mov_b32 s38, exec_lo
                                        ; implicit-def: $sgpr36
	v_cmpx_eq_u16_e32 0x80, v15
; %bb.5496:                             ;   in Loop: Header=BB6_5456 Depth=4
	s_mov_b32 s36, 0x7f800001
	s_xor_b32 s13, exec_lo, -1
; %bb.5497:                             ;   in Loop: Header=BB6_5456 Depth=4
	s_or_b32 exec_lo, exec_lo, s38
	s_delay_alu instid0(SALU_CYCLE_1)
	s_and_b32 s13, s13, exec_lo
                                        ; implicit-def: $vgpr15
	s_or_saveexec_b32 s37, s37
	v_mov_b32_e32 v16, s36
	s_xor_b32 exec_lo, exec_lo, s37
	s_cbranch_execz .LBB6_5474
.LBB6_5498:                             ;   in Loop: Header=BB6_5456 Depth=4
	v_cmp_ne_u16_e32 vcc_lo, 0, v15
	v_mov_b32_e32 v16, 0
	s_and_not1_b32 s13, s13, exec_lo
	s_and_b32 vcc_lo, vcc_lo, exec_lo
	s_delay_alu instid0(SALU_CYCLE_1)
	s_or_b32 s13, s13, vcc_lo
	s_or_b32 exec_lo, exec_lo, s37
	s_and_saveexec_b32 vcc_lo, s13
	s_cbranch_execnz .LBB6_5475
	s_branch .LBB6_5476
.LBB6_5499:                             ;   in Loop: Header=BB6_305 Depth=3
	s_or_b32 exec_lo, exec_lo, s34
.LBB6_5500:                             ;   in Loop: Header=BB6_305 Depth=3
	s_delay_alu instid0(SALU_CYCLE_1)
	s_or_b32 exec_lo, exec_lo, s14
.LBB6_5501:                             ;   in Loop: Header=BB6_305 Depth=3
	s_and_saveexec_b32 s13, s3
	s_cbranch_execz .LBB6_5523
; %bb.5502:                             ;   in Loop: Header=BB6_305 Depth=3
	s_and_saveexec_b32 s14, s4
	s_delay_alu instid0(SALU_CYCLE_1)
	s_xor_b32 s14, exec_lo, s14
	s_cbranch_execz .LBB6_5520
; %bb.5503:                             ;   in Loop: Header=BB6_305 Depth=3
	s_and_saveexec_b32 s31, s1
	s_cbranch_execz .LBB6_5519
; %bb.5504:                             ;   in Loop: Header=BB6_305 Depth=3
	s_mov_b32 s35, exec_lo
	s_mov_b32 s34, exec_lo
	v_mbcnt_lo_u32_b32 v2, s35, 0
	s_waitcnt vmcnt(0) lgkmcnt(0)
	s_waitcnt_vscnt null, 0x0
	buffer_gl1_inv
	buffer_gl0_inv
	v_cmpx_eq_u32_e32 0, v2
	s_cbranch_execz .LBB6_5506
; %bb.5505:                             ;   in Loop: Header=BB6_305 Depth=3
	s_bcnt1_i32_b32 vcc_lo, s35
	s_delay_alu instid0(SALU_CYCLE_1)
	v_mov_b32_e32 v2, vcc_lo
	ds_add_u64 v0, v[2:3]
	s_cbranch_execz .LBB6_5506
; %bb.17354:
	s_getpc_b64 s[48:49]
.Lpost_getpc348:
	s_add_u32 s48, s48, (.LBB6_16970-.Lpost_getpc348)&4294967295
	s_addc_u32 s49, s49, (.LBB6_16970-.Lpost_getpc348)>>32
	s_setpc_b64 s[48:49]
.LBB6_5506:                             ;   in Loop: Header=BB6_305 Depth=3
	s_or_b32 exec_lo, exec_lo, s34
	s_cbranch_execz .LBB6_5507
; %bb.17356:
	s_getpc_b64 s[48:49]
.Lpost_getpc349:
	s_add_u32 s48, s48, (.LBB6_16940-.Lpost_getpc349)&4294967295
	s_addc_u32 s49, s49, (.LBB6_16940-.Lpost_getpc349)>>32
	s_setpc_b64 s[48:49]
.LBB6_5507:                             ;   in Loop: Header=BB6_305 Depth=3
	ds_load_b64 v[8:9], v0
	v_add_co_u32 v80, vcc_lo, v80, v129
	v_add_co_ci_u32_e32 v81, vcc_lo, 0, v81, vcc_lo
	s_mov_b32 s34, exec_lo
	s_waitcnt lgkmcnt(0)
	s_delay_alu instid0(VALU_DEP_1)
	v_cmpx_lt_u64_e64 v[8:9], v[80:81]
	s_cbranch_execz .LBB6_5518
; %bb.5508:                             ;   in Loop: Header=BB6_305 Depth=3
	s_mov_b32 s35, 0
	s_mov_b32 s38, 0
                                        ; implicit-def: $sgpr36
                                        ; implicit-def: $sgpr37
	s_branch .LBB6_5510
.LBB6_5509:                             ;   in Loop: Header=BB6_5510 Depth=4
	s_or_b32 exec_lo, exec_lo, s40
	s_delay_alu instid0(SALU_CYCLE_1) | instskip(NEXT) | instid1(SALU_CYCLE_1)
	s_and_b32 vcc_lo, exec_lo, vcc_lo
	s_or_b32 s35, vcc_lo, s35
	s_and_not1_b32 vcc_lo, s36, exec_lo
	s_and_b32 s36, s37, exec_lo
	s_delay_alu instid0(SALU_CYCLE_1)
	s_or_b32 s36, vcc_lo, s36
	s_and_not1_b32 exec_lo, exec_lo, s35
	s_cbranch_execz .LBB6_5516
.LBB6_5510:                             ;   Parent Loop BB6_51 Depth=1
                                        ;     Parent Loop BB6_303 Depth=2
                                        ;       Parent Loop BB6_305 Depth=3
                                        ; =>      This Inner Loop Header: Depth=4
	s_add_i32 s38, s38, 1
                                        ; implicit-def: $sgpr40
	s_delay_alu instid0(SALU_CYCLE_1) | instskip(SKIP_1) | instid1(SALU_CYCLE_1)
	s_cmpk_lg_i32 s38, 0x2710
	s_cselect_b32 s39, -1, 0
	s_and_b32 vcc_lo, exec_lo, s39
	s_cbranch_vccz .LBB6_5514
.LBB6_5511:                             ;   in Loop: Header=BB6_5510 Depth=4
	s_and_not1_b32 s37, s37, exec_lo
	s_and_b32 s40, s40, exec_lo
	s_mov_b32 vcc_lo, -1
	s_or_b32 s37, s37, s40
	s_and_saveexec_b32 s40, s39
	s_cbranch_execz .LBB6_5509
; %bb.5512:                             ;   in Loop: Header=BB6_5510 Depth=4
	s_sleep 1
	s_cbranch_execz .LBB6_5513
; %bb.17358:
	s_getpc_b64 s[48:49]
.Lpost_getpc350:
	s_add_u32 s48, s48, (.LBB6_17022-.Lpost_getpc350)&4294967295
	s_addc_u32 s49, s49, (.LBB6_17022-.Lpost_getpc350)>>32
	s_setpc_b64 s[48:49]
.LBB6_5513:                             ;   in Loop: Header=BB6_5510 Depth=4
	ds_load_b64 v[8:9], v0
	s_and_not1_b32 s37, s37, exec_lo
	s_waitcnt lgkmcnt(0)
	v_cmp_ge_u64_e32 vcc_lo, v[8:9], v[80:81]
	s_or_not1_b32 vcc_lo, vcc_lo, exec_lo
	s_branch .LBB6_5509
.LBB6_5514:                             ;   in Loop: Header=BB6_5510 Depth=4
	s_cbranch_execz .LBB6_5515
; %bb.17360:
	s_getpc_b64 s[48:49]
.Lpost_getpc351:
	s_add_u32 s48, s48, (.LBB6_17038-.Lpost_getpc351)&4294967295
	s_addc_u32 s49, s49, (.LBB6_17038-.Lpost_getpc351)>>32
	s_setpc_b64 s[48:49]
.LBB6_5515:                             ;   in Loop: Header=BB6_5510 Depth=4
	ds_load_b64 v[8:9], v0
	s_and_not1_b32 s39, s39, exec_lo
	s_mov_b32 s38, 0
	s_mov_b32 s40, -1
	s_waitcnt lgkmcnt(0)
	flat_load_b32 v2, v[8:9] glc
	s_waitcnt vmcnt(0) lgkmcnt(0)
	buffer_gl1_inv
	buffer_gl0_inv
	v_cmp_eq_u32_e32 vcc_lo, 0, v2
	s_and_b32 vcc_lo, vcc_lo, exec_lo
	s_delay_alu instid0(SALU_CYCLE_1)
	s_or_b32 s39, s39, vcc_lo
	s_branch .LBB6_5511
.LBB6_5516:                             ;   in Loop: Header=BB6_305 Depth=3
	s_or_b32 exec_lo, exec_lo, s35
	s_and_saveexec_b32 vcc_lo, s36
	s_delay_alu instid0(SALU_CYCLE_1)
	s_xor_b32 vcc_lo, exec_lo, vcc_lo
	s_cbranch_execz .LBB6_5518
; %bb.5517:                             ;   in Loop: Header=BB6_305 Depth=3
	ds_store_b32 v0, v176
	s_cbranch_execz .LBB6_5518
; %bb.17362:
	s_getpc_b64 s[48:49]
.Lpost_getpc352:
	s_add_u32 s48, s48, (.LBB6_17158-.Lpost_getpc352)&4294967295
	s_addc_u32 s49, s49, (.LBB6_17158-.Lpost_getpc352)>>32
	s_setpc_b64 s[48:49]
.LBB6_5518:                             ;   in Loop: Header=BB6_305 Depth=3
	s_or_b32 exec_lo, exec_lo, s34
	;;#ASMSTART
	s_wakeup
	;;#ASMEND
.LBB6_5519:                             ;   in Loop: Header=BB6_305 Depth=3
	s_or_b32 exec_lo, exec_lo, s31
.LBB6_5520:                             ;   in Loop: Header=BB6_305 Depth=3
	s_and_not1_saveexec_b32 s14, s14
	s_cbranch_execz .LBB6_5522
; %bb.5521:                             ;   in Loop: Header=BB6_305 Depth=3
	s_waitcnt vmcnt(0) lgkmcnt(0)
	s_waitcnt_vscnt null, 0x0
	buffer_gl1_inv
	buffer_gl0_inv
	s_barrier
.LBB6_5522:                             ;   in Loop: Header=BB6_305 Depth=3
	s_or_b32 exec_lo, exec_lo, s14
.LBB6_5523:                             ;   in Loop: Header=BB6_305 Depth=3
	s_delay_alu instid0(SALU_CYCLE_1) | instskip(SKIP_1) | instid1(SALU_CYCLE_1)
	s_or_b32 exec_lo, exec_lo, s13
                                        ; implicit-def: $vgpr2
	s_and_saveexec_b32 s13, s7
	s_xor_b32 s14, exec_lo, s13
	s_cbranch_execz .LBB6_5527
; %bb.5524:                             ;   in Loop: Header=BB6_305 Depth=3
	v_and_b32_e32 v2, 16, v30
	v_cmp_lt_i32_e32 vcc_lo, 0, v101
	s_delay_alu instid0(VALU_DEP_2) | instskip(SKIP_1) | instid1(VALU_DEP_2)
	v_cmp_ne_u32_e64 s13, 0, v2
	v_and_b32_e32 v2, 16, v30
	s_and_b32 vcc_lo, s13, vcc_lo
	s_delay_alu instid0(SALU_CYCLE_1)
	s_and_saveexec_b32 s13, vcc_lo
	s_cbranch_execz .LBB6_5526
; %bb.5525:                             ;   in Loop: Header=BB6_305 Depth=3
	v_mov_b32_e32 v2, 1
	s_waitcnt vmcnt(0) lgkmcnt(0)
	s_waitcnt_vscnt null, 0x0
	buffer_gl1_inv
	buffer_gl0_inv
.LBB6_5526:                             ;   in Loop: Header=BB6_305 Depth=3
	s_or_b32 exec_lo, exec_lo, s13
.LBB6_5527:                             ;   in Loop: Header=BB6_305 Depth=3
	s_and_not1_saveexec_b32 s13, s14
	s_cbranch_execz .LBB6_5549
; %bb.5528:                             ;   in Loop: Header=BB6_305 Depth=3
	s_and_saveexec_b32 s14, s4
	s_delay_alu instid0(SALU_CYCLE_1)
	s_xor_b32 s14, exec_lo, s14
	s_cbranch_execz .LBB6_5546
; %bb.5529:                             ;   in Loop: Header=BB6_305 Depth=3
	s_and_saveexec_b32 s31, s1
	s_cbranch_execz .LBB6_5545
; %bb.5530:                             ;   in Loop: Header=BB6_305 Depth=3
	s_mov_b32 s35, exec_lo
	s_mov_b32 s34, exec_lo
	v_mbcnt_lo_u32_b32 v2, s35, 0
	;;#ASMSTART
	s_waitcnt lgkmcnt(0) vmcnt(0)
	;;#ASMEND
	s_delay_alu instid0(VALU_DEP_1)
	v_cmpx_eq_u32_e32 0, v2
	s_cbranch_execz .LBB6_5532
; %bb.5531:                             ;   in Loop: Header=BB6_305 Depth=3
	s_bcnt1_i32_b32 vcc_lo, s35
	s_delay_alu instid0(SALU_CYCLE_1)
	v_mov_b32_e32 v2, vcc_lo
	ds_add_u64 v0, v[2:3]
	s_cbranch_execz .LBB6_5532
; %bb.17364:
	s_getpc_b64 s[48:49]
.Lpost_getpc353:
	s_add_u32 s48, s48, (.LBB6_16982-.Lpost_getpc353)&4294967295
	s_addc_u32 s49, s49, (.LBB6_16982-.Lpost_getpc353)>>32
	s_setpc_b64 s[48:49]
.LBB6_5532:                             ;   in Loop: Header=BB6_305 Depth=3
	s_or_b32 exec_lo, exec_lo, s34
	s_cbranch_execz .LBB6_5533
; %bb.17366:
	s_getpc_b64 s[48:49]
.Lpost_getpc354:
	s_add_u32 s48, s48, (.LBB6_16950-.Lpost_getpc354)&4294967295
	s_addc_u32 s49, s49, (.LBB6_16950-.Lpost_getpc354)>>32
	s_setpc_b64 s[48:49]
.LBB6_5533:                             ;   in Loop: Header=BB6_305 Depth=3
	ds_load_b64 v[8:9], v0
	v_add_co_u32 v80, vcc_lo, v80, v129
	v_add_co_ci_u32_e32 v81, vcc_lo, 0, v81, vcc_lo
	s_mov_b32 s34, exec_lo
	s_waitcnt lgkmcnt(0)
	s_delay_alu instid0(VALU_DEP_1)
	v_cmpx_lt_u64_e64 v[8:9], v[80:81]
	s_cbranch_execz .LBB6_5544
; %bb.5534:                             ;   in Loop: Header=BB6_305 Depth=3
	s_mov_b32 s35, 0
	s_mov_b32 s38, 0
                                        ; implicit-def: $sgpr36
                                        ; implicit-def: $sgpr37
	s_branch .LBB6_5536
.LBB6_5535:                             ;   in Loop: Header=BB6_5536 Depth=4
	s_or_b32 exec_lo, exec_lo, s40
	s_delay_alu instid0(SALU_CYCLE_1) | instskip(NEXT) | instid1(SALU_CYCLE_1)
	s_and_b32 vcc_lo, exec_lo, vcc_lo
	s_or_b32 s35, vcc_lo, s35
	s_and_not1_b32 vcc_lo, s36, exec_lo
	s_and_b32 s36, s37, exec_lo
	s_delay_alu instid0(SALU_CYCLE_1)
	s_or_b32 s36, vcc_lo, s36
	s_and_not1_b32 exec_lo, exec_lo, s35
	s_cbranch_execz .LBB6_5542
.LBB6_5536:                             ;   Parent Loop BB6_51 Depth=1
                                        ;     Parent Loop BB6_303 Depth=2
                                        ;       Parent Loop BB6_305 Depth=3
                                        ; =>      This Inner Loop Header: Depth=4
	s_add_i32 s38, s38, 1
                                        ; implicit-def: $sgpr40
	s_delay_alu instid0(SALU_CYCLE_1) | instskip(SKIP_1) | instid1(SALU_CYCLE_1)
	s_cmpk_lg_i32 s38, 0x2710
	s_cselect_b32 s39, -1, 0
	s_and_b32 vcc_lo, exec_lo, s39
	s_cbranch_vccz .LBB6_5540
.LBB6_5537:                             ;   in Loop: Header=BB6_5536 Depth=4
	s_and_not1_b32 s37, s37, exec_lo
	s_and_b32 s40, s40, exec_lo
	s_mov_b32 vcc_lo, -1
	s_or_b32 s37, s37, s40
	s_and_saveexec_b32 s40, s39
	s_cbranch_execz .LBB6_5535
; %bb.5538:                             ;   in Loop: Header=BB6_5536 Depth=4
	s_sleep 1
	s_cbranch_execz .LBB6_5539
; %bb.17368:
	s_getpc_b64 s[48:49]
.Lpost_getpc355:
	s_add_u32 s48, s48, (.LBB6_17030-.Lpost_getpc355)&4294967295
	s_addc_u32 s49, s49, (.LBB6_17030-.Lpost_getpc355)>>32
	s_setpc_b64 s[48:49]
.LBB6_5539:                             ;   in Loop: Header=BB6_5536 Depth=4
	ds_load_b64 v[8:9], v0
	s_and_not1_b32 s37, s37, exec_lo
	s_waitcnt lgkmcnt(0)
	v_cmp_ge_u64_e32 vcc_lo, v[8:9], v[80:81]
	s_or_not1_b32 vcc_lo, vcc_lo, exec_lo
	s_branch .LBB6_5535
.LBB6_5540:                             ;   in Loop: Header=BB6_5536 Depth=4
	s_cbranch_execz .LBB6_5541
; %bb.17370:
	s_getpc_b64 s[48:49]
.Lpost_getpc356:
	s_add_u32 s48, s48, (.LBB6_17052-.Lpost_getpc356)&4294967295
	s_addc_u32 s49, s49, (.LBB6_17052-.Lpost_getpc356)>>32
	s_setpc_b64 s[48:49]
.LBB6_5541:                             ;   in Loop: Header=BB6_5536 Depth=4
	ds_load_b64 v[8:9], v0
	s_and_not1_b32 s39, s39, exec_lo
	s_mov_b32 s38, 0
	s_mov_b32 s40, -1
	s_waitcnt vmcnt(0) lgkmcnt(0)
	s_waitcnt_vscnt null, 0x0
	flat_load_b32 v2, v[8:9] glc
	s_waitcnt vmcnt(0) lgkmcnt(0)
	buffer_gl1_inv
	buffer_gl0_inv
	v_cmp_eq_u32_e32 vcc_lo, 0, v2
	s_and_b32 vcc_lo, vcc_lo, exec_lo
	s_delay_alu instid0(SALU_CYCLE_1)
	s_or_b32 s39, s39, vcc_lo
	s_branch .LBB6_5537
.LBB6_5542:                             ;   in Loop: Header=BB6_305 Depth=3
	s_or_b32 exec_lo, exec_lo, s35
	s_and_saveexec_b32 vcc_lo, s36
	s_delay_alu instid0(SALU_CYCLE_1)
	s_xor_b32 vcc_lo, exec_lo, vcc_lo
	s_cbranch_execz .LBB6_5544
; %bb.5543:                             ;   in Loop: Header=BB6_305 Depth=3
	ds_store_b32 v0, v176
	s_cbranch_execz .LBB6_5544
; %bb.17372:
	s_getpc_b64 s[48:49]
.Lpost_getpc357:
	s_add_u32 s48, s48, (.LBB6_17166-.Lpost_getpc357)&4294967295
	s_addc_u32 s49, s49, (.LBB6_17166-.Lpost_getpc357)>>32
	s_setpc_b64 s[48:49]
.LBB6_5544:                             ;   in Loop: Header=BB6_305 Depth=3
	s_or_b32 exec_lo, exec_lo, s34
	;;#ASMSTART
	s_wakeup
	;;#ASMEND
.LBB6_5545:                             ;   in Loop: Header=BB6_305 Depth=3
	s_or_b32 exec_lo, exec_lo, s31
.LBB6_5546:                             ;   in Loop: Header=BB6_305 Depth=3
	s_and_not1_saveexec_b32 s14, s14
	s_cbranch_execz .LBB6_5548
; %bb.5547:                             ;   in Loop: Header=BB6_305 Depth=3
	;;#ASMSTART
	s_waitcnt lgkmcnt(0) vmcnt(0)
	;;#ASMEND
	s_waitcnt vmcnt(0) lgkmcnt(0)
	s_waitcnt_vscnt null, 0x0
	s_barrier
.LBB6_5548:                             ;   in Loop: Header=BB6_305 Depth=3
	s_or_b32 exec_lo, exec_lo, s14
	v_and_b32_e32 v2, 16, v30
.LBB6_5549:                             ;   in Loop: Header=BB6_305 Depth=3
	s_or_b32 exec_lo, exec_lo, s13
	s_delay_alu instid0(VALU_DEP_1) | instskip(SKIP_1) | instid1(SALU_CYCLE_1)
	v_cmp_ne_u32_e32 vcc_lo, 0, v2
	s_xor_b32 s13, s10, -1
	s_and_b32 s14, vcc_lo, s13
	s_delay_alu instid0(SALU_CYCLE_1)
	s_and_saveexec_b32 s13, s14
	s_cbranch_execz .LBB6_5551
; %bb.5550:                             ;   in Loop: Header=BB6_305 Depth=3
	s_waitcnt vmcnt(0) lgkmcnt(0)
	s_waitcnt_vscnt null, 0x0
	flat_store_b32 v[70:71], v176
.LBB6_5551:                             ;   in Loop: Header=BB6_305 Depth=3
	s_or_b32 exec_lo, exec_lo, s13
	v_and_b32_e32 v2, 48, v30
	s_mov_b32 s13, exec_lo
	s_delay_alu instid0(VALU_DEP_1)
	v_cmpx_ne_u32_e32 0, v2
	s_cbranch_execz .LBB6_5553
; %bb.5552:                             ;   in Loop: Header=BB6_305 Depth=3
	v_add_co_u32 v66, vcc_lo, v66, 2
	v_add_co_ci_u32_e32 v67, vcc_lo, 0, v67, vcc_lo
	s_waitcnt vmcnt(0) lgkmcnt(0)
	s_waitcnt_vscnt null, 0x0
	flat_store_b64 v[64:65], v[66:67]
.LBB6_5553:                             ;   in Loop: Header=BB6_305 Depth=3
	s_or_b32 exec_lo, exec_lo, s13
	v_add_nc_u32_e32 v180, v100, v180
	v_readlane_b32 s13, v122, 10
	v_readlane_b32 s34, v122, 5
	;; [unrolled: 1-line block ×4, first 2 shown]
	v_cmp_ge_i32_e32 vcc_lo, v180, v179
	s_xor_b32 s13, s13, -1
	s_mov_b32 s38, 2
	s_mov_b32 s36, s30
	;; [unrolled: 1-line block ×3, first 2 shown]
	s_or_b32 s13, s13, vcc_lo
	s_delay_alu instid0(SALU_CYCLE_1) | instskip(SKIP_3) | instid1(VALU_DEP_2)
	s_and_b32 s14, exec_lo, s13
	v_readlane_b32 s13, v122, 9
	s_or_b32 s17, s14, s17
	v_readlane_b32 s14, v122, 8
	v_mov_b32_e32 v2, s13
	s_and_not1_b32 exec_lo, exec_lo, s17
	s_cbranch_execz .LBB6_5554
; %bb.17374:                            ;   in Loop: Header=BB6_305 Depth=3
	s_getpc_b64 s[48:49]
.Lpost_getpc358:
	s_add_u32 s48, s48, (.LBB6_305-.Lpost_getpc358)&4294967295
	s_addc_u32 s49, s49, (.LBB6_305-.Lpost_getpc358)>>32
	s_setpc_b64 s[48:49]
.LBB6_5554:                             ;   in Loop: Header=BB6_303 Depth=2
	s_or_b32 exec_lo, exec_lo, s17
.LBB6_5555:                             ;   in Loop: Header=BB6_303 Depth=2
	s_delay_alu instid0(SALU_CYCLE_1) | instskip(NEXT) | instid1(SALU_CYCLE_1)
	s_or_b32 exec_lo, exec_lo, s16
	s_mov_b32 s16, exec_lo
	v_cmpx_gt_i32_e32 2, v2
	s_cbranch_execz .LBB6_5641
; %bb.5556:                             ;   in Loop: Header=BB6_303 Depth=2
	v_cmp_eq_u32_e64 s13, 0, v2
	s_mov_b32 s17, 0
.LBB6_5557:                             ;   Parent Loop BB6_51 Depth=1
                                        ;     Parent Loop BB6_303 Depth=2
                                        ; =>    This Loop Header: Depth=3
                                        ;         Child Loop BB6_5563 Depth 4
                                        ;         Child Loop BB6_5595 Depth 4
	;; [unrolled: 1-line block ×3, first 2 shown]
	v_and_b32_e32 v2, 12, v30
	s_mov_b32 s37, -1
	s_mov_b32 s30, exec_lo
	s_delay_alu instid0(VALU_DEP_1)
	v_cmpx_ne_u32_e32 0, v2
	s_cbranch_execz .LBB6_5571
; %bb.5558:                             ;   in Loop: Header=BB6_5557 Depth=3
	v_and_b32_e32 v2, 8, v30
	s_delay_alu instid0(VALU_DEP_1) | instskip(SKIP_3) | instid1(VALU_DEP_1)
	v_add_co_u32 v10, vcc_lo, v82, v2
	v_add_co_ci_u32_e32 v11, vcc_lo, 0, v83, vcc_lo
	v_add_co_u32 v8, vcc_lo, v66, 2
	v_add_co_ci_u32_e32 v9, vcc_lo, 0, v67, vcc_lo
	v_cmp_lt_u64_e32 vcc_lo, v[10:11], v[8:9]
	v_mov_b32_e32 v10, 1
	s_and_saveexec_b32 s37, vcc_lo
	s_cbranch_execz .LBB6_5570
; %bb.5559:                             ;   in Loop: Header=BB6_5557 Depth=3
	v_mov_b32_e32 v10, 0
	s_mov_b32 s38, 0
                                        ; implicit-def: $sgpr39
	s_branch .LBB6_5563
.LBB6_5560:                             ;   in Loop: Header=BB6_5563 Depth=4
	s_or_b32 exec_lo, exec_lo, s43
	v_mov_b32_e32 v11, 0
	s_or_not1_b32 s42, s42, exec_lo
.LBB6_5561:                             ;   in Loop: Header=BB6_5563 Depth=4
	s_or_b32 exec_lo, exec_lo, s41
	s_delay_alu instid0(VALU_DEP_1) | instskip(SKIP_2) | instid1(SALU_CYCLE_1)
	v_mov_b32_e32 v10, v11
	s_and_not1_b32 vcc_lo, s39, exec_lo
	s_and_b32 s39, s42, exec_lo
	s_or_b32 s39, vcc_lo, s39
.LBB6_5562:                             ;   in Loop: Header=BB6_5563 Depth=4
	s_or_b32 exec_lo, exec_lo, s40
	s_waitcnt vmcnt(0) lgkmcnt(0)
	v_add_co_u32 v11, vcc_lo, v82, v2
	v_add_co_ci_u32_e32 v12, vcc_lo, 0, v83, vcc_lo
	s_xor_b32 s40, s39, -1
	s_delay_alu instid0(VALU_DEP_1) | instskip(SKIP_1) | instid1(SALU_CYCLE_1)
	v_cmp_ge_u64_e32 vcc_lo, v[11:12], v[8:9]
	s_or_b32 vcc_lo, s40, vcc_lo
	s_and_b32 vcc_lo, exec_lo, vcc_lo
	s_delay_alu instid0(SALU_CYCLE_1) | instskip(NEXT) | instid1(SALU_CYCLE_1)
	s_or_b32 s38, vcc_lo, s38
	s_and_not1_b32 exec_lo, exec_lo, s38
	s_cbranch_execz .LBB6_5569
.LBB6_5563:                             ;   Parent Loop BB6_51 Depth=1
                                        ;     Parent Loop BB6_303 Depth=2
                                        ;       Parent Loop BB6_5557 Depth=3
                                        ; =>      This Inner Loop Header: Depth=4
	s_sleep 1
	flat_load_b64 v[82:83], v[64:65] glc
	v_and_b32_e32 v11, 64, v30
	s_and_not1_b32 s39, s39, exec_lo
	s_mov_b32 s40, exec_lo
	s_delay_alu instid0(VALU_DEP_1)
	v_cmpx_eq_u32_e32 0, v11
	s_cbranch_execz .LBB6_5562
; %bb.5564:                             ;   in Loop: Header=BB6_5563 Depth=4
	v_add_nc_u32_e32 v11, 1, v10
	s_mov_b32 s42, -1
	s_mov_b32 s41, exec_lo
	v_cmpx_lt_i32_e32 0x270e, v10
	s_cbranch_execz .LBB6_5561
; %bb.5565:                             ;   in Loop: Header=BB6_5563 Depth=4
	s_cbranch_execz .LBB6_5566
; %bb.17376:
	s_getpc_b64 s[48:49]
.Lpost_getpc359:
	s_add_u32 s48, s48, (.LBB6_16756-.Lpost_getpc359)&4294967295
	s_addc_u32 s49, s49, (.LBB6_16756-.Lpost_getpc359)>>32
	s_setpc_b64 s[48:49]
.LBB6_5566:                             ;   in Loop: Header=BB6_5563 Depth=4
	ds_load_b64 v[10:11], v0
	s_mov_b32 s43, exec_lo
	s_waitcnt vmcnt(0) lgkmcnt(0)
	s_waitcnt_vscnt null, 0x0
	flat_load_b32 v10, v[10:11] glc
	s_waitcnt vmcnt(0) lgkmcnt(0)
	buffer_gl1_inv
	buffer_gl0_inv
	v_cmpx_ne_u32_e32 0, v10
	s_cbranch_execz .LBB6_5560
; %bb.5567:                             ;   in Loop: Header=BB6_5563 Depth=4
	ds_store_b32 v0, v10
	s_cbranch_execz .LBB6_5568
; %bb.17378:
	s_getpc_b64 s[48:49]
.Lpost_getpc360:
	s_add_u32 s48, s48, (.LBB6_16804-.Lpost_getpc360)&4294967295
	s_addc_u32 s49, s49, (.LBB6_16804-.Lpost_getpc360)>>32
	s_setpc_b64 s[48:49]
.LBB6_5568:                             ;   in Loop: Header=BB6_5563 Depth=4
	v_or_b32_e32 v30, 64, v30
	s_xor_b32 s42, exec_lo, -1
	s_branch .LBB6_5560
.LBB6_5569:                             ;   in Loop: Header=BB6_5557 Depth=3
	s_or_b32 exec_lo, exec_lo, s38
	v_and_b32_e32 v10, 12, v30
.LBB6_5570:                             ;   in Loop: Header=BB6_5557 Depth=3
	s_or_b32 exec_lo, exec_lo, s37
	s_delay_alu instid0(VALU_DEP_1)
	v_cmp_eq_u32_e32 vcc_lo, 0, v10
	;;#ASMSTART
	s_wakeup
	;;#ASMEND
	s_or_not1_b32 s37, vcc_lo, exec_lo
.LBB6_5571:                             ;   in Loop: Header=BB6_5557 Depth=3
	s_or_b32 exec_lo, exec_lo, s30
	v_sub_nc_u32_e32 v2, v179, v180
	s_xor_b32 s13, s13, -1
	s_delay_alu instid0(SALU_CYCLE_1) | instskip(NEXT) | instid1(SALU_CYCLE_1)
	s_and_b32 s13, exec_lo, s13
	s_or_b32 s17, s13, s17
	s_delay_alu instid0(VALU_DEP_1) | instskip(SKIP_1) | instid1(SALU_CYCLE_1)
	v_min_i32_e32 v100, v100, v2
	s_xor_b32 s13, s37, -1
	s_and_saveexec_b32 s30, s13
	s_cbranch_execz .LBB6_5586
; %bb.5572:                             ;   in Loop: Header=BB6_5557 Depth=3
	v_and_b32_e32 v2, 0x108, v30
	s_mov_b32 s13, exec_lo
	s_delay_alu instid0(VALU_DEP_1)
	v_cmpx_ne_u32_e32 0x108, v2
	s_xor_b32 s13, exec_lo, s13
                                        ; implicit-def: $vgpr8_vgpr9
; %bb.5573:                             ;   in Loop: Header=BB6_5557 Depth=3
	v_and_b32_e32 v8, 7, v66
; %bb.5574:                             ;   in Loop: Header=BB6_5557 Depth=3
	s_and_not1_saveexec_b32 s13, s13
	s_cbranch_execz .LBB6_5576
; %bb.5575:                             ;   in Loop: Header=BB6_5557 Depth=3
	v_and_b32_e32 v8, 7, v66
	v_ashrrev_i32_e32 v101, 31, v100
	s_delay_alu instid0(VALU_DEP_2)
	v_mad_u64_u32 v[9:10], null, v8, 24, v[6:7]
	flat_store_b64 v[9:10], v[100:101] offset:8
.LBB6_5576:                             ;   in Loop: Header=BB6_5557 Depth=3
	s_or_b32 exec_lo, exec_lo, s13
	v_and_b32_e32 v2, 0x100, v30
	s_mov_b32 s13, -1
	s_mov_b32 s37, exec_lo
                                        ; implicit-def: $vgpr9_vgpr10
	s_delay_alu instid0(VALU_DEP_1)
	v_cmpx_ne_u32_e32 0, v2
	s_cbranch_execnz .LBB6_5579
; %bb.5577:                             ;   in Loop: Header=BB6_5557 Depth=3
	s_or_b32 exec_lo, exec_lo, s37
	s_and_saveexec_b32 vcc_lo, s13
	s_cbranch_execnz .LBB6_5582
.LBB6_5578:                             ;   in Loop: Header=BB6_5557 Depth=3
	s_or_b32 exec_lo, exec_lo, vcc_lo
	s_cbranch_execz .LBB6_5583
; %bb.17380:
	s_getpc_b64 s[48:49]
.Lpost_getpc361:
	s_add_u32 s48, s48, (.LBB6_16748-.Lpost_getpc361)&4294967295
	s_addc_u32 s49, s49, (.LBB6_16748-.Lpost_getpc361)>>32
	s_setpc_b64 s[48:49]
.LBB6_5579:                             ;   in Loop: Header=BB6_5557 Depth=3
	v_mad_u64_u32 v[11:12], null, v8, 24, v[6:7]
	s_mov_b32 s38, exec_lo
	s_delay_alu instid0(VALU_DEP_1) | instskip(NEXT) | instid1(VALU_DEP_1)
	v_mov_b32_e32 v2, v12
	v_mad_u64_u32 v[9:10], null, v3, 24, v[2:3]
	s_delay_alu instid0(VALU_DEP_1)
	v_mov_b32_e32 v12, v9
                                        ; implicit-def: $vgpr9_vgpr10
	flat_load_b32 v2, v[11:12]
	s_waitcnt vmcnt(0) lgkmcnt(0)
	v_cmp_ne_u32_e32 vcc_lo, 1, v2
	v_cmpx_eq_u32_e32 1, v2
	s_cbranch_execz .LBB6_5581
; %bb.5580:                             ;   in Loop: Header=BB6_5557 Depth=3
	flat_load_b32 v9, v[11:12] offset:4 glc
	s_waitcnt vmcnt(0) lgkmcnt(0)
	v_ashrrev_i32_e32 v10, 31, v9
.LBB6_5581:                             ;   in Loop: Header=BB6_5557 Depth=3
	s_or_b32 exec_lo, exec_lo, s38
	s_delay_alu instid0(SALU_CYCLE_1)
	s_or_not1_b32 s13, vcc_lo, exec_lo
	s_or_b32 exec_lo, exec_lo, s37
	s_and_saveexec_b32 vcc_lo, s13
	s_cbranch_execz .LBB6_5578
.LBB6_5582:                             ;   in Loop: Header=BB6_5557 Depth=3
	v_mul_lo_u32 v2, v3, v118
	v_mul_lo_u32 v11, v8, v128
	v_mad_u64_u32 v[9:10], null, v8, v118, 0
	s_delay_alu instid0(VALU_DEP_1)
	v_add3_u32 v10, v10, v11, v2
	s_or_b32 exec_lo, exec_lo, vcc_lo
	s_cbranch_execz .LBB6_5583
; %bb.17382:
	s_getpc_b64 s[48:49]
.Lpost_getpc362:
	s_add_u32 s48, s48, (.LBB6_16748-.Lpost_getpc362)&4294967295
	s_addc_u32 s49, s49, (.LBB6_16748-.Lpost_getpc362)>>32
	s_setpc_b64 s[48:49]
.LBB6_5583:                             ;   in Loop: Header=BB6_5557 Depth=3
	s_delay_alu instid0(VALU_DEP_2)
	v_add_co_u32 v8, vcc_lo, v68, v9
	v_and_b32_e32 v2, 0x2000, v30
	v_add_co_ci_u32_e32 v9, vcc_lo, v69, v10, vcc_lo
	s_mov_b32 s13, exec_lo
	ds_store_b64 v0, v[8:9]
	v_cmpx_ne_u32_e32 0, v2
	s_cbranch_execz .LBB6_5585
; %bb.5584:                             ;   in Loop: Header=BB6_5557 Depth=3
	ds_load_b64 v[8:9], v0 offset:584
	s_waitcnt lgkmcnt(0)
	v_add_co_u32 v8, vcc_lo, v8, 1
	v_add_co_ci_u32_e32 v9, vcc_lo, 0, v9, vcc_lo
	ds_store_b64 v0, v[8:9] offset:584
.LBB6_5585:                             ;   in Loop: Header=BB6_5557 Depth=3
	s_or_b32 exec_lo, exec_lo, s13
	v_add_co_u32 v66, vcc_lo, v66, 2
	v_add_co_ci_u32_e32 v67, vcc_lo, 0, v67, vcc_lo
.LBB6_5586:                             ;   in Loop: Header=BB6_5557 Depth=3
	s_or_b32 exec_lo, exec_lo, s30
	s_and_saveexec_b32 s13, s3
	s_cbranch_execz .LBB6_5608
; %bb.5587:                             ;   in Loop: Header=BB6_5557 Depth=3
	s_and_saveexec_b32 vcc_lo, s4
	s_delay_alu instid0(SALU_CYCLE_1)
	s_xor_b32 s30, exec_lo, vcc_lo
	s_cbranch_execz .LBB6_5605
; %bb.5588:                             ;   in Loop: Header=BB6_5557 Depth=3
	s_and_saveexec_b32 s37, s1
	s_cbranch_execz .LBB6_5604
; %bb.5589:                             ;   in Loop: Header=BB6_5557 Depth=3
	s_mov_b32 s39, exec_lo
	s_mov_b32 s38, exec_lo
	v_mbcnt_lo_u32_b32 v2, s39, 0
	s_waitcnt vmcnt(0) lgkmcnt(0)
	s_waitcnt_vscnt null, 0x0
	buffer_gl1_inv
	buffer_gl0_inv
	v_cmpx_eq_u32_e32 0, v2
	s_cbranch_execz .LBB6_5591
; %bb.5590:                             ;   in Loop: Header=BB6_5557 Depth=3
	s_bcnt1_i32_b32 vcc_lo, s39
	s_delay_alu instid0(SALU_CYCLE_1)
	v_mov_b32_e32 v2, vcc_lo
	ds_add_u64 v0, v[2:3]
	s_cbranch_execz .LBB6_5591
; %bb.17384:
	s_getpc_b64 s[48:49]
.Lpost_getpc363:
	s_add_u32 s48, s48, (.LBB6_16860-.Lpost_getpc363)&4294967295
	s_addc_u32 s49, s49, (.LBB6_16860-.Lpost_getpc363)>>32
	s_setpc_b64 s[48:49]
.LBB6_5591:                             ;   in Loop: Header=BB6_5557 Depth=3
	s_or_b32 exec_lo, exec_lo, s38
	s_cbranch_execz .LBB6_5592
; %bb.17386:
	s_getpc_b64 s[48:49]
.Lpost_getpc364:
	s_add_u32 s48, s48, (.LBB6_16826-.Lpost_getpc364)&4294967295
	s_addc_u32 s49, s49, (.LBB6_16826-.Lpost_getpc364)>>32
	s_setpc_b64 s[48:49]
.LBB6_5592:                             ;   in Loop: Header=BB6_5557 Depth=3
	ds_load_b64 v[8:9], v0
	v_add_co_u32 v80, vcc_lo, v80, v129
	v_add_co_ci_u32_e32 v81, vcc_lo, 0, v81, vcc_lo
	s_mov_b32 s38, exec_lo
	s_waitcnt lgkmcnt(0)
	s_delay_alu instid0(VALU_DEP_1)
	v_cmpx_lt_u64_e64 v[8:9], v[80:81]
	s_cbranch_execz .LBB6_5603
; %bb.5593:                             ;   in Loop: Header=BB6_5557 Depth=3
	s_mov_b32 s39, 0
	s_mov_b32 s42, 0
                                        ; implicit-def: $sgpr40
                                        ; implicit-def: $sgpr41
	s_branch .LBB6_5595
.LBB6_5594:                             ;   in Loop: Header=BB6_5595 Depth=4
	s_or_b32 exec_lo, exec_lo, s44
	s_delay_alu instid0(SALU_CYCLE_1) | instskip(NEXT) | instid1(SALU_CYCLE_1)
	s_and_b32 vcc_lo, exec_lo, vcc_lo
	s_or_b32 s39, vcc_lo, s39
	s_and_not1_b32 vcc_lo, s40, exec_lo
	s_and_b32 s40, s41, exec_lo
	s_delay_alu instid0(SALU_CYCLE_1)
	s_or_b32 s40, vcc_lo, s40
	s_and_not1_b32 exec_lo, exec_lo, s39
	s_cbranch_execz .LBB6_5601
.LBB6_5595:                             ;   Parent Loop BB6_51 Depth=1
                                        ;     Parent Loop BB6_303 Depth=2
                                        ;       Parent Loop BB6_5557 Depth=3
                                        ; =>      This Inner Loop Header: Depth=4
	s_add_i32 s42, s42, 1
                                        ; implicit-def: $sgpr44
	s_delay_alu instid0(SALU_CYCLE_1) | instskip(SKIP_1) | instid1(SALU_CYCLE_1)
	s_cmpk_lg_i32 s42, 0x2710
	s_cselect_b32 s43, -1, 0
	s_and_b32 vcc_lo, exec_lo, s43
	s_cbranch_vccz .LBB6_5599
.LBB6_5596:                             ;   in Loop: Header=BB6_5595 Depth=4
	s_and_not1_b32 s41, s41, exec_lo
	s_and_b32 s44, s44, exec_lo
	s_mov_b32 vcc_lo, -1
	s_or_b32 s41, s41, s44
	s_and_saveexec_b32 s44, s43
	s_cbranch_execz .LBB6_5594
; %bb.5597:                             ;   in Loop: Header=BB6_5595 Depth=4
	s_sleep 1
	s_cbranch_execz .LBB6_5598
; %bb.17388:
	s_getpc_b64 s[48:49]
.Lpost_getpc365:
	s_add_u32 s48, s48, (.LBB6_16908-.Lpost_getpc365)&4294967295
	s_addc_u32 s49, s49, (.LBB6_16908-.Lpost_getpc365)>>32
	s_setpc_b64 s[48:49]
.LBB6_5598:                             ;   in Loop: Header=BB6_5595 Depth=4
	ds_load_b64 v[8:9], v0
	s_and_not1_b32 s41, s41, exec_lo
	s_waitcnt lgkmcnt(0)
	v_cmp_ge_u64_e32 vcc_lo, v[8:9], v[80:81]
	s_or_not1_b32 vcc_lo, vcc_lo, exec_lo
	s_branch .LBB6_5594
.LBB6_5599:                             ;   in Loop: Header=BB6_5595 Depth=4
	s_cbranch_execz .LBB6_5600
; %bb.17390:
	s_getpc_b64 s[48:49]
.Lpost_getpc366:
	s_add_u32 s48, s48, (.LBB6_16916-.Lpost_getpc366)&4294967295
	s_addc_u32 s49, s49, (.LBB6_16916-.Lpost_getpc366)>>32
	s_setpc_b64 s[48:49]
.LBB6_5600:                             ;   in Loop: Header=BB6_5595 Depth=4
	ds_load_b64 v[8:9], v0
	s_and_not1_b32 s43, s43, exec_lo
	s_mov_b32 s42, 0
	s_mov_b32 s44, -1
	s_waitcnt lgkmcnt(0)
	flat_load_b32 v2, v[8:9] glc
	s_waitcnt vmcnt(0) lgkmcnt(0)
	buffer_gl1_inv
	buffer_gl0_inv
	v_cmp_eq_u32_e32 vcc_lo, 0, v2
	s_and_b32 vcc_lo, vcc_lo, exec_lo
	s_delay_alu instid0(SALU_CYCLE_1)
	s_or_b32 s43, s43, vcc_lo
	s_branch .LBB6_5596
.LBB6_5601:                             ;   in Loop: Header=BB6_5557 Depth=3
	s_or_b32 exec_lo, exec_lo, s39
	s_and_saveexec_b32 vcc_lo, s40
	s_delay_alu instid0(SALU_CYCLE_1)
	s_xor_b32 vcc_lo, exec_lo, vcc_lo
	s_cbranch_execz .LBB6_5603
; %bb.5602:                             ;   in Loop: Header=BB6_5557 Depth=3
	ds_store_b32 v0, v176
	s_cbranch_execz .LBB6_5603
; %bb.17392:
	s_getpc_b64 s[48:49]
.Lpost_getpc367:
	s_add_u32 s48, s48, (.LBB6_17118-.Lpost_getpc367)&4294967295
	s_addc_u32 s49, s49, (.LBB6_17118-.Lpost_getpc367)>>32
	s_setpc_b64 s[48:49]
.LBB6_5603:                             ;   in Loop: Header=BB6_5557 Depth=3
	s_or_b32 exec_lo, exec_lo, s38
	;;#ASMSTART
	s_wakeup
	;;#ASMEND
.LBB6_5604:                             ;   in Loop: Header=BB6_5557 Depth=3
	s_or_b32 exec_lo, exec_lo, s37
.LBB6_5605:                             ;   in Loop: Header=BB6_5557 Depth=3
	s_and_not1_saveexec_b32 vcc_lo, s30
	s_cbranch_execz .LBB6_5607
; %bb.5606:                             ;   in Loop: Header=BB6_5557 Depth=3
	s_waitcnt vmcnt(0) lgkmcnt(0)
	s_waitcnt_vscnt null, 0x0
	buffer_gl1_inv
	buffer_gl0_inv
	s_barrier
.LBB6_5607:                             ;   in Loop: Header=BB6_5557 Depth=3
	s_or_b32 exec_lo, exec_lo, vcc_lo
.LBB6_5608:                             ;   in Loop: Header=BB6_5557 Depth=3
	s_delay_alu instid0(SALU_CYCLE_1) | instskip(SKIP_1) | instid1(SALU_CYCLE_1)
	s_or_b32 exec_lo, exec_lo, s13
                                        ; implicit-def: $vgpr2
	s_and_saveexec_b32 s13, vcc_hi
	s_xor_b32 s13, exec_lo, s13
	s_cbranch_execz .LBB6_5630
; %bb.5609:                             ;   in Loop: Header=BB6_5557 Depth=3
	s_and_saveexec_b32 vcc_lo, s4
	s_delay_alu instid0(SALU_CYCLE_1)
	s_xor_b32 s30, exec_lo, vcc_lo
	s_cbranch_execz .LBB6_5627
; %bb.5610:                             ;   in Loop: Header=BB6_5557 Depth=3
	s_and_saveexec_b32 s37, s1
	s_cbranch_execz .LBB6_5626
; %bb.5611:                             ;   in Loop: Header=BB6_5557 Depth=3
	s_mov_b32 s39, exec_lo
	s_mov_b32 s38, exec_lo
	v_mbcnt_lo_u32_b32 v2, s39, 0
	;;#ASMSTART
	s_waitcnt lgkmcnt(0) vmcnt(0)
	;;#ASMEND
	s_delay_alu instid0(VALU_DEP_1)
	v_cmpx_eq_u32_e32 0, v2
	s_cbranch_execz .LBB6_5613
; %bb.5612:                             ;   in Loop: Header=BB6_5557 Depth=3
	s_bcnt1_i32_b32 vcc_lo, s39
	s_delay_alu instid0(SALU_CYCLE_1)
	v_mov_b32_e32 v2, vcc_lo
	ds_add_u64 v0, v[2:3]
	s_cbranch_execz .LBB6_5613
; %bb.17394:
	s_getpc_b64 s[48:49]
.Lpost_getpc368:
	s_add_u32 s48, s48, (.LBB6_16870-.Lpost_getpc368)&4294967295
	s_addc_u32 s49, s49, (.LBB6_16870-.Lpost_getpc368)>>32
	s_setpc_b64 s[48:49]
.LBB6_5613:                             ;   in Loop: Header=BB6_5557 Depth=3
	s_or_b32 exec_lo, exec_lo, s38
	s_cbranch_execz .LBB6_5614
; %bb.17396:
	s_getpc_b64 s[48:49]
.Lpost_getpc369:
	s_add_u32 s48, s48, (.LBB6_16836-.Lpost_getpc369)&4294967295
	s_addc_u32 s49, s49, (.LBB6_16836-.Lpost_getpc369)>>32
	s_setpc_b64 s[48:49]
.LBB6_5614:                             ;   in Loop: Header=BB6_5557 Depth=3
	ds_load_b64 v[8:9], v0
	v_add_co_u32 v80, vcc_lo, v80, v129
	v_add_co_ci_u32_e32 v81, vcc_lo, 0, v81, vcc_lo
	s_mov_b32 s38, exec_lo
	s_waitcnt lgkmcnt(0)
	s_delay_alu instid0(VALU_DEP_1)
	v_cmpx_lt_u64_e64 v[8:9], v[80:81]
	s_cbranch_execz .LBB6_5625
; %bb.5615:                             ;   in Loop: Header=BB6_5557 Depth=3
	s_mov_b32 s39, 0
	s_mov_b32 s42, 0
                                        ; implicit-def: $sgpr40
                                        ; implicit-def: $sgpr41
	s_branch .LBB6_5617
.LBB6_5616:                             ;   in Loop: Header=BB6_5617 Depth=4
	s_or_b32 exec_lo, exec_lo, s44
	s_delay_alu instid0(SALU_CYCLE_1) | instskip(NEXT) | instid1(SALU_CYCLE_1)
	s_and_b32 vcc_lo, exec_lo, vcc_lo
	s_or_b32 s39, vcc_lo, s39
	s_and_not1_b32 vcc_lo, s40, exec_lo
	s_and_b32 s40, s41, exec_lo
	s_delay_alu instid0(SALU_CYCLE_1)
	s_or_b32 s40, vcc_lo, s40
	s_and_not1_b32 exec_lo, exec_lo, s39
	s_cbranch_execz .LBB6_5623
.LBB6_5617:                             ;   Parent Loop BB6_51 Depth=1
                                        ;     Parent Loop BB6_303 Depth=2
                                        ;       Parent Loop BB6_5557 Depth=3
                                        ; =>      This Inner Loop Header: Depth=4
	s_add_i32 s42, s42, 1
                                        ; implicit-def: $sgpr44
	s_delay_alu instid0(SALU_CYCLE_1) | instskip(SKIP_1) | instid1(SALU_CYCLE_1)
	s_cmpk_lg_i32 s42, 0x2710
	s_cselect_b32 s43, -1, 0
	s_and_b32 vcc_lo, exec_lo, s43
	s_cbranch_vccz .LBB6_5621
.LBB6_5618:                             ;   in Loop: Header=BB6_5617 Depth=4
	s_and_not1_b32 s41, s41, exec_lo
	s_and_b32 s44, s44, exec_lo
	s_mov_b32 vcc_lo, -1
	s_or_b32 s41, s41, s44
	s_and_saveexec_b32 s44, s43
	s_cbranch_execz .LBB6_5616
; %bb.5619:                             ;   in Loop: Header=BB6_5617 Depth=4
	s_sleep 1
	s_cbranch_execz .LBB6_5620
; %bb.17398:
	s_getpc_b64 s[48:49]
.Lpost_getpc370:
	s_add_u32 s48, s48, (.LBB6_16910-.Lpost_getpc370)&4294967295
	s_addc_u32 s49, s49, (.LBB6_16910-.Lpost_getpc370)>>32
	s_setpc_b64 s[48:49]
.LBB6_5620:                             ;   in Loop: Header=BB6_5617 Depth=4
	ds_load_b64 v[8:9], v0
	s_and_not1_b32 s41, s41, exec_lo
	s_waitcnt lgkmcnt(0)
	v_cmp_ge_u64_e32 vcc_lo, v[8:9], v[80:81]
	s_or_not1_b32 vcc_lo, vcc_lo, exec_lo
	s_branch .LBB6_5616
.LBB6_5621:                             ;   in Loop: Header=BB6_5617 Depth=4
	s_cbranch_execz .LBB6_5622
; %bb.17400:
	s_getpc_b64 s[48:49]
.Lpost_getpc371:
	s_add_u32 s48, s48, (.LBB6_16926-.Lpost_getpc371)&4294967295
	s_addc_u32 s49, s49, (.LBB6_16926-.Lpost_getpc371)>>32
	s_setpc_b64 s[48:49]
.LBB6_5622:                             ;   in Loop: Header=BB6_5617 Depth=4
	ds_load_b64 v[8:9], v0
	s_and_not1_b32 s43, s43, exec_lo
	s_mov_b32 s42, 0
	s_mov_b32 s44, -1
	s_waitcnt vmcnt(0) lgkmcnt(0)
	s_waitcnt_vscnt null, 0x0
	flat_load_b32 v2, v[8:9] glc
	s_waitcnt vmcnt(0) lgkmcnt(0)
	buffer_gl1_inv
	buffer_gl0_inv
	v_cmp_eq_u32_e32 vcc_lo, 0, v2
	s_and_b32 vcc_lo, vcc_lo, exec_lo
	s_delay_alu instid0(SALU_CYCLE_1)
	s_or_b32 s43, s43, vcc_lo
	s_branch .LBB6_5618
.LBB6_5623:                             ;   in Loop: Header=BB6_5557 Depth=3
	s_or_b32 exec_lo, exec_lo, s39
	s_and_saveexec_b32 vcc_lo, s40
	s_delay_alu instid0(SALU_CYCLE_1)
	s_xor_b32 vcc_lo, exec_lo, vcc_lo
	s_cbranch_execz .LBB6_5625
; %bb.5624:                             ;   in Loop: Header=BB6_5557 Depth=3
	ds_store_b32 v0, v176
	s_cbranch_execz .LBB6_5625
; %bb.17402:
	s_getpc_b64 s[48:49]
.Lpost_getpc372:
	s_add_u32 s48, s48, (.LBB6_17122-.Lpost_getpc372)&4294967295
	s_addc_u32 s49, s49, (.LBB6_17122-.Lpost_getpc372)>>32
	s_setpc_b64 s[48:49]
.LBB6_5625:                             ;   in Loop: Header=BB6_5557 Depth=3
	s_or_b32 exec_lo, exec_lo, s38
	;;#ASMSTART
	s_wakeup
	;;#ASMEND
.LBB6_5626:                             ;   in Loop: Header=BB6_5557 Depth=3
	s_or_b32 exec_lo, exec_lo, s37
.LBB6_5627:                             ;   in Loop: Header=BB6_5557 Depth=3
	s_and_not1_saveexec_b32 vcc_lo, s30
	s_cbranch_execz .LBB6_5629
; %bb.5628:                             ;   in Loop: Header=BB6_5557 Depth=3
	;;#ASMSTART
	s_waitcnt lgkmcnt(0) vmcnt(0)
	;;#ASMEND
	s_waitcnt vmcnt(0) lgkmcnt(0)
	s_waitcnt_vscnt null, 0x0
	s_barrier
.LBB6_5629:                             ;   in Loop: Header=BB6_5557 Depth=3
	s_or_b32 exec_lo, exec_lo, vcc_lo
	v_and_b32_e32 v2, 16, v30
.LBB6_5630:                             ;   in Loop: Header=BB6_5557 Depth=3
	s_and_not1_saveexec_b32 s30, s13
	s_cbranch_execz .LBB6_5635
; %bb.5631:                             ;   in Loop: Header=BB6_5557 Depth=3
	s_cbranch_execz .LBB6_5632
; %bb.17404:
	s_getpc_b64 s[48:49]
.Lpost_getpc373:
	s_add_u32 s48, s48, (.LBB6_16770-.Lpost_getpc373)&4294967295
	s_addc_u32 s49, s49, (.LBB6_16770-.Lpost_getpc373)>>32
	s_setpc_b64 s[48:49]
.LBB6_5632:                             ;   in Loop: Header=BB6_5557 Depth=3
	ds_load_b32 v2, v0
	v_cmp_lt_i32_e32 vcc_lo, 0, v100
	s_waitcnt lgkmcnt(0)
	v_readfirstlane_b32 s13, v2
	v_and_b32_e32 v2, 16, v30
	s_delay_alu instid0(VALU_DEP_2) | instskip(NEXT) | instid1(VALU_DEP_1)
	s_cmp_eq_u32 s13, 0
	v_cmp_ne_u32_e64 s13, 0, v2
	s_cselect_b32 s37, -1, 0
	v_and_b32_e32 v2, 16, v30
	s_and_b32 vcc_lo, vcc_lo, s37
	s_delay_alu instid0(VALU_DEP_2) | instid1(SALU_CYCLE_1)
	s_and_b32 vcc_lo, s13, vcc_lo
	s_delay_alu instid0(SALU_CYCLE_1)
	s_and_saveexec_b32 s13, vcc_lo
	s_cbranch_execz .LBB6_5634
; %bb.5633:                             ;   in Loop: Header=BB6_5557 Depth=3
	v_mov_b32_e32 v2, 1
	s_waitcnt vmcnt(0)
	s_waitcnt_vscnt null, 0x0
	buffer_gl1_inv
	buffer_gl0_inv
.LBB6_5634:                             ;   in Loop: Header=BB6_5557 Depth=3
	s_or_b32 exec_lo, exec_lo, s13
.LBB6_5635:                             ;   in Loop: Header=BB6_5557 Depth=3
	s_delay_alu instid0(SALU_CYCLE_1) | instskip(NEXT) | instid1(VALU_DEP_1)
	s_or_b32 exec_lo, exec_lo, s30
	v_cmp_ne_u32_e32 vcc_lo, 0, v2
	s_xor_b32 s13, s10, -1
	s_delay_alu instid0(SALU_CYCLE_1) | instskip(NEXT) | instid1(SALU_CYCLE_1)
	s_and_b32 vcc_lo, vcc_lo, s13
	s_and_saveexec_b32 s13, vcc_lo
	s_cbranch_execz .LBB6_5637
; %bb.5636:                             ;   in Loop: Header=BB6_5557 Depth=3
	s_waitcnt vmcnt(0) lgkmcnt(0)
	s_waitcnt_vscnt null, 0x0
	flat_store_b32 v[70:71], v176
.LBB6_5637:                             ;   in Loop: Header=BB6_5557 Depth=3
	s_or_b32 exec_lo, exec_lo, s13
	v_and_b32_e32 v2, 48, v30
	s_mov_b32 s13, exec_lo
	s_delay_alu instid0(VALU_DEP_1)
	v_cmpx_ne_u32_e32 0, v2
	s_cbranch_execz .LBB6_5639
; %bb.5638:                             ;   in Loop: Header=BB6_5557 Depth=3
	v_add_co_u32 v66, vcc_lo, v66, 2
	v_add_co_ci_u32_e32 v67, vcc_lo, 0, v67, vcc_lo
	s_waitcnt vmcnt(0) lgkmcnt(0)
	s_waitcnt_vscnt null, 0x0
	flat_store_b64 v[64:65], v[66:67]
.LBB6_5639:                             ;   in Loop: Header=BB6_5557 Depth=3
	s_or_b32 exec_lo, exec_lo, s13
	v_add_nc_u32_e32 v180, v100, v180
	s_mov_b32 s13, 0
	s_and_not1_b32 exec_lo, exec_lo, s17
	s_cbranch_execnz .LBB6_5557
; %bb.5640:                             ;   in Loop: Header=BB6_303 Depth=2
	s_or_b32 exec_lo, exec_lo, s17
.LBB6_5641:                             ;   in Loop: Header=BB6_303 Depth=2
	s_delay_alu instid0(SALU_CYCLE_1) | instskip(SKIP_1) | instid1(SALU_CYCLE_1)
	s_or_b32 exec_lo, exec_lo, s16
	s_add_i32 s15, s15, 1
	s_cmp_eq_u32 s15, s19
	s_cbranch_scc1 .LBB6_5642
; %bb.17406:                            ;   in Loop: Header=BB6_303 Depth=2
	s_getpc_b64 s[48:49]
.Lpost_getpc374:
	s_add_u32 s48, s48, (.LBB6_303-.Lpost_getpc374)&4294967295
	s_addc_u32 s49, s49, (.LBB6_303-.Lpost_getpc374)>>32
	s_setpc_b64 s[48:49]
.LBB6_5642:                             ;   in Loop: Header=BB6_51 Depth=1
	v_mul_lo_u32 v2, v97, s19
	v_mul_lo_u32 v10, v96, s21
	v_mad_u64_u32 v[8:9], null, v96, s19, 0
	s_mov_b32 s37, 0
	v_mov_b32_e32 v179, 0
	s_delay_alu instid0(VALU_DEP_2) | instskip(NEXT) | instid1(VALU_DEP_3)
	v_add3_u32 v9, v9, v10, v2
	v_sub_co_u32 v10, vcc_lo, v98, v8
	s_delay_alu instid0(VALU_DEP_2) | instskip(NEXT) | instid1(VALU_DEP_1)
	v_sub_co_ci_u32_e32 v11, vcc_lo, v99, v9, vcc_lo
	v_cmp_lt_i64_e32 vcc_lo, v[96:97], v[10:11]
	v_cndmask_b32_e32 v10, v10, v96, vcc_lo
	s_delay_alu instid0(VALU_DEP_1) | instskip(NEXT) | instid1(VALU_DEP_1)
	v_max_i32_e32 v103, 0, v10
	v_add_nc_u32_e32 v2, 31, v103
	s_delay_alu instid0(VALU_DEP_1) | instskip(NEXT) | instid1(VALU_DEP_1)
	v_lshrrev_b32_e32 v2, 1, v2
	v_and_b32_e32 v11, 0x3ffffff0, v2
	v_cmp_lt_i32_e32 vcc_lo, 0, v10
	v_mov_b32_e32 v2, 0
	s_delay_alu instid0(VALU_DEP_3) | instskip(SKIP_1) | instid1(SALU_CYCLE_1)
	v_max_i32_e32 v100, s28, v11
	s_and_b32 s15, s14, vcc_lo
	s_and_saveexec_b32 s13, s15
	s_cbranch_execnz .LBB6_5643
; %bb.17408:                            ;   in Loop: Header=BB6_51 Depth=1
	s_getpc_b64 s[48:49]
.Lpost_getpc375:
	s_add_u32 s48, s48, (.LBB6_16019-.Lpost_getpc375)&4294967295
	s_addc_u32 s49, s49, (.LBB6_16019-.Lpost_getpc375)>>32
	s_setpc_b64 s[48:49]
.LBB6_5643:                             ;   in Loop: Header=BB6_51 Depth=1
	v_add_co_u32 v180, vcc_lo, v8, v177
	v_add_co_ci_u32_e32 v181, vcc_lo, v9, v178, vcc_lo
	v_mov_b32_e32 v179, 0
	s_mov_b32 s17, 1
	s_mov_b32 s16, -1
	v_writelane_b32 v122, s13, 0
.LBB6_5644:                             ;   Parent Loop BB6_51 Depth=1
                                        ; =>  This Loop Header: Depth=2
                                        ;       Child Loop BB6_5653 Depth 3
                                        ;       Child Loop BB6_5683 Depth 3
                                        ;       Child Loop BB6_5706 Depth 3
                                        ;       Child Loop BB6_5734 Depth 3
                                        ;       Child Loop BB6_8618 Depth 3
                                        ;         Child Loop BB6_9083 Depth 4
                                        ;       Child Loop BB6_9353 Depth 3
                                        ;       Child Loop BB6_10796 Depth 3
                                        ;         Child Loop BB6_10826 Depth 4
                                        ;       Child Loop BB6_10858 Depth 3
                                        ;       Child Loop BB6_13744 Depth 3
	;; [unrolled: 1-line block ×6, first 2 shown]
	s_and_saveexec_b32 s15, s0
	s_cbranch_execz .LBB6_5647
; %bb.5645:                             ;   in Loop: Header=BB6_5644 Depth=2
	s_cbranch_execz .LBB6_5646
; %bb.17410:
	s_getpc_b64 s[48:49]
.Lpost_getpc376:
	s_add_u32 s48, s48, (.LBB6_16738-.Lpost_getpc376)&4294967295
	s_addc_u32 s49, s49, (.LBB6_16738-.Lpost_getpc376)>>32
	s_setpc_b64 s[48:49]
.LBB6_5646:                             ;   in Loop: Header=BB6_5644 Depth=2
	ds_load_2addr_b64 v[8:11], v0 offset1:1
	ds_load_b64 v[12:13], v0
	v_ashrrev_i32_e32 v2, 31, v179
	s_waitcnt lgkmcnt(1)
	v_add_co_u32 v8, vcc_lo, v8, v180
	v_add_co_ci_u32_e32 v9, vcc_lo, v9, v181, vcc_lo
	v_add_co_u32 v10, vcc_lo, v10, v180
	v_add_co_ci_u32_e32 v11, vcc_lo, v11, v181, vcc_lo
	s_waitcnt lgkmcnt(0)
	v_add_co_u32 v14, vcc_lo, v12, v180
	v_add_co_ci_u32_e32 v15, vcc_lo, v13, v181, vcc_lo
	v_add_co_u32 v8, vcc_lo, v8, v179
	v_add_co_ci_u32_e32 v9, vcc_lo, v9, v2, vcc_lo
	s_delay_alu instid0(VALU_DEP_4) | instskip(NEXT) | instid1(VALU_DEP_4)
	v_add_co_u32 v14, vcc_lo, v14, v179
	v_add_co_ci_u32_e32 v15, vcc_lo, v15, v2, vcc_lo
	v_cmp_ne_u64_e32 vcc_lo, 0, v[12:13]
	v_add_co_u32 v10, s13, v10, v179
	s_delay_alu instid0(VALU_DEP_1) | instskip(NEXT) | instid1(VALU_DEP_4)
	v_add_co_ci_u32_e64 v11, s13, v11, v2, s13
	v_dual_cndmask_b32 v13, 0, v15 :: v_dual_cndmask_b32 v12, 0, v14
	ds_store_b64 v0, v[8:9]
	ds_store_b64 v0, v[10:11]
	;; [unrolled: 1-line block ×3, first 2 shown]
.LBB6_5647:                             ;   in Loop: Header=BB6_5644 Depth=2
	s_or_b32 exec_lo, exec_lo, s15
	v_and_b32_e32 v2, 12, v30
	s_mov_b32 s30, -1
	s_mov_b32 s13, exec_lo
	s_delay_alu instid0(VALU_DEP_1)
	v_cmpx_ne_u32_e32 0, v2
	s_cbranch_execz .LBB6_5661
; %bb.5648:                             ;   in Loop: Header=BB6_5644 Depth=2
	v_and_b32_e32 v2, 8, v30
	s_mov_b32 s15, s17
	s_mov_b32 s17, s37
	s_delay_alu instid0(VALU_DEP_1) | instskip(SKIP_3) | instid1(VALU_DEP_1)
	v_add_co_u32 v10, vcc_lo, v82, v2
	v_add_co_ci_u32_e32 v11, vcc_lo, 0, v83, vcc_lo
	v_add_co_u32 v8, vcc_lo, v66, 2
	v_add_co_ci_u32_e32 v9, vcc_lo, 0, v67, vcc_lo
	v_cmp_lt_u64_e32 vcc_lo, v[10:11], v[8:9]
	v_mov_b32_e32 v10, 1
	s_and_saveexec_b32 s30, vcc_lo
	s_cbranch_execz .LBB6_5660
; %bb.5649:                             ;   in Loop: Header=BB6_5644 Depth=2
	v_mov_b32_e32 v10, 0
	s_mov_b32 s37, 0
                                        ; implicit-def: $sgpr38
	s_branch .LBB6_5653
.LBB6_5650:                             ;   in Loop: Header=BB6_5653 Depth=3
	s_or_b32 exec_lo, exec_lo, s42
	v_mov_b32_e32 v11, 0
	s_or_not1_b32 s41, s41, exec_lo
.LBB6_5651:                             ;   in Loop: Header=BB6_5653 Depth=3
	s_or_b32 exec_lo, exec_lo, s40
	s_delay_alu instid0(VALU_DEP_1) | instskip(SKIP_2) | instid1(SALU_CYCLE_1)
	v_mov_b32_e32 v10, v11
	s_and_not1_b32 vcc_lo, s38, exec_lo
	s_and_b32 s38, s41, exec_lo
	s_or_b32 s38, vcc_lo, s38
.LBB6_5652:                             ;   in Loop: Header=BB6_5653 Depth=3
	s_or_b32 exec_lo, exec_lo, s39
	s_waitcnt vmcnt(0) lgkmcnt(0)
	v_add_co_u32 v11, vcc_lo, v82, v2
	v_add_co_ci_u32_e32 v12, vcc_lo, 0, v83, vcc_lo
	s_xor_b32 s39, s38, -1
	s_delay_alu instid0(VALU_DEP_1) | instskip(SKIP_1) | instid1(SALU_CYCLE_1)
	v_cmp_ge_u64_e32 vcc_lo, v[11:12], v[8:9]
	s_or_b32 vcc_lo, s39, vcc_lo
	s_and_b32 vcc_lo, exec_lo, vcc_lo
	s_delay_alu instid0(SALU_CYCLE_1) | instskip(NEXT) | instid1(SALU_CYCLE_1)
	s_or_b32 s37, vcc_lo, s37
	s_and_not1_b32 exec_lo, exec_lo, s37
	s_cbranch_execz .LBB6_5659
.LBB6_5653:                             ;   Parent Loop BB6_51 Depth=1
                                        ;     Parent Loop BB6_5644 Depth=2
                                        ; =>    This Inner Loop Header: Depth=3
	s_sleep 1
	flat_load_b64 v[82:83], v[64:65] glc
	v_and_b32_e32 v11, 64, v30
	s_and_not1_b32 s38, s38, exec_lo
	s_mov_b32 s39, exec_lo
	s_delay_alu instid0(VALU_DEP_1)
	v_cmpx_eq_u32_e32 0, v11
	s_cbranch_execz .LBB6_5652
; %bb.5654:                             ;   in Loop: Header=BB6_5653 Depth=3
	v_add_nc_u32_e32 v11, 1, v10
	s_mov_b32 s41, -1
	s_mov_b32 s40, exec_lo
	v_cmpx_lt_i32_e32 0x270e, v10
	s_cbranch_execz .LBB6_5651
; %bb.5655:                             ;   in Loop: Header=BB6_5653 Depth=3
	s_cbranch_execz .LBB6_5656
; %bb.17412:
	s_getpc_b64 s[48:49]
.Lpost_getpc377:
	s_add_u32 s48, s48, (.LBB6_16764-.Lpost_getpc377)&4294967295
	s_addc_u32 s49, s49, (.LBB6_16764-.Lpost_getpc377)>>32
	s_setpc_b64 s[48:49]
.LBB6_5656:                             ;   in Loop: Header=BB6_5653 Depth=3
	ds_load_b64 v[10:11], v0
	s_mov_b32 s42, exec_lo
	s_waitcnt vmcnt(0) lgkmcnt(0)
	s_waitcnt_vscnt null, 0x0
	flat_load_b32 v10, v[10:11] glc
	s_waitcnt vmcnt(0) lgkmcnt(0)
	buffer_gl1_inv
	buffer_gl0_inv
	v_cmpx_ne_u32_e32 0, v10
	s_cbranch_execz .LBB6_5650
; %bb.5657:                             ;   in Loop: Header=BB6_5653 Depth=3
	ds_store_b32 v0, v10
	s_cbranch_execz .LBB6_5658
; %bb.17414:
	s_getpc_b64 s[48:49]
.Lpost_getpc378:
	s_add_u32 s48, s48, (.LBB6_16818-.Lpost_getpc378)&4294967295
	s_addc_u32 s49, s49, (.LBB6_16818-.Lpost_getpc378)>>32
	s_setpc_b64 s[48:49]
.LBB6_5658:                             ;   in Loop: Header=BB6_5653 Depth=3
	v_or_b32_e32 v30, 64, v30
	s_xor_b32 s41, exec_lo, -1
	s_branch .LBB6_5650
.LBB6_5659:                             ;   in Loop: Header=BB6_5644 Depth=2
	s_or_b32 exec_lo, exec_lo, s37
	v_and_b32_e32 v10, 12, v30
.LBB6_5660:                             ;   in Loop: Header=BB6_5644 Depth=2
	s_or_b32 exec_lo, exec_lo, s30
	s_delay_alu instid0(VALU_DEP_1)
	v_cmp_eq_u32_e32 vcc_lo, 0, v10
	s_mov_b32 s37, s17
	s_mov_b32 s17, s15
	;;#ASMSTART
	s_wakeup
	;;#ASMEND
	s_or_not1_b32 s30, vcc_lo, exec_lo
.LBB6_5661:                             ;   in Loop: Header=BB6_5644 Depth=2
	s_or_b32 exec_lo, exec_lo, s13
	v_sub_nc_u32_e32 v2, v103, v179
	s_xor_b32 s13, s30, -1
	s_delay_alu instid0(VALU_DEP_1)
	v_min_i32_e32 v100, v100, v2
	s_and_saveexec_b32 s15, s13
	s_cbranch_execz .LBB6_5674
; %bb.5662:                             ;   in Loop: Header=BB6_5644 Depth=2
	v_and_b32_e32 v2, 0x108, v30
	s_mov_b32 s30, s16
	s_mov_b32 s16, s37
	s_delay_alu instid0(VALU_DEP_1) | instskip(SKIP_2) | instid1(SALU_CYCLE_1)
	v_cmp_ne_u32_e32 vcc_lo, 0x108, v2
	v_and_b32_e32 v2, 7, v66
	s_and_saveexec_b32 s13, vcc_lo
	s_xor_b32 s13, exec_lo, s13
	s_delay_alu instid0(SALU_CYCLE_1)
	s_and_not1_saveexec_b32 s13, s13
	s_cbranch_execz .LBB6_5664
; %bb.5663:                             ;   in Loop: Header=BB6_5644 Depth=2
	v_mad_u64_u32 v[8:9], null, v2, 24, v[6:7]
	v_ashrrev_i32_e32 v101, 31, v100
	flat_store_b64 v[8:9], v[100:101] offset:8
.LBB6_5664:                             ;   in Loop: Header=BB6_5644 Depth=2
	s_or_b32 exec_lo, exec_lo, s13
	v_and_b32_e32 v8, 0x100, v30
	s_mov_b32 s13, -1
	s_delay_alu instid0(VALU_DEP_1)
	v_cmp_ne_u32_e32 vcc_lo, 0, v8
                                        ; implicit-def: $vgpr8_vgpr9
	s_and_saveexec_b32 s37, vcc_lo
	s_cbranch_execnz .LBB6_5667
; %bb.5665:                             ;   in Loop: Header=BB6_5644 Depth=2
	s_or_b32 exec_lo, exec_lo, s37
	s_and_saveexec_b32 vcc_lo, s13
	s_cbranch_execnz .LBB6_5670
.LBB6_5666:                             ;   in Loop: Header=BB6_5644 Depth=2
	s_or_b32 exec_lo, exec_lo, vcc_lo
	s_cbranch_execz .LBB6_5671
; %bb.17416:
	s_getpc_b64 s[48:49]
.Lpost_getpc379:
	s_add_u32 s48, s48, (.LBB6_16758-.Lpost_getpc379)&4294967295
	s_addc_u32 s49, s49, (.LBB6_16758-.Lpost_getpc379)>>32
	s_setpc_b64 s[48:49]
.LBB6_5667:                             ;   in Loop: Header=BB6_5644 Depth=2
	v_mad_u64_u32 v[10:11], null, v2, 24, v[6:7]
	s_delay_alu instid0(VALU_DEP_1) | instskip(NEXT) | instid1(VALU_DEP_1)
	v_mov_b32_e32 v8, v11
	v_mad_u64_u32 v[11:12], null, v3, 24, v[8:9]
	flat_load_b32 v8, v[10:11]
	s_waitcnt vmcnt(0) lgkmcnt(0)
	v_cmp_ne_u32_e32 vcc_lo, 1, v8
	v_cmp_eq_u32_e64 s13, 1, v8
                                        ; implicit-def: $vgpr8_vgpr9
	s_delay_alu instid0(VALU_DEP_1)
	s_and_saveexec_b32 s38, s13
	s_cbranch_execz .LBB6_5669
; %bb.5668:                             ;   in Loop: Header=BB6_5644 Depth=2
	flat_load_b32 v8, v[10:11] offset:4 glc
	s_waitcnt vmcnt(0) lgkmcnt(0)
	v_ashrrev_i32_e32 v9, 31, v8
.LBB6_5669:                             ;   in Loop: Header=BB6_5644 Depth=2
	s_or_b32 exec_lo, exec_lo, s38
	s_delay_alu instid0(SALU_CYCLE_1)
	s_or_not1_b32 s13, vcc_lo, exec_lo
	s_or_b32 exec_lo, exec_lo, s37
	s_and_saveexec_b32 vcc_lo, s13
	s_cbranch_execz .LBB6_5666
.LBB6_5670:                             ;   in Loop: Header=BB6_5644 Depth=2
	v_mul_lo_u32 v10, v3, v118
	v_mul_lo_u32 v11, v2, v128
	v_mad_u64_u32 v[8:9], null, v2, v118, 0
	s_delay_alu instid0(VALU_DEP_1)
	v_add3_u32 v9, v9, v11, v10
	s_or_b32 exec_lo, exec_lo, vcc_lo
	s_cbranch_execz .LBB6_5671
; %bb.17418:
	s_getpc_b64 s[48:49]
.Lpost_getpc380:
	s_add_u32 s48, s48, (.LBB6_16758-.Lpost_getpc380)&4294967295
	s_addc_u32 s49, s49, (.LBB6_16758-.Lpost_getpc380)>>32
	s_setpc_b64 s[48:49]
.LBB6_5671:                             ;   in Loop: Header=BB6_5644 Depth=2
	s_delay_alu instid0(VALU_DEP_2)
	v_add_co_u32 v8, vcc_lo, v68, v8
	v_and_b32_e32 v2, 0x2000, v30
	v_add_co_ci_u32_e32 v9, vcc_lo, v69, v9, vcc_lo
	s_mov_b32 s13, exec_lo
	ds_store_b64 v0, v[8:9]
	v_cmpx_ne_u32_e32 0, v2
	s_cbranch_execz .LBB6_5673
; %bb.5672:                             ;   in Loop: Header=BB6_5644 Depth=2
	ds_load_b64 v[8:9], v0 offset:584
	s_waitcnt lgkmcnt(0)
	v_add_co_u32 v8, vcc_lo, v8, 1
	v_add_co_ci_u32_e32 v9, vcc_lo, 0, v9, vcc_lo
	ds_store_b64 v0, v[8:9] offset:584
.LBB6_5673:                             ;   in Loop: Header=BB6_5644 Depth=2
	s_or_b32 exec_lo, exec_lo, s13
	v_add_co_u32 v66, vcc_lo, v66, 2
	v_add_co_ci_u32_e32 v67, vcc_lo, 0, v67, vcc_lo
	s_mov_b32 s37, s16
	s_mov_b32 s16, s30
.LBB6_5674:                             ;   in Loop: Header=BB6_5644 Depth=2
	s_delay_alu instid0(SALU_CYCLE_1)
	v_writelane_b32 v122, s16, 1
	v_writelane_b32 v122, s17, 2
	;; [unrolled: 1-line block ×8, first 2 shown]
	s_or_b32 exec_lo, exec_lo, s15
	s_and_saveexec_b32 s13, s3
	s_cbranch_execz .LBB6_5696
; %bb.5675:                             ;   in Loop: Header=BB6_5644 Depth=2
	s_and_saveexec_b32 s14, s4
	s_delay_alu instid0(SALU_CYCLE_1)
	s_xor_b32 s14, exec_lo, s14
	s_cbranch_execz .LBB6_5693
; %bb.5676:                             ;   in Loop: Header=BB6_5644 Depth=2
	s_and_saveexec_b32 s15, s1
	s_cbranch_execz .LBB6_5692
; %bb.5677:                             ;   in Loop: Header=BB6_5644 Depth=2
	s_mov_b32 s17, exec_lo
	s_mov_b32 s16, exec_lo
	v_mbcnt_lo_u32_b32 v2, s17, 0
	s_waitcnt vmcnt(0) lgkmcnt(0)
	s_waitcnt_vscnt null, 0x0
	buffer_gl1_inv
	buffer_gl0_inv
	v_cmpx_eq_u32_e32 0, v2
	s_cbranch_execz .LBB6_5679
; %bb.5678:                             ;   in Loop: Header=BB6_5644 Depth=2
	s_bcnt1_i32_b32 s17, s17
	s_delay_alu instid0(SALU_CYCLE_1)
	v_mov_b32_e32 v2, s17
	ds_add_u64 v0, v[2:3]
	s_cbranch_execz .LBB6_5679
; %bb.17420:
	s_getpc_b64 s[48:49]
.Lpost_getpc381:
	s_add_u32 s48, s48, (.LBB6_16874-.Lpost_getpc381)&4294967295
	s_addc_u32 s49, s49, (.LBB6_16874-.Lpost_getpc381)>>32
	s_setpc_b64 s[48:49]
.LBB6_5679:                             ;   in Loop: Header=BB6_5644 Depth=2
	s_or_b32 exec_lo, exec_lo, s16
	s_cbranch_execz .LBB6_5680
; %bb.17422:
	s_getpc_b64 s[48:49]
.Lpost_getpc382:
	s_add_u32 s48, s48, (.LBB6_16848-.Lpost_getpc382)&4294967295
	s_addc_u32 s49, s49, (.LBB6_16848-.Lpost_getpc382)>>32
	s_setpc_b64 s[48:49]
.LBB6_5680:                             ;   in Loop: Header=BB6_5644 Depth=2
	ds_load_b64 v[8:9], v0
	v_add_co_u32 v80, vcc_lo, v80, v129
	v_add_co_ci_u32_e32 v81, vcc_lo, 0, v81, vcc_lo
	s_mov_b32 s16, exec_lo
	s_waitcnt lgkmcnt(0)
	s_delay_alu instid0(VALU_DEP_1)
	v_cmpx_lt_u64_e64 v[8:9], v[80:81]
	s_cbranch_execz .LBB6_5691
; %bb.5681:                             ;   in Loop: Header=BB6_5644 Depth=2
	s_mov_b32 s17, 0
	s_mov_b32 s34, 0
                                        ; implicit-def: $sgpr30
                                        ; implicit-def: $sgpr31
	s_branch .LBB6_5683
.LBB6_5682:                             ;   in Loop: Header=BB6_5683 Depth=3
	s_or_b32 exec_lo, exec_lo, s36
	s_delay_alu instid0(SALU_CYCLE_1) | instskip(NEXT) | instid1(SALU_CYCLE_1)
	s_and_b32 vcc_lo, exec_lo, vcc_lo
	s_or_b32 s17, vcc_lo, s17
	s_and_not1_b32 vcc_lo, s30, exec_lo
	s_and_b32 s30, s31, exec_lo
	s_delay_alu instid0(SALU_CYCLE_1)
	s_or_b32 s30, vcc_lo, s30
	s_and_not1_b32 exec_lo, exec_lo, s17
	s_cbranch_execz .LBB6_5689
.LBB6_5683:                             ;   Parent Loop BB6_51 Depth=1
                                        ;     Parent Loop BB6_5644 Depth=2
                                        ; =>    This Inner Loop Header: Depth=3
	s_add_i32 s34, s34, 1
                                        ; implicit-def: $sgpr36
	s_delay_alu instid0(SALU_CYCLE_1) | instskip(SKIP_1) | instid1(SALU_CYCLE_1)
	s_cmpk_lg_i32 s34, 0x2710
	s_cselect_b32 s35, -1, 0
	s_and_b32 vcc_lo, exec_lo, s35
	s_cbranch_vccz .LBB6_5687
.LBB6_5684:                             ;   in Loop: Header=BB6_5683 Depth=3
	s_and_not1_b32 s31, s31, exec_lo
	s_and_b32 s36, s36, exec_lo
	s_mov_b32 vcc_lo, -1
	s_or_b32 s31, s31, s36
	s_and_saveexec_b32 s36, s35
	s_cbranch_execz .LBB6_5682
; %bb.5685:                             ;   in Loop: Header=BB6_5683 Depth=3
	s_sleep 1
	s_cbranch_execz .LBB6_5686
; %bb.17424:
	s_getpc_b64 s[48:49]
.Lpost_getpc383:
	s_add_u32 s48, s48, (.LBB6_16918-.Lpost_getpc383)&4294967295
	s_addc_u32 s49, s49, (.LBB6_16918-.Lpost_getpc383)>>32
	s_setpc_b64 s[48:49]
.LBB6_5686:                             ;   in Loop: Header=BB6_5683 Depth=3
	ds_load_b64 v[8:9], v0
	s_and_not1_b32 s31, s31, exec_lo
	s_waitcnt lgkmcnt(0)
	v_cmp_ge_u64_e32 vcc_lo, v[8:9], v[80:81]
	s_or_not1_b32 vcc_lo, vcc_lo, exec_lo
	s_branch .LBB6_5682
.LBB6_5687:                             ;   in Loop: Header=BB6_5683 Depth=3
	s_cbranch_execz .LBB6_5688
; %bb.17426:
	s_getpc_b64 s[48:49]
.Lpost_getpc384:
	s_add_u32 s48, s48, (.LBB6_16930-.Lpost_getpc384)&4294967295
	s_addc_u32 s49, s49, (.LBB6_16930-.Lpost_getpc384)>>32
	s_setpc_b64 s[48:49]
.LBB6_5688:                             ;   in Loop: Header=BB6_5683 Depth=3
	ds_load_b64 v[8:9], v0
	s_and_not1_b32 s35, s35, exec_lo
	s_mov_b32 s34, 0
	s_mov_b32 s36, -1
	s_waitcnt lgkmcnt(0)
	flat_load_b32 v2, v[8:9] glc
	s_waitcnt vmcnt(0) lgkmcnt(0)
	buffer_gl1_inv
	buffer_gl0_inv
	v_cmp_eq_u32_e32 vcc_lo, 0, v2
	s_and_b32 vcc_lo, vcc_lo, exec_lo
	s_delay_alu instid0(SALU_CYCLE_1)
	s_or_b32 s35, s35, vcc_lo
	s_branch .LBB6_5684
.LBB6_5689:                             ;   in Loop: Header=BB6_5644 Depth=2
	s_or_b32 exec_lo, exec_lo, s17
	s_and_saveexec_b32 s17, s30
	s_delay_alu instid0(SALU_CYCLE_1)
	s_xor_b32 s17, exec_lo, s17
	s_cbranch_execz .LBB6_5691
; %bb.5690:                             ;   in Loop: Header=BB6_5644 Depth=2
	ds_store_b32 v0, v176
	s_cbranch_execz .LBB6_5691
; %bb.17428:
	s_getpc_b64 s[48:49]
.Lpost_getpc385:
	s_add_u32 s48, s48, (.LBB6_17128-.Lpost_getpc385)&4294967295
	s_addc_u32 s49, s49, (.LBB6_17128-.Lpost_getpc385)>>32
	s_setpc_b64 s[48:49]
.LBB6_5691:                             ;   in Loop: Header=BB6_5644 Depth=2
	s_or_b32 exec_lo, exec_lo, s16
	;;#ASMSTART
	s_wakeup
	;;#ASMEND
.LBB6_5692:                             ;   in Loop: Header=BB6_5644 Depth=2
	s_or_b32 exec_lo, exec_lo, s15
.LBB6_5693:                             ;   in Loop: Header=BB6_5644 Depth=2
	s_and_not1_saveexec_b32 s14, s14
	s_cbranch_execz .LBB6_5695
; %bb.5694:                             ;   in Loop: Header=BB6_5644 Depth=2
	s_waitcnt vmcnt(0) lgkmcnt(0)
	s_waitcnt_vscnt null, 0x0
	buffer_gl1_inv
	buffer_gl0_inv
	s_barrier
.LBB6_5695:                             ;   in Loop: Header=BB6_5644 Depth=2
	s_or_b32 exec_lo, exec_lo, s14
.LBB6_5696:                             ;   in Loop: Header=BB6_5644 Depth=2
	s_delay_alu instid0(SALU_CYCLE_1)
	s_or_b32 exec_lo, exec_lo, s13
	s_cbranch_execz .LBB6_5697
; %bb.17430:
	s_getpc_b64 s[48:49]
.Lpost_getpc386:
	s_add_u32 s48, s48, (.LBB6_16744-.Lpost_getpc386)&4294967295
	s_addc_u32 s49, s49, (.LBB6_16744-.Lpost_getpc386)>>32
	s_setpc_b64 s[48:49]
.LBB6_5697:                             ;   in Loop: Header=BB6_5644 Depth=2
	ds_load_b32 v8, v0
	v_and_b32_e32 v2, 0x4000, v30
	s_xor_b32 s13, s2, -1
	s_delay_alu instid0(VALU_DEP_1) | instskip(SKIP_1) | instid1(SALU_CYCLE_1)
	v_cmp_ne_u32_e32 vcc_lo, 0, v2
	s_and_b32 s14, s13, vcc_lo
	s_and_saveexec_b32 s13, s14
	s_cbranch_execz .LBB6_5719
; %bb.5698:                             ;   in Loop: Header=BB6_5644 Depth=2
	s_and_saveexec_b32 s14, s4
	s_delay_alu instid0(SALU_CYCLE_1)
	s_xor_b32 s14, exec_lo, s14
	s_cbranch_execz .LBB6_5716
; %bb.5699:                             ;   in Loop: Header=BB6_5644 Depth=2
	s_and_saveexec_b32 s15, s1
	s_cbranch_execz .LBB6_5715
; %bb.5700:                             ;   in Loop: Header=BB6_5644 Depth=2
	s_mov_b32 s17, exec_lo
	s_mov_b32 s16, exec_lo
	v_mbcnt_lo_u32_b32 v2, s17, 0
	s_waitcnt vmcnt(0) lgkmcnt(0)
	s_waitcnt_vscnt null, 0x0
	buffer_gl1_inv
	buffer_gl0_inv
	v_cmpx_eq_u32_e32 0, v2
	s_cbranch_execz .LBB6_5702
; %bb.5701:                             ;   in Loop: Header=BB6_5644 Depth=2
	s_bcnt1_i32_b32 s17, s17
	s_delay_alu instid0(SALU_CYCLE_1)
	v_mov_b32_e32 v2, s17
	ds_add_u64 v0, v[2:3]
	s_cbranch_execz .LBB6_5702
; %bb.17432:
	s_getpc_b64 s[48:49]
.Lpost_getpc387:
	s_add_u32 s48, s48, (.LBB6_16912-.Lpost_getpc387)&4294967295
	s_addc_u32 s49, s49, (.LBB6_16912-.Lpost_getpc387)>>32
	s_setpc_b64 s[48:49]
.LBB6_5702:                             ;   in Loop: Header=BB6_5644 Depth=2
	s_or_b32 exec_lo, exec_lo, s16
	s_cbranch_execz .LBB6_5703
; %bb.17434:
	s_getpc_b64 s[48:49]
.Lpost_getpc388:
	s_add_u32 s48, s48, (.LBB6_16884-.Lpost_getpc388)&4294967295
	s_addc_u32 s49, s49, (.LBB6_16884-.Lpost_getpc388)>>32
	s_setpc_b64 s[48:49]
.LBB6_5703:                             ;   in Loop: Header=BB6_5644 Depth=2
	ds_load_b64 v[9:10], v0
	v_add_co_u32 v80, vcc_lo, v80, v129
	v_add_co_ci_u32_e32 v81, vcc_lo, 0, v81, vcc_lo
	s_mov_b32 s16, exec_lo
	s_waitcnt lgkmcnt(0)
	s_delay_alu instid0(VALU_DEP_1)
	v_cmpx_lt_u64_e64 v[9:10], v[80:81]
	s_cbranch_execz .LBB6_5714
; %bb.5704:                             ;   in Loop: Header=BB6_5644 Depth=2
	s_mov_b32 s17, 0
	s_mov_b32 s34, 0
                                        ; implicit-def: $sgpr30
                                        ; implicit-def: $sgpr31
	s_branch .LBB6_5706
.LBB6_5705:                             ;   in Loop: Header=BB6_5706 Depth=3
	s_or_b32 exec_lo, exec_lo, s36
	s_delay_alu instid0(SALU_CYCLE_1) | instskip(NEXT) | instid1(SALU_CYCLE_1)
	s_and_b32 vcc_lo, exec_lo, vcc_lo
	s_or_b32 s17, vcc_lo, s17
	s_and_not1_b32 vcc_lo, s30, exec_lo
	s_and_b32 s30, s31, exec_lo
	s_delay_alu instid0(SALU_CYCLE_1)
	s_or_b32 s30, vcc_lo, s30
	s_and_not1_b32 exec_lo, exec_lo, s17
	s_cbranch_execz .LBB6_5712
.LBB6_5706:                             ;   Parent Loop BB6_51 Depth=1
                                        ;     Parent Loop BB6_5644 Depth=2
                                        ; =>    This Inner Loop Header: Depth=3
	s_add_i32 s34, s34, 1
                                        ; implicit-def: $sgpr36
	s_delay_alu instid0(SALU_CYCLE_1) | instskip(SKIP_1) | instid1(SALU_CYCLE_1)
	s_cmpk_lg_i32 s34, 0x2710
	s_cselect_b32 s35, -1, 0
	s_and_b32 vcc_lo, exec_lo, s35
	s_cbranch_vccz .LBB6_5710
.LBB6_5707:                             ;   in Loop: Header=BB6_5706 Depth=3
	s_and_not1_b32 s31, s31, exec_lo
	s_and_b32 s36, s36, exec_lo
	s_mov_b32 vcc_lo, -1
	s_or_b32 s31, s31, s36
	s_and_saveexec_b32 s36, s35
	s_cbranch_execz .LBB6_5705
; %bb.5708:                             ;   in Loop: Header=BB6_5706 Depth=3
	s_sleep 1
	s_cbranch_execz .LBB6_5709
; %bb.17436:
	s_getpc_b64 s[48:49]
.Lpost_getpc389:
	s_add_u32 s48, s48, (.LBB6_16972-.Lpost_getpc389)&4294967295
	s_addc_u32 s49, s49, (.LBB6_16972-.Lpost_getpc389)>>32
	s_setpc_b64 s[48:49]
.LBB6_5709:                             ;   in Loop: Header=BB6_5706 Depth=3
	ds_load_b64 v[9:10], v0
	s_and_not1_b32 s31, s31, exec_lo
	s_waitcnt lgkmcnt(0)
	v_cmp_ge_u64_e32 vcc_lo, v[9:10], v[80:81]
	s_or_not1_b32 vcc_lo, vcc_lo, exec_lo
	s_branch .LBB6_5705
.LBB6_5710:                             ;   in Loop: Header=BB6_5706 Depth=3
	s_cbranch_execz .LBB6_5711
; %bb.17438:
	s_getpc_b64 s[48:49]
.Lpost_getpc390:
	s_add_u32 s48, s48, (.LBB6_16986-.Lpost_getpc390)&4294967295
	s_addc_u32 s49, s49, (.LBB6_16986-.Lpost_getpc390)>>32
	s_setpc_b64 s[48:49]
.LBB6_5711:                             ;   in Loop: Header=BB6_5706 Depth=3
	ds_load_b64 v[9:10], v0
	s_and_not1_b32 s35, s35, exec_lo
	s_mov_b32 s34, 0
	s_mov_b32 s36, -1
	s_waitcnt lgkmcnt(0)
	flat_load_b32 v2, v[9:10] glc
	s_waitcnt vmcnt(0) lgkmcnt(0)
	buffer_gl1_inv
	buffer_gl0_inv
	v_cmp_eq_u32_e32 vcc_lo, 0, v2
	s_and_b32 vcc_lo, vcc_lo, exec_lo
	s_delay_alu instid0(SALU_CYCLE_1)
	s_or_b32 s35, s35, vcc_lo
	s_branch .LBB6_5707
.LBB6_5712:                             ;   in Loop: Header=BB6_5644 Depth=2
	s_or_b32 exec_lo, exec_lo, s17
	s_and_saveexec_b32 s17, s30
	s_delay_alu instid0(SALU_CYCLE_1)
	s_xor_b32 s17, exec_lo, s17
	s_cbranch_execz .LBB6_5714
; %bb.5713:                             ;   in Loop: Header=BB6_5644 Depth=2
	ds_store_b32 v0, v176
	s_cbranch_execz .LBB6_5714
; %bb.17440:
	s_getpc_b64 s[48:49]
.Lpost_getpc391:
	s_add_u32 s48, s48, (.LBB6_17152-.Lpost_getpc391)&4294967295
	s_addc_u32 s49, s49, (.LBB6_17152-.Lpost_getpc391)>>32
	s_setpc_b64 s[48:49]
.LBB6_5714:                             ;   in Loop: Header=BB6_5644 Depth=2
	s_or_b32 exec_lo, exec_lo, s16
	;;#ASMSTART
	s_wakeup
	;;#ASMEND
.LBB6_5715:                             ;   in Loop: Header=BB6_5644 Depth=2
	s_or_b32 exec_lo, exec_lo, s15
.LBB6_5716:                             ;   in Loop: Header=BB6_5644 Depth=2
	s_and_not1_saveexec_b32 s14, s14
	s_cbranch_execz .LBB6_5718
; %bb.5717:                             ;   in Loop: Header=BB6_5644 Depth=2
	s_waitcnt vmcnt(0) lgkmcnt(0)
	s_waitcnt_vscnt null, 0x0
	buffer_gl1_inv
	buffer_gl0_inv
	s_barrier
.LBB6_5718:                             ;   in Loop: Header=BB6_5644 Depth=2
	s_or_b32 exec_lo, exec_lo, s14
.LBB6_5719:                             ;   in Loop: Header=BB6_5644 Depth=2
	s_delay_alu instid0(SALU_CYCLE_1)
	s_or_b32 exec_lo, exec_lo, s13
	s_cbranch_execz .LBB6_5720
; %bb.17442:
	s_getpc_b64 s[48:49]
.Lpost_getpc392:
	s_add_u32 s48, s48, (.LBB6_16778-.Lpost_getpc392)&4294967295
	s_addc_u32 s49, s49, (.LBB6_16778-.Lpost_getpc392)>>32
	s_setpc_b64 s[48:49]
.LBB6_5720:                             ;   in Loop: Header=BB6_5644 Depth=2
	ds_load_b64 v[9:10], v0
	v_mov_b32_e32 v182, 0
	s_waitcnt lgkmcnt(0)
	v_cmp_eq_u64_e32 vcc_lo, 0, v[9:10]
	s_or_b32 s13, vcc_lo, vcc_lo
	s_delay_alu instid0(SALU_CYCLE_1)
	s_and_b32 vcc_lo, exec_lo, s13
	s_cbranch_vccz .LBB6_5721
; %bb.17444:                            ;   in Loop: Header=BB6_5644 Depth=2
	s_getpc_b64 s[48:49]
.Lpost_getpc393:
	s_add_u32 s48, s48, (.LBB6_15965-.Lpost_getpc393)&4294967295
	s_addc_u32 s49, s49, (.LBB6_15965-.Lpost_getpc393)>>32
	s_setpc_b64 s[48:49]
.LBB6_5721:                             ;   in Loop: Header=BB6_5644 Depth=2
	v_cmp_eq_u32_e32 vcc_lo, 0, v8
	s_cbranch_execz .LBB6_5722
; %bb.17446:
	s_getpc_b64 s[48:49]
.Lpost_getpc394:
	s_add_u32 s48, s48, (.LBB6_16840-.Lpost_getpc394)&4294967295
	s_addc_u32 s49, s49, (.LBB6_16840-.Lpost_getpc394)>>32
	s_setpc_b64 s[48:49]
.LBB6_5722:                             ;   in Loop: Header=BB6_5644 Depth=2
	ds_load_b64 v[8:9], v0
	v_cndmask_b32_e32 v182, 0, v100, vcc_lo
	s_waitcnt lgkmcnt(0)
	v_cmp_ne_u64_e64 s13, 0, v[8:9]
	v_readfirstlane_b32 s30, v8
	s_delay_alu instid0(VALU_DEP_2)
	s_and_b32 vcc_lo, exec_lo, s13
	s_cbranch_vccz .LBB6_8612
; %bb.5723:                             ;   in Loop: Header=BB6_5644 Depth=2
	s_mov_b32 s13, -1
	s_and_saveexec_b32 s14, s12
	s_cbranch_execz .LBB6_5725
; %bb.5724:                             ;   in Loop: Header=BB6_5644 Depth=2
	ds_load_b32 v2, v0 offset:720
	s_waitcnt lgkmcnt(0)
	v_and_b32_e32 v2, 15, v2
	s_delay_alu instid0(VALU_DEP_1)
	v_cmp_eq_u32_e32 vcc_lo, 0, v2
	s_or_not1_b32 s13, vcc_lo, exec_lo
.LBB6_5725:                             ;   in Loop: Header=BB6_5644 Depth=2
	s_or_b32 exec_lo, exec_lo, s14
	s_and_saveexec_b32 s14, s12
	s_cbranch_execz .LBB6_5727
; %bb.5726:                             ;   in Loop: Header=BB6_5644 Depth=2
	ds_load_b32 v2, v0 offset:784
	s_waitcnt lgkmcnt(0)
	v_and_b32_e32 v2, 15, v2
	s_delay_alu instid0(VALU_DEP_1) | instskip(SKIP_3) | instid1(SALU_CYCLE_1)
	v_cmp_eq_u32_e32 vcc_lo, 0, v2
	s_and_b32 s15, s13, vcc_lo
	s_and_not1_b32 s13, s13, exec_lo
	s_and_b32 s15, s15, exec_lo
	s_or_b32 s13, s13, s15
.LBB6_5727:                             ;   in Loop: Header=BB6_5644 Depth=2
	s_or_b32 exec_lo, exec_lo, s14
	s_xor_b32 s13, s13, -1
	s_waitcnt vmcnt(0)
	v_dual_mov_b32 v16, 0 :: v_dual_mov_b32 v17, v182
	v_cndmask_b32_e64 v2, 0, 1, s13
	;;#ASMSTART
	;;#ASMEND
	s_delay_alu instid0(VALU_DEP_1)
	v_cmp_ne_u32_e32 vcc_lo, 0, v2
	v_mov_b32_e32 v18, v0
	v_mov_b32_e32 v8, v130
	s_mov_b32 s13, -1
	s_cbranch_vccnz .LBB6_9346
; %bb.5728:                             ;   in Loop: Header=BB6_5644 Depth=2
	v_ashrrev_i32_e32 v2, 31, v182
	s_mov_b32 s14, exec_lo
	s_delay_alu instid0(VALU_DEP_1) | instskip(NEXT) | instid1(VALU_DEP_1)
	v_lshrrev_b32_e32 v2, 21, v2
	v_add_nc_u32_e32 v2, v182, v2
	s_delay_alu instid0(VALU_DEP_1) | instskip(NEXT) | instid1(VALU_DEP_1)
	v_ashrrev_i32_e32 v183, 11, v2
	v_sub_nc_u32_e32 v2, v183, v130
	s_delay_alu instid0(VALU_DEP_1)
	v_cmpx_lt_i32_e32 0, v2
	s_cbranch_execz .LBB6_8614
; %bb.5729:                             ;   in Loop: Header=BB6_5644 Depth=2
	s_cbranch_execz .LBB6_5730
; %bb.17448:
	s_getpc_b64 s[48:49]
.Lpost_getpc395:
	s_add_u32 s48, s48, (.LBB6_17006-.Lpost_getpc395)&4294967295
	s_addc_u32 s49, s49, (.LBB6_17006-.Lpost_getpc395)>>32
	s_setpc_b64 s[48:49]
.LBB6_5730:                             ;   in Loop: Header=BB6_5644 Depth=2
	ds_load_b128 v[8:11], v0
	s_bitcmp1_b32 s30, 0
	s_mov_b32 s15, 0
	s_cselect_b32 s16, -1, 0
	s_waitcnt lgkmcnt(0)
	v_add_co_u32 v101, vcc_lo, v8, v164
	v_add_co_ci_u32_e32 v102, vcc_lo, v9, v165, vcc_lo
	v_add_co_u32 v112, vcc_lo, v10, v164
	v_add_co_ci_u32_e32 v113, vcc_lo, v11, v165, vcc_lo
	s_delay_alu instid0(VALU_DEP_3) | instskip(NEXT) | instid1(VALU_DEP_2)
	v_dual_mov_b32 v115, v102 :: v_dual_mov_b32 v114, v101
	v_dual_mov_b32 v117, v113 :: v_dual_mov_b32 v116, v112
	s_branch .LBB6_5734
.LBB6_5731:                             ;   in Loop: Header=BB6_5734 Depth=3
	s_or_b32 exec_lo, exec_lo, s13
	s_delay_alu instid0(VALU_DEP_1) | instskip(NEXT) | instid1(VALU_DEP_2)
	v_lshrrev_b32_e32 v15, 20, v15
	v_min_i32_e32 v105, 15, v11
	v_cmp_gt_i32_e32 vcc_lo, 16, v11
	v_lshrrev_b32_e32 v106, 24, v107
	s_delay_alu instid0(VALU_DEP_3) | instskip(NEXT) | instid1(VALU_DEP_2)
	v_lshlrev_b32_e32 v105, 3, v105
	v_dual_cndmask_b32 v15, 7, v15 :: v_dual_and_b32 v106, 0x80, v106
	s_delay_alu instid0(VALU_DEP_2) | instskip(NEXT) | instid1(VALU_DEP_2)
	v_and_b32_e32 v105, 0xf8, v105
	v_and_b32_e32 v107, 7, v15
	v_or_b32_e32 v11, v11, v15
	s_delay_alu instid0(VALU_DEP_2) | instskip(NEXT) | instid1(VALU_DEP_2)
	v_or3_b32 v105, v106, v105, v107
	v_cmp_ne_u32_e32 vcc_lo, 0, v11
	s_delay_alu instid0(VALU_DEP_2) | instskip(NEXT) | instid1(VALU_DEP_1)
	v_lshlrev_b32_e32 v15, 8, v105
	v_cndmask_b32_e32 v11, 0, v15, vcc_lo
.LBB6_5732:                             ;   in Loop: Header=BB6_5734 Depth=3
	s_or_b32 exec_lo, exec_lo, s31
.LBB6_5733:                             ;   in Loop: Header=BB6_5734 Depth=3
	s_delay_alu instid0(SALU_CYCLE_1)
	s_or_b32 exec_lo, exec_lo, s17
	v_lshlrev_b32_e32 v15, 8, v75
	v_and_b32_e32 v74, 0xff, v74
	v_or_b32_e32 v17, v17, v76
	v_lshlrev_b32_e32 v75, 24, v16
	v_lshlrev_b32_e32 v16, 8, v73
	v_perm_b32 v15, v15, v20, 0xc0c0500
	v_lshlrev_b32_e32 v20, 16, v74
	v_and_b32_e32 v73, 0xff, v78
	v_lshlrev_b32_e32 v74, 8, v77
	v_lshlrev_b32_e32 v76, 8, v79
	;; [unrolled: 1-line block ×3, first 2 shown]
	v_or_b32_e32 v19, v19, v88
	v_lshlrev_b32_e32 v73, 16, v73
	v_perm_b32 v21, v74, v21, 0xc0c0500
	v_perm_b32 v22, v76, v22, 0xc0c0500
	;; [unrolled: 1-line block ×3, first 2 shown]
	v_lshl_or_b32 v16, v17, 16, v15
	v_lshlrev_b32_e32 v59, 8, v59
	v_or3_b32 v17, v18, v73, v21
	v_lshl_or_b32 v18, v19, 16, v22
	v_and_b32_e32 v21, 0xff, v58
	v_lshlrev_b32_e32 v22, 8, v57
	v_or3_b32 v15, v75, v20, v35
	v_or_b32_e32 v19, v25, v60
	v_perm_b32 v20, v59, v32, 0xc0c0500
	v_lshlrev_b32_e32 v24, 24, v24
	v_and_b32_e32 v25, 0xff, v62
	v_lshlrev_b32_e32 v32, 8, v61
	v_lshlrev_b32_e32 v21, 16, v21
	v_perm_b32 v22, v22, v51, 0xc0c0500
	v_lshlrev_b32_e32 v26, 24, v26
	v_lshlrev_b32_e32 v25, 16, v25
	v_perm_b32 v32, v32, v33, 0xc0c0500
	v_lshlrev_b32_e32 v33, 8, v63
	v_lshl_or_b32 v20, v19, 16, v20
	v_or3_b32 v19, v24, v21, v22
	v_lshlrev_b32_e32 v22, 8, v43
	v_or3_b32 v21, v26, v25, v32
	v_perm_b32 v24, v33, v34, 0xc0c0500
	v_or_b32_e32 v25, v27, v72
	v_or_b32_e32 v26, v37, v44
	v_perm_b32 v27, v22, v48, 0xc0c0500
	v_and_b32_e32 v22, 0xff, v42
	v_lshlrev_b32_e32 v32, 8, v41
	v_and_b32_e32 v34, 0xff, v46
	v_lshlrev_b32_e32 v35, 8, v45
	v_lshlrev_b32_e32 v33, 24, v36
	v_lshlrev_b32_e32 v36, 16, v22
	v_perm_b32 v32, v32, v40, 0xc0c0500
	v_lshlrev_b32_e32 v37, 24, v38
	v_lshlrev_b32_e32 v34, 16, v34
	v_perm_b32 v35, v35, v49, 0xc0c0500
	v_lshl_or_b32 v22, v25, 16, v24
	v_lshl_or_b32 v25, v26, 16, v27
	v_lshlrev_b32_e32 v27, 8, v91
	v_lshlrev_b32_e32 v38, 8, v47
	v_or3_b32 v24, v33, v36, v32
	v_or3_b32 v26, v37, v34, v35
	v_and_b32_e32 v34, 0xff, v90
	v_perm_b32 v12, v27, v12, 0xc0c0500
	v_lshlrev_b32_e32 v27, 8, v89
	v_and_b32_e32 v35, 0xff, v94
	v_lshlrev_b32_e32 v36, 8, v93
	v_lshlrev_b32_e32 v37, 8, v95
	v_perm_b32 v32, v38, v50, 0xc0c0500
	v_or_b32_e32 v33, v39, v56
	v_or_b32_e32 v9, v9, v92
	v_lshlrev_b32_e32 v8, 24, v8
	v_lshlrev_b32_e32 v34, 16, v34
	v_perm_b32 v23, v27, v23, 0xc0c0500
	v_lshlrev_b32_e32 v10, 24, v10
	v_lshlrev_b32_e32 v35, 16, v35
	v_perm_b32 v13, v36, v13, 0xc0c0500
	v_perm_b32 v14, v37, v14, 0xc0c0500
	v_or_b32_e32 v11, v11, v104
	v_add_co_u32 v101, vcc_lo, v101, v166
	v_lshl_or_b32 v27, v33, 16, v32
	v_add_co_ci_u32_e32 v102, vcc_lo, v102, v167, vcc_lo
	v_add_co_u32 v112, vcc_lo, v112, v166
	v_lshl_or_b32 v9, v9, 16, v12
	v_or3_b32 v8, v8, v34, v23
	v_or3_b32 v10, v10, v35, v13
	v_lshl_or_b32 v11, v11, 16, v14
	v_sub_nc_u32_e32 v2, v2, v129
	v_add_co_ci_u32_e32 v113, vcc_lo, v113, v167, vcc_lo
	s_clause 0x3
	global_store_b128 v[114:115], v[24:27], off glc slc dlc
	global_store_b128 v[114:115], v[19:22], off offset:512 glc slc dlc
	global_store_b128 v[114:115], v[15:18], off offset:1024 glc slc dlc
	global_store_b128 v[114:115], v[8:11], off offset:1536 glc slc dlc
	s_clause 0x3
	global_store_b128 v[116:117], v[24:27], off glc slc dlc
	global_store_b128 v[116:117], v[19:22], off offset:512 glc slc dlc
	global_store_b128 v[116:117], v[15:18], off offset:1024 glc slc dlc
	;; [unrolled: 1-line block ×3, first 2 shown]
	v_add_co_u32 v114, vcc_lo, v114, v166
	v_add_co_ci_u32_e32 v115, vcc_lo, v115, v167, vcc_lo
	v_cmp_gt_i32_e32 vcc_lo, 1, v2
	v_add_co_u32 v116, s13, v116, v166
	s_delay_alu instid0(VALU_DEP_1) | instskip(SKIP_1) | instid1(SALU_CYCLE_1)
	v_add_co_ci_u32_e64 v117, s13, v117, v167, s13
	s_or_b32 s15, vcc_lo, s15
	s_and_not1_b32 exec_lo, exec_lo, s15
	s_cbranch_execz .LBB6_8613
.LBB6_5734:                             ;   Parent Loop BB6_51 Depth=1
                                        ;     Parent Loop BB6_5644 Depth=2
                                        ; =>    This Inner Loop Header: Depth=3
	s_clause 0x3
	global_load_b128 v[48:51], v[101:102], off slc dlc
	global_load_b128 v[32:35], v[101:102], off offset:512 slc dlc
	global_load_b128 v[20:23], v[101:102], off offset:1024 slc dlc
	;; [unrolled: 1-line block ×3, first 2 shown]
	s_clause 0x3
	global_load_b128 v[36:39], v[112:113], off slc dlc
	global_load_b128 v[24:27], v[112:113], off offset:512 slc dlc
	global_load_b128 v[16:19], v[112:113], off offset:1024 slc dlc
	;; [unrolled: 1-line block ×3, first 2 shown]
	s_and_b32 vcc_lo, exec_lo, s16
	s_waitcnt vmcnt(7)
	v_and_b32_e32 v40, 0xff, v48
	s_delay_alu instid0(VALU_DEP_1)
	v_cmp_lt_i16_e64 s13, 0x7f, v40
	s_cbranch_vccz .LBB6_5744
; %bb.5735:                             ;   in Loop: Header=BB6_5734 Depth=3
	s_mov_b32 s17, 0
                                        ; implicit-def: $sgpr31
	s_delay_alu instid0(VALU_DEP_1) | instskip(NEXT) | instid1(SALU_CYCLE_1)
	s_and_saveexec_b32 vcc_lo, s13
	s_xor_b32 s13, exec_lo, vcc_lo
	s_cbranch_execnz .LBB6_7588
; %bb.5736:                             ;   in Loop: Header=BB6_5734 Depth=3
	s_or_saveexec_b32 s13, s13
	v_mov_b32_e32 v41, s31
	s_xor_b32 exec_lo, exec_lo, s13
	s_cbranch_execnz .LBB6_7591
.LBB6_5737:                             ;   in Loop: Header=BB6_5734 Depth=3
	s_or_b32 exec_lo, exec_lo, s13
	s_and_saveexec_b32 s13, s17
	s_cbranch_execz .LBB6_5739
.LBB6_5738:                             ;   in Loop: Header=BB6_5734 Depth=3
	v_bfe_u32 v44, v48, 3, 4
	v_lshlrev_b32_e32 v45, 24, v48
	s_delay_alu instid0(VALU_DEP_2) | instskip(SKIP_1) | instid1(VALU_DEP_1)
	v_cmp_eq_u32_e32 vcc_lo, 0, v44
	v_and_b32_e32 v41, 7, v48
	v_clz_i32_u32_e32 v42, v41
	s_delay_alu instid0(VALU_DEP_1) | instskip(NEXT) | instid1(VALU_DEP_1)
	v_min_u32_e32 v42, 32, v42
	v_subrev_nc_u32_e32 v43, 28, v42
	v_sub_nc_u32_e32 v42, 29, v42
	s_delay_alu instid0(VALU_DEP_1) | instskip(NEXT) | instid1(VALU_DEP_1)
	v_dual_cndmask_b32 v42, v44, v42 :: v_dual_lshlrev_b32 v43, v43, v48
	v_and_b32_e32 v43, 7, v43
	s_delay_alu instid0(VALU_DEP_2) | instskip(NEXT) | instid1(VALU_DEP_2)
	v_lshl_add_u32 v42, v42, 23, 0x3b800000
	v_cndmask_b32_e32 v41, v41, v43, vcc_lo
	v_and_b32_e32 v43, 0x80000000, v45
	s_delay_alu instid0(VALU_DEP_2) | instskip(NEXT) | instid1(VALU_DEP_1)
	v_lshlrev_b32_e32 v41, 20, v41
	v_or3_b32 v41, v43, v42, v41
.LBB6_5739:                             ;   in Loop: Header=BB6_5734 Depth=3
	s_or_b32 exec_lo, exec_lo, s13
	s_waitcnt vmcnt(3)
	v_and_b32_e32 v43, 0xff, v36
	s_mov_b32 s13, 0
	s_mov_b32 s31, exec_lo
                                        ; implicit-def: $sgpr17
	s_delay_alu instid0(VALU_DEP_1)
	v_cmpx_lt_i16_e32 0x7f, v43
	s_xor_b32 s31, exec_lo, s31
	s_cbranch_execnz .LBB6_7592
; %bb.5740:                             ;   in Loop: Header=BB6_5734 Depth=3
	s_or_saveexec_b32 s31, s31
	v_mov_b32_e32 v42, s17
	s_xor_b32 exec_lo, exec_lo, s31
	s_cbranch_execnz .LBB6_7595
.LBB6_5741:                             ;   in Loop: Header=BB6_5734 Depth=3
	s_or_b32 exec_lo, exec_lo, s31
	s_and_saveexec_b32 s17, s13
	s_cbranch_execz .LBB6_5743
.LBB6_5742:                             ;   in Loop: Header=BB6_5734 Depth=3
	v_bfe_u32 v45, v36, 3, 4
	v_lshlrev_b32_e32 v46, 24, v36
	s_delay_alu instid0(VALU_DEP_2) | instskip(SKIP_1) | instid1(VALU_DEP_1)
	v_cmp_eq_u32_e32 vcc_lo, 0, v45
	v_and_b32_e32 v42, 7, v36
	v_clz_i32_u32_e32 v43, v42
	s_delay_alu instid0(VALU_DEP_1) | instskip(NEXT) | instid1(VALU_DEP_1)
	v_min_u32_e32 v43, 32, v43
	v_subrev_nc_u32_e32 v44, 28, v43
	v_sub_nc_u32_e32 v43, 29, v43
	s_delay_alu instid0(VALU_DEP_1) | instskip(NEXT) | instid1(VALU_DEP_1)
	v_dual_cndmask_b32 v43, v45, v43 :: v_dual_lshlrev_b32 v44, v44, v36
	v_and_b32_e32 v44, 7, v44
	s_delay_alu instid0(VALU_DEP_2) | instskip(NEXT) | instid1(VALU_DEP_2)
	v_lshl_add_u32 v43, v43, 23, 0x3b800000
	v_cndmask_b32_e32 v42, v42, v44, vcc_lo
	v_and_b32_e32 v44, 0x80000000, v46
	s_delay_alu instid0(VALU_DEP_2) | instskip(NEXT) | instid1(VALU_DEP_1)
	v_lshlrev_b32_e32 v42, 20, v42
	v_or3_b32 v42, v44, v43, v42
.LBB6_5743:                             ;   in Loop: Header=BB6_5734 Depth=3
	s_or_b32 exec_lo, exec_lo, s17
	s_delay_alu instid0(VALU_DEP_1) | instskip(SKIP_1) | instid1(VALU_DEP_1)
	v_dual_max_f32 v42, v42, v42 :: v_dual_max_f32 v41, v41, v41
	s_mov_b32 s13, 0
	v_max_f32_e32 v41, v41, v42
	s_branch .LBB6_5745
.LBB6_5744:                             ;   in Loop: Header=BB6_5734 Depth=3
	s_mov_b32 s13, -1
                                        ; implicit-def: $vgpr41
.LBB6_5745:                             ;   in Loop: Header=BB6_5734 Depth=3
	s_delay_alu instid0(SALU_CYCLE_1)
	s_and_b32 vcc_lo, exec_lo, s13
	s_cbranch_vccz .LBB6_5755
; %bb.5746:                             ;   in Loop: Header=BB6_5734 Depth=3
	s_mov_b32 s13, 0
	s_mov_b32 s31, exec_lo
                                        ; implicit-def: $sgpr17
	v_cmpx_lt_i16_e32 0x7f, v40
	s_xor_b32 s31, exec_lo, s31
	s_cbranch_execnz .LBB6_7596
; %bb.5747:                             ;   in Loop: Header=BB6_5734 Depth=3
	s_or_saveexec_b32 s31, s31
	v_mov_b32_e32 v41, s17
	s_xor_b32 exec_lo, exec_lo, s31
	s_cbranch_execnz .LBB6_7599
.LBB6_5748:                             ;   in Loop: Header=BB6_5734 Depth=3
	s_or_b32 exec_lo, exec_lo, s31
	s_and_saveexec_b32 s17, s13
	s_cbranch_execz .LBB6_5750
.LBB6_5749:                             ;   in Loop: Header=BB6_5734 Depth=3
	v_bfe_u32 v43, v48, 3, 4
	v_lshlrev_b32_e32 v44, 24, v48
	s_delay_alu instid0(VALU_DEP_2) | instskip(SKIP_1) | instid1(VALU_DEP_1)
	v_cmp_eq_u32_e32 vcc_lo, 0, v43
	v_and_b32_e32 v40, 7, v48
	v_clz_i32_u32_e32 v41, v40
	s_delay_alu instid0(VALU_DEP_1) | instskip(NEXT) | instid1(VALU_DEP_1)
	v_min_u32_e32 v41, 32, v41
	v_subrev_nc_u32_e32 v42, 28, v41
	v_sub_nc_u32_e32 v41, 29, v41
	s_delay_alu instid0(VALU_DEP_1) | instskip(NEXT) | instid1(VALU_DEP_1)
	v_dual_cndmask_b32 v41, v43, v41 :: v_dual_lshlrev_b32 v42, v42, v48
	v_and_b32_e32 v42, 7, v42
	s_delay_alu instid0(VALU_DEP_2) | instskip(NEXT) | instid1(VALU_DEP_2)
	v_lshl_add_u32 v41, v41, 23, 0x3b800000
	v_cndmask_b32_e32 v40, v40, v42, vcc_lo
	v_and_b32_e32 v42, 0x80000000, v44
	s_delay_alu instid0(VALU_DEP_2) | instskip(NEXT) | instid1(VALU_DEP_1)
	v_lshlrev_b32_e32 v40, 20, v40
	v_or3_b32 v41, v42, v41, v40
.LBB6_5750:                             ;   in Loop: Header=BB6_5734 Depth=3
	s_or_b32 exec_lo, exec_lo, s17
	s_waitcnt vmcnt(3)
	v_and_b32_e32 v42, 0xff, v36
	s_mov_b32 s13, 0
	s_mov_b32 s31, exec_lo
                                        ; implicit-def: $sgpr17
	s_delay_alu instid0(VALU_DEP_1)
	v_cmpx_lt_i16_e32 0x7f, v42
	s_xor_b32 s31, exec_lo, s31
	s_cbranch_execnz .LBB6_7600
; %bb.5751:                             ;   in Loop: Header=BB6_5734 Depth=3
	s_or_saveexec_b32 s31, s31
	v_mov_b32_e32 v40, s17
	s_xor_b32 exec_lo, exec_lo, s31
	s_cbranch_execnz .LBB6_7603
.LBB6_5752:                             ;   in Loop: Header=BB6_5734 Depth=3
	s_or_b32 exec_lo, exec_lo, s31
	s_and_saveexec_b32 s17, s13
	s_cbranch_execz .LBB6_5754
.LBB6_5753:                             ;   in Loop: Header=BB6_5734 Depth=3
	v_and_b32_e32 v40, 7, v36
	v_bfe_u32 v44, v36, 3, 4
	s_delay_alu instid0(VALU_DEP_2) | instskip(NEXT) | instid1(VALU_DEP_2)
	v_clz_i32_u32_e32 v42, v40
	v_cmp_eq_u32_e32 vcc_lo, 0, v44
	s_delay_alu instid0(VALU_DEP_2) | instskip(NEXT) | instid1(VALU_DEP_1)
	v_min_u32_e32 v42, 32, v42
	v_subrev_nc_u32_e32 v43, 28, v42
	v_sub_nc_u32_e32 v42, 29, v42
	s_delay_alu instid0(VALU_DEP_1) | instskip(NEXT) | instid1(VALU_DEP_1)
	v_dual_cndmask_b32 v42, v44, v42 :: v_dual_lshlrev_b32 v43, v43, v36
	v_and_b32_e32 v43, 7, v43
	v_lshlrev_b32_e32 v45, 24, v36
	s_delay_alu instid0(VALU_DEP_3) | instskip(NEXT) | instid1(VALU_DEP_2)
	v_lshl_add_u32 v42, v42, 23, 0x3b800000
	v_dual_cndmask_b32 v40, v40, v43 :: v_dual_and_b32 v43, 0x80000000, v45
	s_delay_alu instid0(VALU_DEP_1) | instskip(NEXT) | instid1(VALU_DEP_1)
	v_lshlrev_b32_e32 v40, 20, v40
	v_or3_b32 v40, v43, v42, v40
.LBB6_5754:                             ;   in Loop: Header=BB6_5734 Depth=3
	s_or_b32 exec_lo, exec_lo, s17
	s_delay_alu instid0(VALU_DEP_1) | instskip(NEXT) | instid1(VALU_DEP_1)
	v_dual_max_f32 v40, v40, v40 :: v_dual_max_f32 v41, v41, v41
	v_min_f32_e32 v41, v41, v40
.LBB6_5755:                             ;   in Loop: Header=BB6_5734 Depth=3
	s_delay_alu instid0(VALU_DEP_1) | instskip(NEXT) | instid1(VALU_DEP_1)
	v_and_b32_e32 v40, 0x7f800000, v41
	v_cmp_ne_u32_e32 vcc_lo, 0x7f800000, v40
	v_mov_b32_e32 v40, 0x80
	s_and_saveexec_b32 s17, vcc_lo
	s_cbranch_execz .LBB6_5763
; %bb.5756:                             ;   in Loop: Header=BB6_5734 Depth=3
	v_mov_b32_e32 v40, 0
	s_mov_b32 s31, exec_lo
	v_cmpx_ne_u32_e32 0, v41
	s_cbranch_execz .LBB6_5762
; %bb.5757:                             ;   in Loop: Header=BB6_5734 Depth=3
	v_bfe_u32 v40, v41, 23, 8
	s_delay_alu instid0(VALU_DEP_1) | instskip(SKIP_1) | instid1(VALU_DEP_2)
	v_sub_nc_u32_e32 v43, 0x78, v40
	v_cmp_gt_u32_e32 vcc_lo, 0x79, v40
	v_dual_cndmask_b32 v43, 0, v43 :: v_dual_and_b32 v42, 0x7fffff, v41
	s_delay_alu instid0(VALU_DEP_1) | instskip(SKIP_2) | instid1(VALU_DEP_4)
	v_or_b32_e32 v44, 0x800000, v42
	v_cmp_eq_u32_e32 vcc_lo, 0, v40
	v_add_nc_u32_e32 v40, 0xffffff89, v40
	v_cndmask_b32_e64 v43, v43, 0x77, vcc_lo
	s_delay_alu instid0(VALU_DEP_2) | instskip(SKIP_1) | instid1(VALU_DEP_3)
	v_cndmask_b32_e64 v40, v40, 0xffffff8a, vcc_lo
	v_cndmask_b32_e32 v42, v44, v42, vcc_lo
	v_lshl_add_u32 v44, 0x100000, v43, -1
	v_lshlrev_b32_e64 v47, v43, 0x80000
	s_delay_alu instid0(VALU_DEP_3) | instskip(SKIP_1) | instid1(VALU_DEP_4)
	v_lshrrev_b32_e32 v45, v43, v42
	v_add_nc_u32_e32 v43, v43, v40
	v_and_b32_e32 v42, v44, v42
	s_delay_alu instid0(VALU_DEP_3) | instskip(NEXT) | instid1(VALU_DEP_2)
	v_bfe_u32 v46, v45, 20, 1
	v_cmp_eq_u32_e64 s13, v42, v47
	s_delay_alu instid0(VALU_DEP_2) | instskip(NEXT) | instid1(VALU_DEP_1)
	v_add_nc_u32_e32 v44, -1, v46
	v_cndmask_b32_e64 v42, 0, v44, s13
	v_lshrrev_b32_e32 v44, 23, v45
	s_mov_b32 s13, exec_lo
	s_delay_alu instid0(VALU_DEP_2) | instskip(NEXT) | instid1(VALU_DEP_2)
	v_add_nc_u32_e32 v42, v42, v45
	v_xor_b32_e32 v44, 1, v44
	s_delay_alu instid0(VALU_DEP_2) | instskip(NEXT) | instid1(VALU_DEP_1)
	v_and_b32_e32 v40, 0xfffff, v42
	v_add_nc_u32_e32 v42, v40, v45
                                        ; implicit-def: $vgpr40
	s_delay_alu instid0(VALU_DEP_3)
	v_cmpx_ne_u32_e64 v43, v44
	s_xor_b32 s13, exec_lo, s13
; %bb.5758:                             ;   in Loop: Header=BB6_5734 Depth=3
	s_delay_alu instid0(VALU_DEP_2) | instskip(SKIP_2) | instid1(VALU_DEP_2)
	v_cmp_lt_u32_e32 vcc_lo, 0xffffff, v42
	v_sub_nc_u32_e32 v40, v43, v44
	v_cndmask_b32_e64 v43, 0, 1, vcc_lo
	v_add_co_ci_u32_e32 v40, vcc_lo, 0, v40, vcc_lo
	s_delay_alu instid0(VALU_DEP_2)
	v_lshrrev_b32_e32 v42, v43, v42
; %bb.5759:                             ;   in Loop: Header=BB6_5734 Depth=3
	s_and_not1_saveexec_b32 s13, s13
; %bb.5760:                             ;   in Loop: Header=BB6_5734 Depth=3
	s_delay_alu instid0(VALU_DEP_1)
	v_bfe_u32 v40, v42, 23, 1
; %bb.5761:                             ;   in Loop: Header=BB6_5734 Depth=3
	s_or_b32 exec_lo, exec_lo, s13
	v_lshrrev_b32_e32 v42, 20, v42
	s_delay_alu instid0(VALU_DEP_2) | instskip(SKIP_2) | instid1(VALU_DEP_2)
	v_cmp_gt_i32_e32 vcc_lo, 16, v40
	v_lshrrev_b32_e32 v41, 24, v41
	v_min_i32_e32 v43, 15, v40
	v_dual_cndmask_b32 v42, 7, v42 :: v_dual_and_b32 v41, 0x80, v41
	s_delay_alu instid0(VALU_DEP_1) | instskip(SKIP_1) | instid1(VALU_DEP_2)
	v_or_b32_e32 v40, v40, v42
	v_and_b32_e32 v44, 7, v42
	v_cmp_ne_u32_e32 vcc_lo, 0, v40
	v_lshlrev_b32_e32 v43, 3, v43
	s_delay_alu instid0(VALU_DEP_1) | instskip(NEXT) | instid1(VALU_DEP_1)
	v_or3_b32 v41, v43, v41, v44
	v_cndmask_b32_e32 v40, 0, v41, vcc_lo
.LBB6_5762:                             ;   in Loop: Header=BB6_5734 Depth=3
	s_or_b32 exec_lo, exec_lo, s31
.LBB6_5763:                             ;   in Loop: Header=BB6_5734 Depth=3
	s_delay_alu instid0(SALU_CYCLE_1) | instskip(SKIP_4) | instid1(VALU_DEP_2)
	s_or_b32 exec_lo, exec_lo, s17
	v_lshrrev_b16 v42, 8, v48
	s_waitcnt vmcnt(3)
	v_lshrrev_b16 v41, 8, v36
	s_and_b32 vcc_lo, exec_lo, s16
	v_cmp_lt_i16_e64 s13, 0x7f, v42
	s_cbranch_vccz .LBB6_5773
; %bb.5764:                             ;   in Loop: Header=BB6_5734 Depth=3
	s_mov_b32 s17, 0
                                        ; implicit-def: $sgpr31
	s_delay_alu instid0(VALU_DEP_1) | instskip(NEXT) | instid1(SALU_CYCLE_1)
	s_and_saveexec_b32 vcc_lo, s13
	s_xor_b32 s13, exec_lo, vcc_lo
	s_cbranch_execnz .LBB6_7604
; %bb.5765:                             ;   in Loop: Header=BB6_5734 Depth=3
	s_or_saveexec_b32 s13, s13
	v_mov_b32_e32 v43, s31
	s_xor_b32 exec_lo, exec_lo, s13
	s_cbranch_execnz .LBB6_7607
.LBB6_5766:                             ;   in Loop: Header=BB6_5734 Depth=3
	s_or_b32 exec_lo, exec_lo, s13
	s_and_saveexec_b32 s13, s17
	s_cbranch_execz .LBB6_5768
.LBB6_5767:                             ;   in Loop: Header=BB6_5734 Depth=3
	v_and_b32_e32 v43, 0xffff, v42
	s_delay_alu instid0(VALU_DEP_1) | instskip(NEXT) | instid1(VALU_DEP_1)
	v_and_b32_e32 v44, 7, v43
	v_clz_i32_u32_e32 v45, v44
	s_delay_alu instid0(VALU_DEP_1) | instskip(NEXT) | instid1(VALU_DEP_1)
	v_min_u32_e32 v45, 32, v45
	v_subrev_nc_u32_e32 v46, 28, v45
	v_sub_nc_u32_e32 v45, 29, v45
	s_delay_alu instid0(VALU_DEP_2) | instskip(SKIP_1) | instid1(VALU_DEP_2)
	v_lshlrev_b32_e32 v46, v46, v43
	v_bfe_u32 v43, v43, 3, 4
	v_and_b32_e32 v46, 7, v46
	s_delay_alu instid0(VALU_DEP_2) | instskip(SKIP_1) | instid1(VALU_DEP_3)
	v_cmp_eq_u32_e32 vcc_lo, 0, v43
	v_cndmask_b32_e32 v43, v43, v45, vcc_lo
	v_dual_cndmask_b32 v44, v44, v46 :: v_dual_lshlrev_b32 v47, 16, v48
	s_delay_alu instid0(VALU_DEP_2) | instskip(NEXT) | instid1(VALU_DEP_2)
	v_lshl_add_u32 v43, v43, 23, 0x3b800000
	v_and_b32_e32 v45, 0x80000000, v47
	s_delay_alu instid0(VALU_DEP_3) | instskip(NEXT) | instid1(VALU_DEP_1)
	v_lshlrev_b32_e32 v44, 20, v44
	v_or3_b32 v43, v45, v43, v44
.LBB6_5768:                             ;   in Loop: Header=BB6_5734 Depth=3
	s_or_b32 exec_lo, exec_lo, s13
	s_mov_b32 s13, 0
	s_mov_b32 s31, exec_lo
                                        ; implicit-def: $sgpr17
	v_cmpx_lt_i16_e32 0x7f, v41
	s_xor_b32 s31, exec_lo, s31
	s_cbranch_execnz .LBB6_7608
; %bb.5769:                             ;   in Loop: Header=BB6_5734 Depth=3
	s_or_saveexec_b32 s31, s31
	v_mov_b32_e32 v44, s17
	s_xor_b32 exec_lo, exec_lo, s31
	s_cbranch_execnz .LBB6_7611
.LBB6_5770:                             ;   in Loop: Header=BB6_5734 Depth=3
	s_or_b32 exec_lo, exec_lo, s31
	s_and_saveexec_b32 s17, s13
	s_cbranch_execz .LBB6_5772
.LBB6_5771:                             ;   in Loop: Header=BB6_5734 Depth=3
	v_and_b32_e32 v44, 0xffff, v41
	v_lshlrev_b32_e32 v56, 16, v36
	s_delay_alu instid0(VALU_DEP_2) | instskip(NEXT) | instid1(VALU_DEP_1)
	v_and_b32_e32 v45, 7, v44
	v_clz_i32_u32_e32 v46, v45
	s_delay_alu instid0(VALU_DEP_1) | instskip(NEXT) | instid1(VALU_DEP_1)
	v_min_u32_e32 v46, 32, v46
	v_subrev_nc_u32_e32 v47, 28, v46
	v_sub_nc_u32_e32 v46, 29, v46
	s_delay_alu instid0(VALU_DEP_2) | instskip(SKIP_1) | instid1(VALU_DEP_2)
	v_lshlrev_b32_e32 v47, v47, v44
	v_bfe_u32 v44, v44, 3, 4
	v_and_b32_e32 v47, 7, v47
	s_delay_alu instid0(VALU_DEP_2) | instskip(NEXT) | instid1(VALU_DEP_2)
	v_cmp_eq_u32_e32 vcc_lo, 0, v44
	v_dual_cndmask_b32 v44, v44, v46 :: v_dual_cndmask_b32 v45, v45, v47
	v_and_b32_e32 v46, 0x80000000, v56
	s_delay_alu instid0(VALU_DEP_2) | instskip(NEXT) | instid1(VALU_DEP_3)
	v_lshl_add_u32 v44, v44, 23, 0x3b800000
	v_lshlrev_b32_e32 v45, 20, v45
	s_delay_alu instid0(VALU_DEP_1)
	v_or3_b32 v44, v46, v44, v45
.LBB6_5772:                             ;   in Loop: Header=BB6_5734 Depth=3
	s_or_b32 exec_lo, exec_lo, s17
	s_delay_alu instid0(VALU_DEP_1) | instskip(SKIP_1) | instid1(VALU_DEP_1)
	v_dual_max_f32 v44, v44, v44 :: v_dual_max_f32 v43, v43, v43
	s_mov_b32 s13, 0
	v_max_f32_e32 v43, v43, v44
	s_branch .LBB6_5774
.LBB6_5773:                             ;   in Loop: Header=BB6_5734 Depth=3
	s_mov_b32 s13, -1
                                        ; implicit-def: $vgpr43
.LBB6_5774:                             ;   in Loop: Header=BB6_5734 Depth=3
	s_delay_alu instid0(SALU_CYCLE_1)
	s_and_b32 vcc_lo, exec_lo, s13
	s_cbranch_vccz .LBB6_5784
; %bb.5775:                             ;   in Loop: Header=BB6_5734 Depth=3
	s_mov_b32 s13, 0
	s_mov_b32 s31, exec_lo
                                        ; implicit-def: $sgpr17
	v_cmpx_lt_i16_e32 0x7f, v42
	s_xor_b32 s31, exec_lo, s31
	s_cbranch_execnz .LBB6_7612
; %bb.5776:                             ;   in Loop: Header=BB6_5734 Depth=3
	s_or_saveexec_b32 s31, s31
	v_mov_b32_e32 v43, s17
	s_xor_b32 exec_lo, exec_lo, s31
	s_cbranch_execnz .LBB6_7615
.LBB6_5777:                             ;   in Loop: Header=BB6_5734 Depth=3
	s_or_b32 exec_lo, exec_lo, s31
	s_and_saveexec_b32 s17, s13
	s_cbranch_execz .LBB6_5779
.LBB6_5778:                             ;   in Loop: Header=BB6_5734 Depth=3
	v_and_b32_e32 v42, 0xffff, v42
	v_lshlrev_b32_e32 v46, 16, v48
	s_delay_alu instid0(VALU_DEP_2) | instskip(NEXT) | instid1(VALU_DEP_1)
	v_and_b32_e32 v43, 7, v42
	v_clz_i32_u32_e32 v44, v43
	s_delay_alu instid0(VALU_DEP_1) | instskip(NEXT) | instid1(VALU_DEP_1)
	v_min_u32_e32 v44, 32, v44
	v_subrev_nc_u32_e32 v45, 28, v44
	v_sub_nc_u32_e32 v44, 29, v44
	s_delay_alu instid0(VALU_DEP_2) | instskip(SKIP_1) | instid1(VALU_DEP_2)
	v_lshlrev_b32_e32 v45, v45, v42
	v_bfe_u32 v42, v42, 3, 4
	v_and_b32_e32 v45, 7, v45
	s_delay_alu instid0(VALU_DEP_2) | instskip(NEXT) | instid1(VALU_DEP_2)
	v_cmp_eq_u32_e32 vcc_lo, 0, v42
	v_dual_cndmask_b32 v42, v42, v44 :: v_dual_cndmask_b32 v43, v43, v45
	v_and_b32_e32 v44, 0x80000000, v46
	s_delay_alu instid0(VALU_DEP_2) | instskip(NEXT) | instid1(VALU_DEP_3)
	v_lshl_add_u32 v42, v42, 23, 0x3b800000
	v_lshlrev_b32_e32 v43, 20, v43
	s_delay_alu instid0(VALU_DEP_1)
	v_or3_b32 v43, v44, v42, v43
.LBB6_5779:                             ;   in Loop: Header=BB6_5734 Depth=3
	s_or_b32 exec_lo, exec_lo, s17
	s_mov_b32 s13, 0
	s_mov_b32 s31, exec_lo
                                        ; implicit-def: $sgpr17
	v_cmpx_lt_i16_e32 0x7f, v41
	s_xor_b32 s31, exec_lo, s31
	s_cbranch_execnz .LBB6_7616
; %bb.5780:                             ;   in Loop: Header=BB6_5734 Depth=3
	s_or_saveexec_b32 s31, s31
	v_mov_b32_e32 v42, s17
	s_xor_b32 exec_lo, exec_lo, s31
	s_cbranch_execnz .LBB6_7619
.LBB6_5781:                             ;   in Loop: Header=BB6_5734 Depth=3
	s_or_b32 exec_lo, exec_lo, s31
	s_and_saveexec_b32 s17, s13
	s_cbranch_execz .LBB6_5783
.LBB6_5782:                             ;   in Loop: Header=BB6_5734 Depth=3
	v_and_b32_e32 v41, 0xffff, v41
	v_lshlrev_b32_e32 v46, 16, v36
	s_delay_alu instid0(VALU_DEP_2) | instskip(NEXT) | instid1(VALU_DEP_1)
	v_and_b32_e32 v42, 7, v41
	v_clz_i32_u32_e32 v44, v42
	s_delay_alu instid0(VALU_DEP_1) | instskip(NEXT) | instid1(VALU_DEP_1)
	v_min_u32_e32 v44, 32, v44
	v_subrev_nc_u32_e32 v45, 28, v44
	v_sub_nc_u32_e32 v44, 29, v44
	s_delay_alu instid0(VALU_DEP_2) | instskip(SKIP_1) | instid1(VALU_DEP_2)
	v_lshlrev_b32_e32 v45, v45, v41
	v_bfe_u32 v41, v41, 3, 4
	v_and_b32_e32 v45, 7, v45
	s_delay_alu instid0(VALU_DEP_2) | instskip(NEXT) | instid1(VALU_DEP_2)
	v_cmp_eq_u32_e32 vcc_lo, 0, v41
	v_dual_cndmask_b32 v41, v41, v44 :: v_dual_cndmask_b32 v42, v42, v45
	v_and_b32_e32 v44, 0x80000000, v46
	s_delay_alu instid0(VALU_DEP_2) | instskip(NEXT) | instid1(VALU_DEP_3)
	v_lshl_add_u32 v41, v41, 23, 0x3b800000
	v_lshlrev_b32_e32 v42, 20, v42
	s_delay_alu instid0(VALU_DEP_1)
	v_or3_b32 v42, v44, v41, v42
.LBB6_5783:                             ;   in Loop: Header=BB6_5734 Depth=3
	s_or_b32 exec_lo, exec_lo, s17
	s_delay_alu instid0(VALU_DEP_1) | instskip(NEXT) | instid1(VALU_DEP_1)
	v_dual_max_f32 v41, v42, v42 :: v_dual_max_f32 v42, v43, v43
	v_min_f32_e32 v43, v42, v41
.LBB6_5784:                             ;   in Loop: Header=BB6_5734 Depth=3
	s_delay_alu instid0(VALU_DEP_1) | instskip(NEXT) | instid1(VALU_DEP_1)
	v_and_b32_e32 v41, 0x7f800000, v43
	v_cmp_ne_u32_e32 vcc_lo, 0x7f800000, v41
	v_mov_b32_e32 v41, 0x80
	s_and_saveexec_b32 s17, vcc_lo
	s_cbranch_execz .LBB6_5792
; %bb.5785:                             ;   in Loop: Header=BB6_5734 Depth=3
	v_mov_b32_e32 v41, 0
	s_mov_b32 s31, exec_lo
	v_cmpx_ne_u32_e32 0, v43
	s_cbranch_execz .LBB6_5791
; %bb.5786:                             ;   in Loop: Header=BB6_5734 Depth=3
	v_bfe_u32 v41, v43, 23, 8
	v_and_b32_e32 v42, 0x7fffff, v43
	s_delay_alu instid0(VALU_DEP_2) | instskip(SKIP_1) | instid1(VALU_DEP_3)
	v_sub_nc_u32_e32 v44, 0x78, v41
	v_cmp_gt_u32_e32 vcc_lo, 0x79, v41
	v_or_b32_e32 v45, 0x800000, v42
	s_delay_alu instid0(VALU_DEP_3) | instskip(SKIP_2) | instid1(VALU_DEP_3)
	v_cndmask_b32_e32 v44, 0, v44, vcc_lo
	v_cmp_eq_u32_e32 vcc_lo, 0, v41
	v_add_nc_u32_e32 v41, 0xffffff89, v41
	v_cndmask_b32_e64 v44, v44, 0x77, vcc_lo
	v_cndmask_b32_e32 v42, v45, v42, vcc_lo
	s_delay_alu instid0(VALU_DEP_3) | instskip(NEXT) | instid1(VALU_DEP_3)
	v_cndmask_b32_e64 v41, v41, 0xffffff8a, vcc_lo
	v_lshl_add_u32 v45, 0x100000, v44, -1
	s_delay_alu instid0(VALU_DEP_3) | instskip(SKIP_1) | instid1(VALU_DEP_4)
	v_lshrrev_b32_e32 v46, v44, v42
	v_lshlrev_b32_e64 v56, v44, 0x80000
	v_add_nc_u32_e32 v44, v44, v41
	s_delay_alu instid0(VALU_DEP_4) | instskip(NEXT) | instid1(VALU_DEP_4)
	v_and_b32_e32 v42, v45, v42
	v_bfe_u32 v47, v46, 20, 1
	s_delay_alu instid0(VALU_DEP_2) | instskip(NEXT) | instid1(VALU_DEP_2)
	v_cmp_eq_u32_e64 s13, v42, v56
	v_add_nc_u32_e32 v45, -1, v47
	s_delay_alu instid0(VALU_DEP_1) | instskip(SKIP_2) | instid1(VALU_DEP_2)
	v_cndmask_b32_e64 v42, 0, v45, s13
	v_lshrrev_b32_e32 v45, 23, v46
	s_mov_b32 s13, exec_lo
	v_add_nc_u32_e32 v42, v42, v46
	s_delay_alu instid0(VALU_DEP_2) | instskip(NEXT) | instid1(VALU_DEP_2)
	v_xor_b32_e32 v45, 1, v45
	v_and_b32_e32 v41, 0xfffff, v42
	s_delay_alu instid0(VALU_DEP_1) | instskip(NEXT) | instid1(VALU_DEP_3)
	v_add_nc_u32_e32 v42, v41, v46
                                        ; implicit-def: $vgpr41
	v_cmpx_ne_u32_e64 v44, v45
	s_xor_b32 s13, exec_lo, s13
; %bb.5787:                             ;   in Loop: Header=BB6_5734 Depth=3
	s_delay_alu instid0(VALU_DEP_2) | instskip(SKIP_2) | instid1(VALU_DEP_2)
	v_cmp_lt_u32_e32 vcc_lo, 0xffffff, v42
	v_sub_nc_u32_e32 v41, v44, v45
	v_cndmask_b32_e64 v44, 0, 1, vcc_lo
	v_add_co_ci_u32_e32 v41, vcc_lo, 0, v41, vcc_lo
	s_delay_alu instid0(VALU_DEP_2)
	v_lshrrev_b32_e32 v42, v44, v42
; %bb.5788:                             ;   in Loop: Header=BB6_5734 Depth=3
	s_and_not1_saveexec_b32 s13, s13
; %bb.5789:                             ;   in Loop: Header=BB6_5734 Depth=3
	s_delay_alu instid0(VALU_DEP_1)
	v_bfe_u32 v41, v42, 23, 1
; %bb.5790:                             ;   in Loop: Header=BB6_5734 Depth=3
	s_or_b32 exec_lo, exec_lo, s13
	v_lshrrev_b32_e32 v42, 20, v42
	s_delay_alu instid0(VALU_DEP_2) | instskip(SKIP_2) | instid1(VALU_DEP_2)
	v_cmp_gt_i32_e32 vcc_lo, 16, v41
	v_lshrrev_b32_e32 v43, 24, v43
	v_min_i32_e32 v44, 15, v41
	v_dual_cndmask_b32 v42, 7, v42 :: v_dual_and_b32 v43, 0x80, v43
	s_delay_alu instid0(VALU_DEP_1) | instskip(SKIP_1) | instid1(VALU_DEP_2)
	v_or_b32_e32 v41, v41, v42
	v_and_b32_e32 v45, 7, v42
	v_cmp_ne_u32_e32 vcc_lo, 0, v41
	v_lshlrev_b32_e32 v44, 3, v44
	s_delay_alu instid0(VALU_DEP_1) | instskip(NEXT) | instid1(VALU_DEP_1)
	v_or3_b32 v42, v44, v43, v45
	v_cndmask_b32_e32 v41, 0, v42, vcc_lo
.LBB6_5791:                             ;   in Loop: Header=BB6_5734 Depth=3
	s_or_b32 exec_lo, exec_lo, s31
.LBB6_5792:                             ;   in Loop: Header=BB6_5734 Depth=3
	s_delay_alu instid0(SALU_CYCLE_1) | instskip(SKIP_3) | instid1(VALU_DEP_2)
	s_or_b32 exec_lo, exec_lo, s17
	v_lshrrev_b32_e32 v43, 16, v48
	v_lshrrev_b32_e32 v42, 16, v36
	s_and_b32 vcc_lo, exec_lo, s16
	v_and_b32_e32 v44, 0xff, v43
	s_delay_alu instid0(VALU_DEP_1)
	v_cmp_lt_i16_e64 s13, 0x7f, v44
	s_cbranch_vccz .LBB6_5802
; %bb.5793:                             ;   in Loop: Header=BB6_5734 Depth=3
	s_mov_b32 s17, 0
                                        ; implicit-def: $sgpr31
	s_delay_alu instid0(VALU_DEP_1) | instskip(NEXT) | instid1(SALU_CYCLE_1)
	s_and_saveexec_b32 vcc_lo, s13
	s_xor_b32 s13, exec_lo, vcc_lo
	s_cbranch_execnz .LBB6_7620
; %bb.5794:                             ;   in Loop: Header=BB6_5734 Depth=3
	s_or_saveexec_b32 s13, s13
	v_mov_b32_e32 v45, s31
	s_xor_b32 exec_lo, exec_lo, s13
	s_cbranch_execnz .LBB6_7623
.LBB6_5795:                             ;   in Loop: Header=BB6_5734 Depth=3
	s_or_b32 exec_lo, exec_lo, s13
	s_and_saveexec_b32 s13, s17
	s_cbranch_execz .LBB6_5797
.LBB6_5796:                             ;   in Loop: Header=BB6_5734 Depth=3
	v_bfe_u32 v45, v48, 16, 3
	v_bfe_u32 v56, v48, 19, 4
	v_lshlrev_b32_e32 v57, 24, v43
	s_delay_alu instid0(VALU_DEP_3) | instskip(NEXT) | instid1(VALU_DEP_3)
	v_clz_i32_u32_e32 v46, v45
	v_cmp_eq_u32_e32 vcc_lo, 0, v56
	s_delay_alu instid0(VALU_DEP_2) | instskip(NEXT) | instid1(VALU_DEP_1)
	v_min_u32_e32 v46, 32, v46
	v_subrev_nc_u32_e32 v47, 28, v46
	v_sub_nc_u32_e32 v46, 29, v46
	s_delay_alu instid0(VALU_DEP_1) | instskip(NEXT) | instid1(VALU_DEP_1)
	v_dual_cndmask_b32 v46, v56, v46 :: v_dual_lshlrev_b32 v47, v47, v43
	v_and_b32_e32 v47, 7, v47
	s_delay_alu instid0(VALU_DEP_2) | instskip(NEXT) | instid1(VALU_DEP_2)
	v_lshl_add_u32 v46, v46, 23, 0x3b800000
	v_cndmask_b32_e32 v45, v45, v47, vcc_lo
	v_and_b32_e32 v47, 0x80000000, v57
	s_delay_alu instid0(VALU_DEP_2) | instskip(NEXT) | instid1(VALU_DEP_1)
	v_lshlrev_b32_e32 v45, 20, v45
	v_or3_b32 v45, v47, v46, v45
.LBB6_5797:                             ;   in Loop: Header=BB6_5734 Depth=3
	s_or_b32 exec_lo, exec_lo, s13
	v_and_b32_e32 v47, 0xff, v42
	s_mov_b32 s13, 0
	s_mov_b32 s31, exec_lo
                                        ; implicit-def: $sgpr17
	s_delay_alu instid0(VALU_DEP_1)
	v_cmpx_lt_i16_e32 0x7f, v47
	s_xor_b32 s31, exec_lo, s31
	s_cbranch_execnz .LBB6_7624
; %bb.5798:                             ;   in Loop: Header=BB6_5734 Depth=3
	s_or_saveexec_b32 s31, s31
	v_mov_b32_e32 v46, s17
	s_xor_b32 exec_lo, exec_lo, s31
	s_cbranch_execnz .LBB6_7627
.LBB6_5799:                             ;   in Loop: Header=BB6_5734 Depth=3
	s_or_b32 exec_lo, exec_lo, s31
	s_and_saveexec_b32 s17, s13
	s_cbranch_execz .LBB6_5801
.LBB6_5800:                             ;   in Loop: Header=BB6_5734 Depth=3
	v_bfe_u32 v46, v36, 16, 3
	v_bfe_u32 v57, v36, 19, 4
	v_lshlrev_b32_e32 v58, 24, v42
	s_delay_alu instid0(VALU_DEP_3) | instskip(NEXT) | instid1(VALU_DEP_3)
	v_clz_i32_u32_e32 v47, v46
	v_cmp_eq_u32_e32 vcc_lo, 0, v57
	s_delay_alu instid0(VALU_DEP_2) | instskip(NEXT) | instid1(VALU_DEP_1)
	v_min_u32_e32 v47, 32, v47
	v_subrev_nc_u32_e32 v56, 28, v47
	v_sub_nc_u32_e32 v47, 29, v47
	s_delay_alu instid0(VALU_DEP_1) | instskip(NEXT) | instid1(VALU_DEP_1)
	v_dual_cndmask_b32 v47, v57, v47 :: v_dual_lshlrev_b32 v56, v56, v42
	v_and_b32_e32 v56, 7, v56
	s_delay_alu instid0(VALU_DEP_2) | instskip(NEXT) | instid1(VALU_DEP_2)
	v_lshl_add_u32 v47, v47, 23, 0x3b800000
	v_cndmask_b32_e32 v46, v46, v56, vcc_lo
	v_and_b32_e32 v56, 0x80000000, v58
	s_delay_alu instid0(VALU_DEP_2) | instskip(NEXT) | instid1(VALU_DEP_1)
	v_lshlrev_b32_e32 v46, 20, v46
	v_or3_b32 v46, v56, v47, v46
.LBB6_5801:                             ;   in Loop: Header=BB6_5734 Depth=3
	s_or_b32 exec_lo, exec_lo, s17
	s_delay_alu instid0(VALU_DEP_1) | instskip(SKIP_1) | instid1(VALU_DEP_1)
	v_dual_max_f32 v46, v46, v46 :: v_dual_max_f32 v45, v45, v45
	s_mov_b32 s13, 0
	v_max_f32_e32 v45, v45, v46
	s_branch .LBB6_5803
.LBB6_5802:                             ;   in Loop: Header=BB6_5734 Depth=3
	s_mov_b32 s13, -1
                                        ; implicit-def: $vgpr45
.LBB6_5803:                             ;   in Loop: Header=BB6_5734 Depth=3
	s_delay_alu instid0(SALU_CYCLE_1)
	s_and_b32 vcc_lo, exec_lo, s13
	s_cbranch_vccz .LBB6_5813
; %bb.5804:                             ;   in Loop: Header=BB6_5734 Depth=3
	s_mov_b32 s13, 0
	s_mov_b32 s31, exec_lo
                                        ; implicit-def: $sgpr17
	v_cmpx_lt_i16_e32 0x7f, v44
	s_xor_b32 s31, exec_lo, s31
	s_cbranch_execnz .LBB6_7628
; %bb.5805:                             ;   in Loop: Header=BB6_5734 Depth=3
	s_or_saveexec_b32 s31, s31
	v_mov_b32_e32 v45, s17
	s_xor_b32 exec_lo, exec_lo, s31
	s_cbranch_execnz .LBB6_7631
.LBB6_5806:                             ;   in Loop: Header=BB6_5734 Depth=3
	s_or_b32 exec_lo, exec_lo, s31
	s_and_saveexec_b32 s17, s13
	s_cbranch_execz .LBB6_5808
.LBB6_5807:                             ;   in Loop: Header=BB6_5734 Depth=3
	v_bfe_u32 v44, v48, 16, 3
	v_bfe_u32 v47, v48, 19, 4
	s_delay_alu instid0(VALU_DEP_2) | instskip(NEXT) | instid1(VALU_DEP_2)
	v_clz_i32_u32_e32 v45, v44
	v_cmp_eq_u32_e32 vcc_lo, 0, v47
	s_delay_alu instid0(VALU_DEP_2) | instskip(NEXT) | instid1(VALU_DEP_1)
	v_min_u32_e32 v45, 32, v45
	v_subrev_nc_u32_e32 v46, 28, v45
	v_sub_nc_u32_e32 v45, 29, v45
	s_delay_alu instid0(VALU_DEP_1) | instskip(NEXT) | instid1(VALU_DEP_1)
	v_dual_cndmask_b32 v45, v47, v45 :: v_dual_lshlrev_b32 v46, v46, v43
	v_and_b32_e32 v46, 7, v46
	v_lshlrev_b32_e32 v43, 24, v43
	s_delay_alu instid0(VALU_DEP_3) | instskip(NEXT) | instid1(VALU_DEP_2)
	v_lshl_add_u32 v45, v45, 23, 0x3b800000
	v_dual_cndmask_b32 v44, v44, v46 :: v_dual_and_b32 v43, 0x80000000, v43
	s_delay_alu instid0(VALU_DEP_1) | instskip(NEXT) | instid1(VALU_DEP_1)
	v_lshlrev_b32_e32 v44, 20, v44
	v_or3_b32 v45, v43, v45, v44
.LBB6_5808:                             ;   in Loop: Header=BB6_5734 Depth=3
	s_or_b32 exec_lo, exec_lo, s17
	v_and_b32_e32 v44, 0xff, v42
	s_mov_b32 s13, 0
	s_mov_b32 s31, exec_lo
                                        ; implicit-def: $sgpr17
	s_delay_alu instid0(VALU_DEP_1)
	v_cmpx_lt_i16_e32 0x7f, v44
	s_xor_b32 s31, exec_lo, s31
	s_cbranch_execnz .LBB6_7632
; %bb.5809:                             ;   in Loop: Header=BB6_5734 Depth=3
	s_or_saveexec_b32 s31, s31
	v_mov_b32_e32 v43, s17
	s_xor_b32 exec_lo, exec_lo, s31
	s_cbranch_execnz .LBB6_7635
.LBB6_5810:                             ;   in Loop: Header=BB6_5734 Depth=3
	s_or_b32 exec_lo, exec_lo, s31
	s_and_saveexec_b32 s17, s13
	s_cbranch_execz .LBB6_5812
.LBB6_5811:                             ;   in Loop: Header=BB6_5734 Depth=3
	v_bfe_u32 v43, v36, 16, 3
	v_bfe_u32 v47, v36, 19, 4
	s_delay_alu instid0(VALU_DEP_2) | instskip(NEXT) | instid1(VALU_DEP_2)
	v_clz_i32_u32_e32 v44, v43
	v_cmp_eq_u32_e32 vcc_lo, 0, v47
	s_delay_alu instid0(VALU_DEP_2) | instskip(NEXT) | instid1(VALU_DEP_1)
	v_min_u32_e32 v44, 32, v44
	v_subrev_nc_u32_e32 v46, 28, v44
	v_sub_nc_u32_e32 v44, 29, v44
	s_delay_alu instid0(VALU_DEP_2) | instskip(SKIP_1) | instid1(VALU_DEP_2)
	v_lshlrev_b32_e32 v46, v46, v42
	v_lshlrev_b32_e32 v42, 24, v42
	v_and_b32_e32 v46, 7, v46
	s_delay_alu instid0(VALU_DEP_2) | instskip(NEXT) | instid1(VALU_DEP_2)
	v_and_b32_e32 v42, 0x80000000, v42
	v_cndmask_b32_e32 v43, v43, v46, vcc_lo
	s_delay_alu instid0(VALU_DEP_1) | instskip(NEXT) | instid1(VALU_DEP_1)
	v_dual_cndmask_b32 v44, v47, v44 :: v_dual_lshlrev_b32 v43, 20, v43
	v_lshl_add_u32 v44, v44, 23, 0x3b800000
	s_delay_alu instid0(VALU_DEP_1)
	v_or3_b32 v43, v42, v44, v43
.LBB6_5812:                             ;   in Loop: Header=BB6_5734 Depth=3
	s_or_b32 exec_lo, exec_lo, s17
	s_delay_alu instid0(VALU_DEP_1) | instskip(NEXT) | instid1(VALU_DEP_1)
	v_dual_max_f32 v42, v43, v43 :: v_dual_max_f32 v43, v45, v45
	v_min_f32_e32 v45, v43, v42
.LBB6_5813:                             ;   in Loop: Header=BB6_5734 Depth=3
	s_delay_alu instid0(VALU_DEP_1) | instskip(NEXT) | instid1(VALU_DEP_1)
	v_and_b32_e32 v42, 0x7f800000, v45
	v_cmp_ne_u32_e32 vcc_lo, 0x7f800000, v42
	v_mov_b32_e32 v42, 0x80
	s_and_saveexec_b32 s17, vcc_lo
	s_cbranch_execz .LBB6_5821
; %bb.5814:                             ;   in Loop: Header=BB6_5734 Depth=3
	v_mov_b32_e32 v42, 0
	s_mov_b32 s31, exec_lo
	v_cmpx_ne_u32_e32 0, v45
	s_cbranch_execz .LBB6_5820
; %bb.5815:                             ;   in Loop: Header=BB6_5734 Depth=3
	v_bfe_u32 v42, v45, 23, 8
	s_delay_alu instid0(VALU_DEP_1) | instskip(SKIP_1) | instid1(VALU_DEP_2)
	v_sub_nc_u32_e32 v44, 0x78, v42
	v_cmp_gt_u32_e32 vcc_lo, 0x79, v42
	v_dual_cndmask_b32 v44, 0, v44 :: v_dual_and_b32 v43, 0x7fffff, v45
	s_delay_alu instid0(VALU_DEP_1) | instskip(SKIP_2) | instid1(VALU_DEP_4)
	v_or_b32_e32 v46, 0x800000, v43
	v_cmp_eq_u32_e32 vcc_lo, 0, v42
	v_add_nc_u32_e32 v42, 0xffffff89, v42
	v_cndmask_b32_e64 v44, v44, 0x77, vcc_lo
	s_delay_alu instid0(VALU_DEP_4) | instskip(NEXT) | instid1(VALU_DEP_3)
	v_cndmask_b32_e32 v43, v46, v43, vcc_lo
	v_cndmask_b32_e64 v42, v42, 0xffffff8a, vcc_lo
	s_delay_alu instid0(VALU_DEP_3) | instskip(NEXT) | instid1(VALU_DEP_3)
	v_lshl_add_u32 v46, 0x100000, v44, -1
	v_lshrrev_b32_e32 v47, v44, v43
	v_lshlrev_b32_e64 v57, v44, 0x80000
	s_delay_alu instid0(VALU_DEP_4) | instskip(NEXT) | instid1(VALU_DEP_4)
	v_add_nc_u32_e32 v44, v44, v42
	v_and_b32_e32 v43, v46, v43
	s_delay_alu instid0(VALU_DEP_4) | instskip(NEXT) | instid1(VALU_DEP_2)
	v_bfe_u32 v56, v47, 20, 1
	v_cmp_eq_u32_e64 s13, v43, v57
	s_delay_alu instid0(VALU_DEP_2) | instskip(NEXT) | instid1(VALU_DEP_1)
	v_add_nc_u32_e32 v46, -1, v56
	v_cndmask_b32_e64 v43, 0, v46, s13
	v_lshrrev_b32_e32 v46, 23, v47
	s_mov_b32 s13, exec_lo
	s_delay_alu instid0(VALU_DEP_2) | instskip(NEXT) | instid1(VALU_DEP_2)
	v_add_nc_u32_e32 v43, v43, v47
	v_xor_b32_e32 v46, 1, v46
	s_delay_alu instid0(VALU_DEP_2) | instskip(NEXT) | instid1(VALU_DEP_1)
	v_and_b32_e32 v42, 0xfffff, v43
	v_add_nc_u32_e32 v43, v42, v47
                                        ; implicit-def: $vgpr42
	s_delay_alu instid0(VALU_DEP_3)
	v_cmpx_ne_u32_e64 v44, v46
	s_xor_b32 s13, exec_lo, s13
; %bb.5816:                             ;   in Loop: Header=BB6_5734 Depth=3
	s_delay_alu instid0(VALU_DEP_2) | instskip(SKIP_2) | instid1(VALU_DEP_2)
	v_cmp_lt_u32_e32 vcc_lo, 0xffffff, v43
	v_sub_nc_u32_e32 v42, v44, v46
	v_cndmask_b32_e64 v44, 0, 1, vcc_lo
	v_add_co_ci_u32_e32 v42, vcc_lo, 0, v42, vcc_lo
	s_delay_alu instid0(VALU_DEP_2)
	v_lshrrev_b32_e32 v43, v44, v43
; %bb.5817:                             ;   in Loop: Header=BB6_5734 Depth=3
	s_and_not1_saveexec_b32 s13, s13
; %bb.5818:                             ;   in Loop: Header=BB6_5734 Depth=3
	s_delay_alu instid0(VALU_DEP_1)
	v_bfe_u32 v42, v43, 23, 1
; %bb.5819:                             ;   in Loop: Header=BB6_5734 Depth=3
	s_or_b32 exec_lo, exec_lo, s13
	v_lshrrev_b32_e32 v43, 20, v43
	s_delay_alu instid0(VALU_DEP_2) | instskip(SKIP_2) | instid1(VALU_DEP_2)
	v_cmp_gt_i32_e32 vcc_lo, 16, v42
	v_lshrrev_b32_e32 v44, 24, v45
	v_min_i32_e32 v45, 15, v42
	v_dual_cndmask_b32 v43, 7, v43 :: v_dual_and_b32 v44, 0x80, v44
	s_delay_alu instid0(VALU_DEP_1) | instskip(SKIP_1) | instid1(VALU_DEP_2)
	v_or_b32_e32 v42, v42, v43
	v_and_b32_e32 v46, 7, v43
	v_cmp_ne_u32_e32 vcc_lo, 0, v42
	v_lshlrev_b32_e32 v45, 3, v45
	s_delay_alu instid0(VALU_DEP_1) | instskip(NEXT) | instid1(VALU_DEP_1)
	v_or3_b32 v43, v45, v44, v46
	v_cndmask_b32_e32 v42, 0, v43, vcc_lo
.LBB6_5820:                             ;   in Loop: Header=BB6_5734 Depth=3
	s_or_b32 exec_lo, exec_lo, s31
.LBB6_5821:                             ;   in Loop: Header=BB6_5734 Depth=3
	s_delay_alu instid0(SALU_CYCLE_1) | instskip(SKIP_3) | instid1(VALU_DEP_2)
	s_or_b32 exec_lo, exec_lo, s17
	v_lshrrev_b32_e32 v44, 24, v48
	v_lshrrev_b32_e32 v43, 24, v36
	s_and_b32 vcc_lo, exec_lo, s16
	v_cmp_lt_i16_e64 s13, 0x7f, v44
	s_cbranch_vccz .LBB6_5831
; %bb.5822:                             ;   in Loop: Header=BB6_5734 Depth=3
	s_mov_b32 s17, 0
                                        ; implicit-def: $sgpr31
	s_delay_alu instid0(VALU_DEP_1) | instskip(NEXT) | instid1(SALU_CYCLE_1)
	s_and_saveexec_b32 vcc_lo, s13
	s_xor_b32 s13, exec_lo, vcc_lo
	s_cbranch_execnz .LBB6_7636
; %bb.5823:                             ;   in Loop: Header=BB6_5734 Depth=3
	s_or_saveexec_b32 s13, s13
	v_mov_b32_e32 v45, s31
	s_xor_b32 exec_lo, exec_lo, s13
	s_cbranch_execnz .LBB6_7639
.LBB6_5824:                             ;   in Loop: Header=BB6_5734 Depth=3
	s_or_b32 exec_lo, exec_lo, s13
	s_and_saveexec_b32 s13, s17
	s_cbranch_execz .LBB6_5826
.LBB6_5825:                             ;   in Loop: Header=BB6_5734 Depth=3
	v_bfe_u32 v45, v48, 24, 3
	v_bfe_u32 v56, v48, 27, 4
	s_delay_alu instid0(VALU_DEP_2) | instskip(NEXT) | instid1(VALU_DEP_2)
	v_clz_i32_u32_e32 v46, v45
	v_cmp_eq_u32_e32 vcc_lo, 0, v56
	s_delay_alu instid0(VALU_DEP_2) | instskip(NEXT) | instid1(VALU_DEP_1)
	v_min_u32_e32 v46, 32, v46
	v_subrev_nc_u32_e32 v47, 28, v46
	v_sub_nc_u32_e32 v46, 29, v46
	s_delay_alu instid0(VALU_DEP_1) | instskip(NEXT) | instid1(VALU_DEP_1)
	v_dual_cndmask_b32 v46, v56, v46 :: v_dual_lshlrev_b32 v47, v47, v44
	v_and_b32_e32 v47, 7, v47
	s_delay_alu instid0(VALU_DEP_2) | instskip(NEXT) | instid1(VALU_DEP_2)
	v_lshl_add_u32 v46, v46, 23, 0x3b800000
	v_cndmask_b32_e32 v45, v45, v47, vcc_lo
	v_and_b32_e32 v47, 0x80000000, v48
	s_delay_alu instid0(VALU_DEP_2) | instskip(NEXT) | instid1(VALU_DEP_1)
	v_lshlrev_b32_e32 v45, 20, v45
	v_or3_b32 v45, v47, v46, v45
.LBB6_5826:                             ;   in Loop: Header=BB6_5734 Depth=3
	s_or_b32 exec_lo, exec_lo, s13
	s_mov_b32 s13, 0
	s_mov_b32 s31, exec_lo
                                        ; implicit-def: $sgpr17
	v_cmpx_lt_i16_e32 0x7f, v43
	s_xor_b32 s31, exec_lo, s31
	s_cbranch_execnz .LBB6_7640
; %bb.5827:                             ;   in Loop: Header=BB6_5734 Depth=3
	s_or_saveexec_b32 s31, s31
	v_mov_b32_e32 v46, s17
	s_xor_b32 exec_lo, exec_lo, s31
	s_cbranch_execnz .LBB6_7643
.LBB6_5828:                             ;   in Loop: Header=BB6_5734 Depth=3
	s_or_b32 exec_lo, exec_lo, s31
	s_and_saveexec_b32 s17, s13
	s_cbranch_execz .LBB6_5830
.LBB6_5829:                             ;   in Loop: Header=BB6_5734 Depth=3
	v_bfe_u32 v46, v36, 24, 3
	v_bfe_u32 v57, v36, 27, 4
	s_delay_alu instid0(VALU_DEP_2) | instskip(NEXT) | instid1(VALU_DEP_2)
	v_clz_i32_u32_e32 v47, v46
	v_cmp_eq_u32_e32 vcc_lo, 0, v57
	s_delay_alu instid0(VALU_DEP_2) | instskip(NEXT) | instid1(VALU_DEP_1)
	v_min_u32_e32 v47, 32, v47
	v_subrev_nc_u32_e32 v56, 28, v47
	v_sub_nc_u32_e32 v47, 29, v47
	s_delay_alu instid0(VALU_DEP_2) | instskip(NEXT) | instid1(VALU_DEP_1)
	v_lshlrev_b32_e32 v56, v56, v43
	v_dual_cndmask_b32 v47, v57, v47 :: v_dual_and_b32 v56, 7, v56
	s_delay_alu instid0(VALU_DEP_1) | instskip(NEXT) | instid1(VALU_DEP_2)
	v_lshl_add_u32 v47, v47, 23, 0x3b800000
	v_cndmask_b32_e32 v46, v46, v56, vcc_lo
	v_and_b32_e32 v56, 0x80000000, v36
	s_delay_alu instid0(VALU_DEP_2) | instskip(NEXT) | instid1(VALU_DEP_1)
	v_lshlrev_b32_e32 v46, 20, v46
	v_or3_b32 v46, v56, v47, v46
.LBB6_5830:                             ;   in Loop: Header=BB6_5734 Depth=3
	s_or_b32 exec_lo, exec_lo, s17
	s_delay_alu instid0(VALU_DEP_1) | instskip(SKIP_1) | instid1(VALU_DEP_1)
	v_dual_max_f32 v46, v46, v46 :: v_dual_max_f32 v45, v45, v45
	s_mov_b32 s13, 0
	v_max_f32_e32 v45, v45, v46
	s_branch .LBB6_5832
.LBB6_5831:                             ;   in Loop: Header=BB6_5734 Depth=3
	s_mov_b32 s13, -1
                                        ; implicit-def: $vgpr45
.LBB6_5832:                             ;   in Loop: Header=BB6_5734 Depth=3
	s_delay_alu instid0(SALU_CYCLE_1)
	s_and_b32 vcc_lo, exec_lo, s13
	s_cbranch_vccz .LBB6_5842
; %bb.5833:                             ;   in Loop: Header=BB6_5734 Depth=3
	s_mov_b32 s13, 0
	s_mov_b32 s31, exec_lo
                                        ; implicit-def: $sgpr17
	v_cmpx_lt_i16_e32 0x7f, v44
	s_xor_b32 s31, exec_lo, s31
	s_cbranch_execnz .LBB6_7644
; %bb.5834:                             ;   in Loop: Header=BB6_5734 Depth=3
	s_or_saveexec_b32 s31, s31
	v_mov_b32_e32 v45, s17
	s_xor_b32 exec_lo, exec_lo, s31
	s_cbranch_execnz .LBB6_7647
.LBB6_5835:                             ;   in Loop: Header=BB6_5734 Depth=3
	s_or_b32 exec_lo, exec_lo, s31
	s_and_saveexec_b32 s17, s13
	s_cbranch_execz .LBB6_5837
.LBB6_5836:                             ;   in Loop: Header=BB6_5734 Depth=3
	v_bfe_u32 v45, v48, 24, 3
	s_delay_alu instid0(VALU_DEP_1) | instskip(NEXT) | instid1(VALU_DEP_1)
	v_clz_i32_u32_e32 v46, v45
	v_min_u32_e32 v46, 32, v46
	s_delay_alu instid0(VALU_DEP_1) | instskip(SKIP_1) | instid1(VALU_DEP_2)
	v_subrev_nc_u32_e32 v47, 28, v46
	v_sub_nc_u32_e32 v46, 29, v46
	v_lshlrev_b32_e32 v44, v47, v44
	v_bfe_u32 v47, v48, 27, 4
	v_and_b32_e32 v48, 0x80000000, v48
	s_delay_alu instid0(VALU_DEP_3) | instskip(NEXT) | instid1(VALU_DEP_3)
	v_and_b32_e32 v44, 7, v44
	v_cmp_eq_u32_e32 vcc_lo, 0, v47
	v_cndmask_b32_e32 v46, v47, v46, vcc_lo
	s_delay_alu instid0(VALU_DEP_3) | instskip(NEXT) | instid1(VALU_DEP_2)
	v_cndmask_b32_e32 v44, v45, v44, vcc_lo
	v_lshl_add_u32 v45, v46, 23, 0x3b800000
	s_delay_alu instid0(VALU_DEP_2) | instskip(NEXT) | instid1(VALU_DEP_1)
	v_lshlrev_b32_e32 v44, 20, v44
	v_or3_b32 v45, v48, v45, v44
.LBB6_5837:                             ;   in Loop: Header=BB6_5734 Depth=3
	s_or_b32 exec_lo, exec_lo, s17
	s_mov_b32 s13, 0
	s_mov_b32 s31, exec_lo
                                        ; implicit-def: $sgpr17
	v_cmpx_lt_i16_e32 0x7f, v43
	s_xor_b32 s31, exec_lo, s31
	s_cbranch_execnz .LBB6_7648
; %bb.5838:                             ;   in Loop: Header=BB6_5734 Depth=3
	s_or_saveexec_b32 s31, s31
	v_mov_b32_e32 v48, s17
	s_xor_b32 exec_lo, exec_lo, s31
	s_cbranch_execnz .LBB6_7651
.LBB6_5839:                             ;   in Loop: Header=BB6_5734 Depth=3
	s_or_b32 exec_lo, exec_lo, s31
	s_and_saveexec_b32 s17, s13
	s_cbranch_execz .LBB6_5841
.LBB6_5840:                             ;   in Loop: Header=BB6_5734 Depth=3
	v_bfe_u32 v48, v36, 24, 3
	s_delay_alu instid0(VALU_DEP_1) | instskip(NEXT) | instid1(VALU_DEP_1)
	v_clz_i32_u32_e32 v44, v48
	v_min_u32_e32 v44, 32, v44
	s_delay_alu instid0(VALU_DEP_1) | instskip(SKIP_1) | instid1(VALU_DEP_2)
	v_subrev_nc_u32_e32 v46, 28, v44
	v_sub_nc_u32_e32 v44, 29, v44
	v_lshlrev_b32_e32 v43, v46, v43
	v_bfe_u32 v46, v36, 27, 4
	v_and_b32_e32 v36, 0x80000000, v36
	s_delay_alu instid0(VALU_DEP_2) | instskip(NEXT) | instid1(VALU_DEP_4)
	v_cmp_eq_u32_e32 vcc_lo, 0, v46
	v_dual_cndmask_b32 v44, v46, v44 :: v_dual_and_b32 v43, 7, v43
	s_delay_alu instid0(VALU_DEP_1) | instskip(NEXT) | instid1(VALU_DEP_2)
	v_cndmask_b32_e32 v48, v48, v43, vcc_lo
	v_lshl_add_u32 v43, v44, 23, 0x3b800000
	s_delay_alu instid0(VALU_DEP_2) | instskip(NEXT) | instid1(VALU_DEP_1)
	v_lshlrev_b32_e32 v48, 20, v48
	v_or3_b32 v48, v36, v43, v48
.LBB6_5841:                             ;   in Loop: Header=BB6_5734 Depth=3
	s_or_b32 exec_lo, exec_lo, s17
	s_delay_alu instid0(VALU_DEP_1) | instskip(SKIP_1) | instid1(VALU_DEP_1)
	v_max_f32_e32 v36, v48, v48
	v_max_f32_e32 v48, v45, v45
	v_min_f32_e32 v45, v48, v36
.LBB6_5842:                             ;   in Loop: Header=BB6_5734 Depth=3
	s_delay_alu instid0(VALU_DEP_1) | instskip(NEXT) | instid1(VALU_DEP_1)
	v_and_b32_e32 v36, 0x7f800000, v45
	v_cmp_ne_u32_e32 vcc_lo, 0x7f800000, v36
	v_mov_b32_e32 v36, 0x80
	s_and_saveexec_b32 s17, vcc_lo
	s_cbranch_execz .LBB6_5850
; %bb.5843:                             ;   in Loop: Header=BB6_5734 Depth=3
	v_mov_b32_e32 v36, 0
	s_mov_b32 s31, exec_lo
	v_cmpx_ne_u32_e32 0, v45
	s_cbranch_execz .LBB6_5849
; %bb.5844:                             ;   in Loop: Header=BB6_5734 Depth=3
	v_bfe_u32 v36, v45, 23, 8
	s_delay_alu instid0(VALU_DEP_1) | instskip(SKIP_1) | instid1(VALU_DEP_2)
	v_sub_nc_u32_e32 v43, 0x78, v36
	v_cmp_gt_u32_e32 vcc_lo, 0x79, v36
	v_dual_cndmask_b32 v43, 0, v43 :: v_dual_and_b32 v48, 0x7fffff, v45
	s_delay_alu instid0(VALU_DEP_1) | instskip(SKIP_2) | instid1(VALU_DEP_4)
	v_or_b32_e32 v44, 0x800000, v48
	v_cmp_eq_u32_e32 vcc_lo, 0, v36
	v_add_nc_u32_e32 v36, 0xffffff89, v36
	v_cndmask_b32_e64 v43, v43, 0x77, vcc_lo
	s_delay_alu instid0(VALU_DEP_4) | instskip(NEXT) | instid1(VALU_DEP_3)
	v_cndmask_b32_e32 v48, v44, v48, vcc_lo
	v_cndmask_b32_e64 v36, v36, 0xffffff8a, vcc_lo
	s_delay_alu instid0(VALU_DEP_3) | instskip(NEXT) | instid1(VALU_DEP_3)
	v_lshl_add_u32 v44, 0x100000, v43, -1
	v_lshrrev_b32_e32 v46, v43, v48
	v_lshlrev_b32_e64 v56, v43, 0x80000
	s_delay_alu instid0(VALU_DEP_4) | instskip(NEXT) | instid1(VALU_DEP_4)
	v_add_nc_u32_e32 v43, v43, v36
	v_and_b32_e32 v48, v44, v48
	s_delay_alu instid0(VALU_DEP_4) | instskip(NEXT) | instid1(VALU_DEP_2)
	v_bfe_u32 v47, v46, 20, 1
	v_cmp_eq_u32_e64 s13, v48, v56
	s_delay_alu instid0(VALU_DEP_2) | instskip(NEXT) | instid1(VALU_DEP_1)
	v_add_nc_u32_e32 v44, -1, v47
	v_cndmask_b32_e64 v48, 0, v44, s13
	v_lshrrev_b32_e32 v44, 23, v46
	s_mov_b32 s13, exec_lo
	s_delay_alu instid0(VALU_DEP_2) | instskip(NEXT) | instid1(VALU_DEP_2)
	v_add_nc_u32_e32 v48, v48, v46
	v_xor_b32_e32 v44, 1, v44
	s_delay_alu instid0(VALU_DEP_2) | instskip(NEXT) | instid1(VALU_DEP_1)
	v_and_b32_e32 v36, 0xfffff, v48
	v_add_nc_u32_e32 v48, v36, v46
                                        ; implicit-def: $vgpr36
	s_delay_alu instid0(VALU_DEP_3)
	v_cmpx_ne_u32_e64 v43, v44
	s_xor_b32 s13, exec_lo, s13
; %bb.5845:                             ;   in Loop: Header=BB6_5734 Depth=3
	s_delay_alu instid0(VALU_DEP_2) | instskip(SKIP_2) | instid1(VALU_DEP_2)
	v_cmp_lt_u32_e32 vcc_lo, 0xffffff, v48
	v_sub_nc_u32_e32 v36, v43, v44
	v_cndmask_b32_e64 v43, 0, 1, vcc_lo
	v_add_co_ci_u32_e32 v36, vcc_lo, 0, v36, vcc_lo
	s_delay_alu instid0(VALU_DEP_2)
	v_lshrrev_b32_e32 v48, v43, v48
; %bb.5846:                             ;   in Loop: Header=BB6_5734 Depth=3
	s_and_not1_saveexec_b32 s13, s13
; %bb.5847:                             ;   in Loop: Header=BB6_5734 Depth=3
	s_delay_alu instid0(VALU_DEP_1)
	v_bfe_u32 v36, v48, 23, 1
; %bb.5848:                             ;   in Loop: Header=BB6_5734 Depth=3
	s_or_b32 exec_lo, exec_lo, s13
	v_lshrrev_b32_e32 v48, 20, v48
	s_delay_alu instid0(VALU_DEP_2) | instskip(SKIP_2) | instid1(VALU_DEP_2)
	v_cmp_gt_i32_e32 vcc_lo, 16, v36
	v_lshrrev_b32_e32 v43, 24, v45
	v_min_i32_e32 v44, 15, v36
	v_dual_cndmask_b32 v48, 7, v48 :: v_dual_and_b32 v43, 0x80, v43
	s_delay_alu instid0(VALU_DEP_2) | instskip(NEXT) | instid1(VALU_DEP_2)
	v_lshlrev_b32_e32 v44, 3, v44
	v_and_b32_e32 v45, 7, v48
	v_or_b32_e32 v36, v36, v48
	s_delay_alu instid0(VALU_DEP_2) | instskip(NEXT) | instid1(VALU_DEP_2)
	v_or3_b32 v48, v44, v43, v45
	v_cmp_ne_u32_e32 vcc_lo, 0, v36
	s_delay_alu instid0(VALU_DEP_2)
	v_cndmask_b32_e32 v36, 0, v48, vcc_lo
.LBB6_5849:                             ;   in Loop: Header=BB6_5734 Depth=3
	s_or_b32 exec_lo, exec_lo, s31
.LBB6_5850:                             ;   in Loop: Header=BB6_5734 Depth=3
	s_delay_alu instid0(SALU_CYCLE_1) | instskip(SKIP_2) | instid1(VALU_DEP_1)
	s_or_b32 exec_lo, exec_lo, s17
	v_and_b32_e32 v48, 0xff, v49
	s_and_b32 vcc_lo, exec_lo, s16
	v_cmp_lt_i16_e64 s13, 0x7f, v48
	s_cbranch_vccz .LBB6_5860
; %bb.5851:                             ;   in Loop: Header=BB6_5734 Depth=3
	s_mov_b32 s17, 0
                                        ; implicit-def: $sgpr31
	s_delay_alu instid0(VALU_DEP_1) | instskip(NEXT) | instid1(SALU_CYCLE_1)
	s_and_saveexec_b32 vcc_lo, s13
	s_xor_b32 s13, exec_lo, vcc_lo
	s_cbranch_execnz .LBB6_7652
; %bb.5852:                             ;   in Loop: Header=BB6_5734 Depth=3
	s_or_saveexec_b32 s13, s13
	v_mov_b32_e32 v43, s31
	s_xor_b32 exec_lo, exec_lo, s13
	s_cbranch_execnz .LBB6_7655
.LBB6_5853:                             ;   in Loop: Header=BB6_5734 Depth=3
	s_or_b32 exec_lo, exec_lo, s13
	s_and_saveexec_b32 s13, s17
	s_cbranch_execz .LBB6_5855
.LBB6_5854:                             ;   in Loop: Header=BB6_5734 Depth=3
	v_bfe_u32 v46, v49, 3, 4
	v_lshlrev_b32_e32 v47, 24, v49
	s_delay_alu instid0(VALU_DEP_2) | instskip(SKIP_1) | instid1(VALU_DEP_1)
	v_cmp_eq_u32_e32 vcc_lo, 0, v46
	v_and_b32_e32 v43, 7, v49
	v_clz_i32_u32_e32 v44, v43
	s_delay_alu instid0(VALU_DEP_1) | instskip(NEXT) | instid1(VALU_DEP_1)
	v_min_u32_e32 v44, 32, v44
	v_subrev_nc_u32_e32 v45, 28, v44
	v_sub_nc_u32_e32 v44, 29, v44
	s_delay_alu instid0(VALU_DEP_1) | instskip(NEXT) | instid1(VALU_DEP_1)
	v_dual_cndmask_b32 v44, v46, v44 :: v_dual_lshlrev_b32 v45, v45, v49
	v_and_b32_e32 v45, 7, v45
	s_delay_alu instid0(VALU_DEP_2) | instskip(NEXT) | instid1(VALU_DEP_2)
	v_lshl_add_u32 v44, v44, 23, 0x3b800000
	v_cndmask_b32_e32 v43, v43, v45, vcc_lo
	v_and_b32_e32 v45, 0x80000000, v47
	s_delay_alu instid0(VALU_DEP_2) | instskip(NEXT) | instid1(VALU_DEP_1)
	v_lshlrev_b32_e32 v43, 20, v43
	v_or3_b32 v43, v45, v44, v43
.LBB6_5855:                             ;   in Loop: Header=BB6_5734 Depth=3
	s_or_b32 exec_lo, exec_lo, s13
	v_and_b32_e32 v45, 0xff, v37
	s_mov_b32 s13, 0
	s_mov_b32 s31, exec_lo
                                        ; implicit-def: $sgpr17
	s_delay_alu instid0(VALU_DEP_1)
	v_cmpx_lt_i16_e32 0x7f, v45
	s_xor_b32 s31, exec_lo, s31
	s_cbranch_execnz .LBB6_7656
; %bb.5856:                             ;   in Loop: Header=BB6_5734 Depth=3
	s_or_saveexec_b32 s31, s31
	v_mov_b32_e32 v44, s17
	s_xor_b32 exec_lo, exec_lo, s31
	s_cbranch_execnz .LBB6_7659
.LBB6_5857:                             ;   in Loop: Header=BB6_5734 Depth=3
	s_or_b32 exec_lo, exec_lo, s31
	s_and_saveexec_b32 s17, s13
	s_cbranch_execz .LBB6_5859
.LBB6_5858:                             ;   in Loop: Header=BB6_5734 Depth=3
	v_and_b32_e32 v44, 7, v37
	v_bfe_u32 v47, v37, 3, 4
	v_lshlrev_b32_e32 v56, 24, v37
	s_delay_alu instid0(VALU_DEP_3) | instskip(NEXT) | instid1(VALU_DEP_3)
	v_clz_i32_u32_e32 v45, v44
	v_cmp_eq_u32_e32 vcc_lo, 0, v47
	s_delay_alu instid0(VALU_DEP_2) | instskip(NEXT) | instid1(VALU_DEP_1)
	v_min_u32_e32 v45, 32, v45
	v_subrev_nc_u32_e32 v46, 28, v45
	v_sub_nc_u32_e32 v45, 29, v45
	s_delay_alu instid0(VALU_DEP_2) | instskip(NEXT) | instid1(VALU_DEP_1)
	v_lshlrev_b32_e32 v46, v46, v37
	v_dual_cndmask_b32 v45, v47, v45 :: v_dual_and_b32 v46, 7, v46
	s_delay_alu instid0(VALU_DEP_1) | instskip(NEXT) | instid1(VALU_DEP_2)
	v_lshl_add_u32 v45, v45, 23, 0x3b800000
	v_cndmask_b32_e32 v44, v44, v46, vcc_lo
	v_and_b32_e32 v46, 0x80000000, v56
	s_delay_alu instid0(VALU_DEP_2) | instskip(NEXT) | instid1(VALU_DEP_1)
	v_lshlrev_b32_e32 v44, 20, v44
	v_or3_b32 v44, v46, v45, v44
.LBB6_5859:                             ;   in Loop: Header=BB6_5734 Depth=3
	s_or_b32 exec_lo, exec_lo, s17
	s_delay_alu instid0(VALU_DEP_1) | instskip(SKIP_1) | instid1(VALU_DEP_1)
	v_dual_max_f32 v44, v44, v44 :: v_dual_max_f32 v43, v43, v43
	s_mov_b32 s13, 0
	v_max_f32_e32 v43, v43, v44
	s_branch .LBB6_5861
.LBB6_5860:                             ;   in Loop: Header=BB6_5734 Depth=3
	s_mov_b32 s13, -1
                                        ; implicit-def: $vgpr43
.LBB6_5861:                             ;   in Loop: Header=BB6_5734 Depth=3
	s_delay_alu instid0(SALU_CYCLE_1)
	s_and_b32 vcc_lo, exec_lo, s13
	s_cbranch_vccz .LBB6_5871
; %bb.5862:                             ;   in Loop: Header=BB6_5734 Depth=3
	s_mov_b32 s13, 0
	s_mov_b32 s31, exec_lo
                                        ; implicit-def: $sgpr17
	v_cmpx_lt_i16_e32 0x7f, v48
	s_xor_b32 s31, exec_lo, s31
	s_cbranch_execnz .LBB6_7660
; %bb.5863:                             ;   in Loop: Header=BB6_5734 Depth=3
	s_or_saveexec_b32 s31, s31
	v_mov_b32_e32 v43, s17
	s_xor_b32 exec_lo, exec_lo, s31
	s_cbranch_execnz .LBB6_7663
.LBB6_5864:                             ;   in Loop: Header=BB6_5734 Depth=3
	s_or_b32 exec_lo, exec_lo, s31
	s_and_saveexec_b32 s17, s13
	s_cbranch_execz .LBB6_5866
.LBB6_5865:                             ;   in Loop: Header=BB6_5734 Depth=3
	v_bfe_u32 v45, v49, 3, 4
	v_lshlrev_b32_e32 v46, 24, v49
	s_delay_alu instid0(VALU_DEP_2) | instskip(SKIP_1) | instid1(VALU_DEP_1)
	v_cmp_eq_u32_e32 vcc_lo, 0, v45
	v_and_b32_e32 v48, 7, v49
	v_clz_i32_u32_e32 v43, v48
	s_delay_alu instid0(VALU_DEP_1) | instskip(NEXT) | instid1(VALU_DEP_1)
	v_min_u32_e32 v43, 32, v43
	v_subrev_nc_u32_e32 v44, 28, v43
	v_sub_nc_u32_e32 v43, 29, v43
	s_delay_alu instid0(VALU_DEP_1) | instskip(NEXT) | instid1(VALU_DEP_1)
	v_dual_cndmask_b32 v43, v45, v43 :: v_dual_lshlrev_b32 v44, v44, v49
	v_and_b32_e32 v44, 7, v44
	s_delay_alu instid0(VALU_DEP_2) | instskip(NEXT) | instid1(VALU_DEP_2)
	v_lshl_add_u32 v43, v43, 23, 0x3b800000
	v_cndmask_b32_e32 v48, v48, v44, vcc_lo
	v_and_b32_e32 v44, 0x80000000, v46
	s_delay_alu instid0(VALU_DEP_2) | instskip(NEXT) | instid1(VALU_DEP_1)
	v_lshlrev_b32_e32 v48, 20, v48
	v_or3_b32 v43, v44, v43, v48
.LBB6_5866:                             ;   in Loop: Header=BB6_5734 Depth=3
	s_or_b32 exec_lo, exec_lo, s17
	v_and_b32_e32 v44, 0xff, v37
	s_mov_b32 s13, 0
	s_mov_b32 s31, exec_lo
                                        ; implicit-def: $sgpr17
	s_delay_alu instid0(VALU_DEP_1)
	v_cmpx_lt_i16_e32 0x7f, v44
	s_xor_b32 s31, exec_lo, s31
	s_cbranch_execnz .LBB6_7664
; %bb.5867:                             ;   in Loop: Header=BB6_5734 Depth=3
	s_or_saveexec_b32 s31, s31
	v_mov_b32_e32 v48, s17
	s_xor_b32 exec_lo, exec_lo, s31
	s_cbranch_execnz .LBB6_7667
.LBB6_5868:                             ;   in Loop: Header=BB6_5734 Depth=3
	s_or_b32 exec_lo, exec_lo, s31
	s_and_saveexec_b32 s17, s13
	s_cbranch_execz .LBB6_5870
.LBB6_5869:                             ;   in Loop: Header=BB6_5734 Depth=3
	v_and_b32_e32 v48, 7, v37
	v_bfe_u32 v46, v37, 3, 4
	v_lshlrev_b32_e32 v47, 24, v37
	s_delay_alu instid0(VALU_DEP_3) | instskip(NEXT) | instid1(VALU_DEP_3)
	v_clz_i32_u32_e32 v44, v48
	v_cmp_eq_u32_e32 vcc_lo, 0, v46
	s_delay_alu instid0(VALU_DEP_2) | instskip(NEXT) | instid1(VALU_DEP_1)
	v_min_u32_e32 v44, 32, v44
	v_subrev_nc_u32_e32 v45, 28, v44
	v_sub_nc_u32_e32 v44, 29, v44
	s_delay_alu instid0(VALU_DEP_1) | instskip(NEXT) | instid1(VALU_DEP_1)
	v_dual_cndmask_b32 v44, v46, v44 :: v_dual_lshlrev_b32 v45, v45, v37
	v_and_b32_e32 v45, 7, v45
	s_delay_alu instid0(VALU_DEP_2) | instskip(NEXT) | instid1(VALU_DEP_2)
	v_lshl_add_u32 v44, v44, 23, 0x3b800000
	v_dual_cndmask_b32 v48, v48, v45 :: v_dual_and_b32 v45, 0x80000000, v47
	s_delay_alu instid0(VALU_DEP_1) | instskip(NEXT) | instid1(VALU_DEP_1)
	v_lshlrev_b32_e32 v48, 20, v48
	v_or3_b32 v48, v45, v44, v48
.LBB6_5870:                             ;   in Loop: Header=BB6_5734 Depth=3
	s_or_b32 exec_lo, exec_lo, s17
	s_delay_alu instid0(VALU_DEP_1) | instskip(NEXT) | instid1(VALU_DEP_1)
	v_dual_max_f32 v48, v48, v48 :: v_dual_max_f32 v43, v43, v43
	v_min_f32_e32 v43, v43, v48
.LBB6_5871:                             ;   in Loop: Header=BB6_5734 Depth=3
	s_delay_alu instid0(VALU_DEP_1) | instskip(NEXT) | instid1(VALU_DEP_1)
	v_and_b32_e32 v48, 0x7f800000, v43
	v_cmp_ne_u32_e32 vcc_lo, 0x7f800000, v48
	v_mov_b32_e32 v48, 0x80
	s_and_saveexec_b32 s17, vcc_lo
	s_cbranch_execz .LBB6_5879
; %bb.5872:                             ;   in Loop: Header=BB6_5734 Depth=3
	v_mov_b32_e32 v48, 0
	s_mov_b32 s31, exec_lo
	v_cmpx_ne_u32_e32 0, v43
	s_cbranch_execz .LBB6_5878
; %bb.5873:                             ;   in Loop: Header=BB6_5734 Depth=3
	v_bfe_u32 v48, v43, 23, 8
	s_delay_alu instid0(VALU_DEP_1) | instskip(SKIP_1) | instid1(VALU_DEP_2)
	v_sub_nc_u32_e32 v45, 0x78, v48
	v_cmp_gt_u32_e32 vcc_lo, 0x79, v48
	v_dual_cndmask_b32 v45, 0, v45 :: v_dual_and_b32 v44, 0x7fffff, v43
	s_delay_alu instid0(VALU_DEP_1) | instskip(SKIP_2) | instid1(VALU_DEP_4)
	v_or_b32_e32 v46, 0x800000, v44
	v_cmp_eq_u32_e32 vcc_lo, 0, v48
	v_add_nc_u32_e32 v48, 0xffffff89, v48
	v_cndmask_b32_e64 v45, v45, 0x77, vcc_lo
	s_delay_alu instid0(VALU_DEP_4) | instskip(NEXT) | instid1(VALU_DEP_3)
	v_cndmask_b32_e32 v44, v46, v44, vcc_lo
	v_cndmask_b32_e64 v48, v48, 0xffffff8a, vcc_lo
	s_delay_alu instid0(VALU_DEP_3) | instskip(NEXT) | instid1(VALU_DEP_3)
	v_lshl_add_u32 v46, 0x100000, v45, -1
	v_lshrrev_b32_e32 v47, v45, v44
	v_lshlrev_b32_e64 v57, v45, 0x80000
	s_delay_alu instid0(VALU_DEP_4) | instskip(NEXT) | instid1(VALU_DEP_4)
	v_add_nc_u32_e32 v45, v45, v48
	v_and_b32_e32 v44, v46, v44
	s_delay_alu instid0(VALU_DEP_4) | instskip(NEXT) | instid1(VALU_DEP_2)
	v_bfe_u32 v56, v47, 20, 1
	v_cmp_eq_u32_e64 s13, v44, v57
	s_delay_alu instid0(VALU_DEP_2) | instskip(NEXT) | instid1(VALU_DEP_1)
	v_add_nc_u32_e32 v46, -1, v56
	v_cndmask_b32_e64 v44, 0, v46, s13
	v_lshrrev_b32_e32 v46, 23, v47
	s_mov_b32 s13, exec_lo
	s_delay_alu instid0(VALU_DEP_2) | instskip(NEXT) | instid1(VALU_DEP_2)
	v_add_nc_u32_e32 v44, v44, v47
	v_xor_b32_e32 v46, 1, v46
	s_delay_alu instid0(VALU_DEP_2) | instskip(NEXT) | instid1(VALU_DEP_1)
	v_and_b32_e32 v48, 0xfffff, v44
	v_add_nc_u32_e32 v44, v48, v47
                                        ; implicit-def: $vgpr48
	s_delay_alu instid0(VALU_DEP_3)
	v_cmpx_ne_u32_e64 v45, v46
	s_xor_b32 s13, exec_lo, s13
; %bb.5874:                             ;   in Loop: Header=BB6_5734 Depth=3
	s_delay_alu instid0(VALU_DEP_2) | instskip(SKIP_2) | instid1(VALU_DEP_2)
	v_cmp_lt_u32_e32 vcc_lo, 0xffffff, v44
	v_sub_nc_u32_e32 v48, v45, v46
	v_cndmask_b32_e64 v45, 0, 1, vcc_lo
	v_add_co_ci_u32_e32 v48, vcc_lo, 0, v48, vcc_lo
	s_delay_alu instid0(VALU_DEP_2)
	v_lshrrev_b32_e32 v44, v45, v44
; %bb.5875:                             ;   in Loop: Header=BB6_5734 Depth=3
	s_and_not1_saveexec_b32 s13, s13
; %bb.5876:                             ;   in Loop: Header=BB6_5734 Depth=3
	s_delay_alu instid0(VALU_DEP_1)
	v_bfe_u32 v48, v44, 23, 1
; %bb.5877:                             ;   in Loop: Header=BB6_5734 Depth=3
	s_or_b32 exec_lo, exec_lo, s13
	v_lshrrev_b32_e32 v44, 20, v44
	s_delay_alu instid0(VALU_DEP_2) | instskip(SKIP_2) | instid1(VALU_DEP_2)
	v_cmp_gt_i32_e32 vcc_lo, 16, v48
	v_lshrrev_b32_e32 v43, 24, v43
	v_min_i32_e32 v45, 15, v48
	v_dual_cndmask_b32 v44, 7, v44 :: v_dual_and_b32 v43, 0x80, v43
	s_delay_alu instid0(VALU_DEP_1) | instskip(SKIP_1) | instid1(VALU_DEP_2)
	v_or_b32_e32 v48, v48, v44
	v_and_b32_e32 v46, 7, v44
	v_cmp_ne_u32_e32 vcc_lo, 0, v48
	v_lshlrev_b32_e32 v45, 3, v45
	s_delay_alu instid0(VALU_DEP_1) | instskip(NEXT) | instid1(VALU_DEP_1)
	v_or3_b32 v43, v45, v43, v46
	v_cndmask_b32_e32 v48, 0, v43, vcc_lo
.LBB6_5878:                             ;   in Loop: Header=BB6_5734 Depth=3
	s_or_b32 exec_lo, exec_lo, s31
.LBB6_5879:                             ;   in Loop: Header=BB6_5734 Depth=3
	s_delay_alu instid0(SALU_CYCLE_1) | instskip(SKIP_3) | instid1(VALU_DEP_2)
	s_or_b32 exec_lo, exec_lo, s17
	v_lshrrev_b16 v44, 8, v49
	v_lshrrev_b16 v43, 8, v37
	s_and_b32 vcc_lo, exec_lo, s16
	v_cmp_lt_i16_e64 s13, 0x7f, v44
	s_cbranch_vccz .LBB6_5889
; %bb.5880:                             ;   in Loop: Header=BB6_5734 Depth=3
	s_mov_b32 s17, 0
                                        ; implicit-def: $sgpr31
	s_delay_alu instid0(VALU_DEP_1) | instskip(NEXT) | instid1(SALU_CYCLE_1)
	s_and_saveexec_b32 vcc_lo, s13
	s_xor_b32 s13, exec_lo, vcc_lo
	s_cbranch_execnz .LBB6_7668
; %bb.5881:                             ;   in Loop: Header=BB6_5734 Depth=3
	s_or_saveexec_b32 s13, s13
	v_mov_b32_e32 v45, s31
	s_xor_b32 exec_lo, exec_lo, s13
	s_cbranch_execnz .LBB6_7671
.LBB6_5882:                             ;   in Loop: Header=BB6_5734 Depth=3
	s_or_b32 exec_lo, exec_lo, s13
	s_and_saveexec_b32 s13, s17
	s_cbranch_execz .LBB6_5884
.LBB6_5883:                             ;   in Loop: Header=BB6_5734 Depth=3
	v_and_b32_e32 v45, 0xffff, v44
	s_delay_alu instid0(VALU_DEP_1) | instskip(NEXT) | instid1(VALU_DEP_1)
	v_and_b32_e32 v46, 7, v45
	v_clz_i32_u32_e32 v47, v46
	s_delay_alu instid0(VALU_DEP_1) | instskip(NEXT) | instid1(VALU_DEP_1)
	v_min_u32_e32 v47, 32, v47
	v_subrev_nc_u32_e32 v56, 28, v47
	v_sub_nc_u32_e32 v47, 29, v47
	s_delay_alu instid0(VALU_DEP_2) | instskip(SKIP_1) | instid1(VALU_DEP_2)
	v_lshlrev_b32_e32 v56, v56, v45
	v_bfe_u32 v45, v45, 3, 4
	v_and_b32_e32 v56, 7, v56
	s_delay_alu instid0(VALU_DEP_2) | instskip(SKIP_1) | instid1(VALU_DEP_3)
	v_cmp_eq_u32_e32 vcc_lo, 0, v45
	v_cndmask_b32_e32 v45, v45, v47, vcc_lo
	v_dual_cndmask_b32 v46, v46, v56 :: v_dual_lshlrev_b32 v57, 16, v49
	s_delay_alu instid0(VALU_DEP_2) | instskip(NEXT) | instid1(VALU_DEP_2)
	v_lshl_add_u32 v45, v45, 23, 0x3b800000
	v_and_b32_e32 v47, 0x80000000, v57
	s_delay_alu instid0(VALU_DEP_3) | instskip(NEXT) | instid1(VALU_DEP_1)
	v_lshlrev_b32_e32 v46, 20, v46
	v_or3_b32 v45, v47, v45, v46
.LBB6_5884:                             ;   in Loop: Header=BB6_5734 Depth=3
	s_or_b32 exec_lo, exec_lo, s13
	s_mov_b32 s13, 0
	s_mov_b32 s31, exec_lo
                                        ; implicit-def: $sgpr17
	v_cmpx_lt_i16_e32 0x7f, v43
	s_xor_b32 s31, exec_lo, s31
	s_cbranch_execnz .LBB6_7672
; %bb.5885:                             ;   in Loop: Header=BB6_5734 Depth=3
	s_or_saveexec_b32 s31, s31
	v_mov_b32_e32 v46, s17
	s_xor_b32 exec_lo, exec_lo, s31
	s_cbranch_execnz .LBB6_7675
.LBB6_5886:                             ;   in Loop: Header=BB6_5734 Depth=3
	s_or_b32 exec_lo, exec_lo, s31
	s_and_saveexec_b32 s17, s13
	s_cbranch_execz .LBB6_5888
.LBB6_5887:                             ;   in Loop: Header=BB6_5734 Depth=3
	v_and_b32_e32 v46, 0xffff, v43
	v_lshlrev_b32_e32 v58, 16, v37
	s_delay_alu instid0(VALU_DEP_2) | instskip(NEXT) | instid1(VALU_DEP_1)
	v_and_b32_e32 v47, 7, v46
	v_clz_i32_u32_e32 v56, v47
	s_delay_alu instid0(VALU_DEP_1) | instskip(NEXT) | instid1(VALU_DEP_1)
	v_min_u32_e32 v56, 32, v56
	v_subrev_nc_u32_e32 v57, 28, v56
	v_sub_nc_u32_e32 v56, 29, v56
	s_delay_alu instid0(VALU_DEP_2) | instskip(SKIP_1) | instid1(VALU_DEP_2)
	v_lshlrev_b32_e32 v57, v57, v46
	v_bfe_u32 v46, v46, 3, 4
	v_and_b32_e32 v57, 7, v57
	s_delay_alu instid0(VALU_DEP_2) | instskip(NEXT) | instid1(VALU_DEP_2)
	v_cmp_eq_u32_e32 vcc_lo, 0, v46
	v_dual_cndmask_b32 v46, v46, v56 :: v_dual_cndmask_b32 v47, v47, v57
	v_and_b32_e32 v56, 0x80000000, v58
	s_delay_alu instid0(VALU_DEP_2) | instskip(NEXT) | instid1(VALU_DEP_3)
	v_lshl_add_u32 v46, v46, 23, 0x3b800000
	v_lshlrev_b32_e32 v47, 20, v47
	s_delay_alu instid0(VALU_DEP_1)
	v_or3_b32 v46, v56, v46, v47
.LBB6_5888:                             ;   in Loop: Header=BB6_5734 Depth=3
	s_or_b32 exec_lo, exec_lo, s17
	s_delay_alu instid0(VALU_DEP_1) | instskip(SKIP_1) | instid1(VALU_DEP_1)
	v_dual_max_f32 v46, v46, v46 :: v_dual_max_f32 v45, v45, v45
	s_mov_b32 s13, 0
	v_max_f32_e32 v45, v45, v46
	s_branch .LBB6_5890
.LBB6_5889:                             ;   in Loop: Header=BB6_5734 Depth=3
	s_mov_b32 s13, -1
                                        ; implicit-def: $vgpr45
.LBB6_5890:                             ;   in Loop: Header=BB6_5734 Depth=3
	s_delay_alu instid0(SALU_CYCLE_1)
	s_and_b32 vcc_lo, exec_lo, s13
	s_cbranch_vccz .LBB6_5900
; %bb.5891:                             ;   in Loop: Header=BB6_5734 Depth=3
	s_mov_b32 s13, 0
	s_mov_b32 s31, exec_lo
                                        ; implicit-def: $sgpr17
	v_cmpx_lt_i16_e32 0x7f, v44
	s_xor_b32 s31, exec_lo, s31
	s_cbranch_execnz .LBB6_7676
; %bb.5892:                             ;   in Loop: Header=BB6_5734 Depth=3
	s_or_saveexec_b32 s31, s31
	v_mov_b32_e32 v45, s17
	s_xor_b32 exec_lo, exec_lo, s31
	s_cbranch_execnz .LBB6_7679
.LBB6_5893:                             ;   in Loop: Header=BB6_5734 Depth=3
	s_or_b32 exec_lo, exec_lo, s31
	s_and_saveexec_b32 s17, s13
	s_cbranch_execz .LBB6_5895
.LBB6_5894:                             ;   in Loop: Header=BB6_5734 Depth=3
	v_and_b32_e32 v44, 0xffff, v44
	v_lshlrev_b32_e32 v56, 16, v49
	s_delay_alu instid0(VALU_DEP_2) | instskip(NEXT) | instid1(VALU_DEP_1)
	v_and_b32_e32 v45, 7, v44
	v_clz_i32_u32_e32 v46, v45
	s_delay_alu instid0(VALU_DEP_1) | instskip(NEXT) | instid1(VALU_DEP_1)
	v_min_u32_e32 v46, 32, v46
	v_subrev_nc_u32_e32 v47, 28, v46
	v_sub_nc_u32_e32 v46, 29, v46
	s_delay_alu instid0(VALU_DEP_2) | instskip(SKIP_1) | instid1(VALU_DEP_2)
	v_lshlrev_b32_e32 v47, v47, v44
	v_bfe_u32 v44, v44, 3, 4
	v_and_b32_e32 v47, 7, v47
	s_delay_alu instid0(VALU_DEP_2) | instskip(NEXT) | instid1(VALU_DEP_2)
	v_cmp_eq_u32_e32 vcc_lo, 0, v44
	v_dual_cndmask_b32 v44, v44, v46 :: v_dual_cndmask_b32 v45, v45, v47
	v_and_b32_e32 v46, 0x80000000, v56
	s_delay_alu instid0(VALU_DEP_2) | instskip(NEXT) | instid1(VALU_DEP_3)
	v_lshl_add_u32 v44, v44, 23, 0x3b800000
	v_lshlrev_b32_e32 v45, 20, v45
	s_delay_alu instid0(VALU_DEP_1)
	v_or3_b32 v45, v46, v44, v45
.LBB6_5895:                             ;   in Loop: Header=BB6_5734 Depth=3
	s_or_b32 exec_lo, exec_lo, s17
	s_mov_b32 s13, 0
	s_mov_b32 s31, exec_lo
                                        ; implicit-def: $sgpr17
	v_cmpx_lt_i16_e32 0x7f, v43
	s_xor_b32 s31, exec_lo, s31
	s_cbranch_execnz .LBB6_7680
; %bb.5896:                             ;   in Loop: Header=BB6_5734 Depth=3
	s_or_saveexec_b32 s31, s31
	v_mov_b32_e32 v44, s17
	s_xor_b32 exec_lo, exec_lo, s31
	s_cbranch_execnz .LBB6_7683
.LBB6_5897:                             ;   in Loop: Header=BB6_5734 Depth=3
	s_or_b32 exec_lo, exec_lo, s31
	s_and_saveexec_b32 s17, s13
	s_cbranch_execz .LBB6_5899
.LBB6_5898:                             ;   in Loop: Header=BB6_5734 Depth=3
	v_and_b32_e32 v43, 0xffff, v43
	v_lshlrev_b32_e32 v56, 16, v37
	s_delay_alu instid0(VALU_DEP_2) | instskip(NEXT) | instid1(VALU_DEP_1)
	v_and_b32_e32 v44, 7, v43
	v_clz_i32_u32_e32 v46, v44
	s_delay_alu instid0(VALU_DEP_1) | instskip(NEXT) | instid1(VALU_DEP_1)
	v_min_u32_e32 v46, 32, v46
	v_subrev_nc_u32_e32 v47, 28, v46
	v_sub_nc_u32_e32 v46, 29, v46
	s_delay_alu instid0(VALU_DEP_2) | instskip(SKIP_1) | instid1(VALU_DEP_2)
	v_lshlrev_b32_e32 v47, v47, v43
	v_bfe_u32 v43, v43, 3, 4
	v_and_b32_e32 v47, 7, v47
	s_delay_alu instid0(VALU_DEP_2) | instskip(NEXT) | instid1(VALU_DEP_2)
	v_cmp_eq_u32_e32 vcc_lo, 0, v43
	v_dual_cndmask_b32 v43, v43, v46 :: v_dual_cndmask_b32 v44, v44, v47
	v_and_b32_e32 v46, 0x80000000, v56
	s_delay_alu instid0(VALU_DEP_2) | instskip(NEXT) | instid1(VALU_DEP_3)
	v_lshl_add_u32 v43, v43, 23, 0x3b800000
	v_lshlrev_b32_e32 v44, 20, v44
	s_delay_alu instid0(VALU_DEP_1)
	v_or3_b32 v44, v46, v43, v44
.LBB6_5899:                             ;   in Loop: Header=BB6_5734 Depth=3
	s_or_b32 exec_lo, exec_lo, s17
	s_delay_alu instid0(VALU_DEP_1) | instskip(NEXT) | instid1(VALU_DEP_1)
	v_dual_max_f32 v43, v44, v44 :: v_dual_max_f32 v44, v45, v45
	v_min_f32_e32 v45, v44, v43
.LBB6_5900:                             ;   in Loop: Header=BB6_5734 Depth=3
	s_delay_alu instid0(VALU_DEP_1) | instskip(NEXT) | instid1(VALU_DEP_1)
	v_and_b32_e32 v43, 0x7f800000, v45
	v_cmp_ne_u32_e32 vcc_lo, 0x7f800000, v43
	v_mov_b32_e32 v43, 0x80
	s_and_saveexec_b32 s17, vcc_lo
	s_cbranch_execz .LBB6_5908
; %bb.5901:                             ;   in Loop: Header=BB6_5734 Depth=3
	v_mov_b32_e32 v43, 0
	s_mov_b32 s31, exec_lo
	v_cmpx_ne_u32_e32 0, v45
	s_cbranch_execz .LBB6_5907
; %bb.5902:                             ;   in Loop: Header=BB6_5734 Depth=3
	v_bfe_u32 v43, v45, 23, 8
	v_and_b32_e32 v44, 0x7fffff, v45
	s_delay_alu instid0(VALU_DEP_2) | instskip(SKIP_1) | instid1(VALU_DEP_3)
	v_sub_nc_u32_e32 v46, 0x78, v43
	v_cmp_gt_u32_e32 vcc_lo, 0x79, v43
	v_or_b32_e32 v47, 0x800000, v44
	s_delay_alu instid0(VALU_DEP_3) | instskip(SKIP_2) | instid1(VALU_DEP_3)
	v_cndmask_b32_e32 v46, 0, v46, vcc_lo
	v_cmp_eq_u32_e32 vcc_lo, 0, v43
	v_add_nc_u32_e32 v43, 0xffffff89, v43
	v_cndmask_b32_e64 v46, v46, 0x77, vcc_lo
	v_cndmask_b32_e32 v44, v47, v44, vcc_lo
	s_delay_alu instid0(VALU_DEP_3) | instskip(NEXT) | instid1(VALU_DEP_3)
	v_cndmask_b32_e64 v43, v43, 0xffffff8a, vcc_lo
	v_lshl_add_u32 v47, 0x100000, v46, -1
	s_delay_alu instid0(VALU_DEP_3) | instskip(SKIP_1) | instid1(VALU_DEP_4)
	v_lshrrev_b32_e32 v56, v46, v44
	v_lshlrev_b32_e64 v58, v46, 0x80000
	v_add_nc_u32_e32 v46, v46, v43
	s_delay_alu instid0(VALU_DEP_4) | instskip(NEXT) | instid1(VALU_DEP_4)
	v_and_b32_e32 v44, v47, v44
	v_bfe_u32 v57, v56, 20, 1
	s_delay_alu instid0(VALU_DEP_2) | instskip(NEXT) | instid1(VALU_DEP_2)
	v_cmp_eq_u32_e64 s13, v44, v58
	v_add_nc_u32_e32 v47, -1, v57
	s_delay_alu instid0(VALU_DEP_1) | instskip(SKIP_2) | instid1(VALU_DEP_2)
	v_cndmask_b32_e64 v44, 0, v47, s13
	v_lshrrev_b32_e32 v47, 23, v56
	s_mov_b32 s13, exec_lo
	v_add_nc_u32_e32 v44, v44, v56
	s_delay_alu instid0(VALU_DEP_2) | instskip(NEXT) | instid1(VALU_DEP_2)
	v_xor_b32_e32 v47, 1, v47
	v_and_b32_e32 v43, 0xfffff, v44
	s_delay_alu instid0(VALU_DEP_1) | instskip(NEXT) | instid1(VALU_DEP_3)
	v_add_nc_u32_e32 v44, v43, v56
                                        ; implicit-def: $vgpr43
	v_cmpx_ne_u32_e64 v46, v47
	s_xor_b32 s13, exec_lo, s13
; %bb.5903:                             ;   in Loop: Header=BB6_5734 Depth=3
	s_delay_alu instid0(VALU_DEP_2) | instskip(SKIP_2) | instid1(VALU_DEP_2)
	v_cmp_lt_u32_e32 vcc_lo, 0xffffff, v44
	v_sub_nc_u32_e32 v43, v46, v47
	v_cndmask_b32_e64 v46, 0, 1, vcc_lo
	v_add_co_ci_u32_e32 v43, vcc_lo, 0, v43, vcc_lo
	s_delay_alu instid0(VALU_DEP_2)
	v_lshrrev_b32_e32 v44, v46, v44
; %bb.5904:                             ;   in Loop: Header=BB6_5734 Depth=3
	s_and_not1_saveexec_b32 s13, s13
; %bb.5905:                             ;   in Loop: Header=BB6_5734 Depth=3
	s_delay_alu instid0(VALU_DEP_1)
	v_bfe_u32 v43, v44, 23, 1
; %bb.5906:                             ;   in Loop: Header=BB6_5734 Depth=3
	s_or_b32 exec_lo, exec_lo, s13
	v_lshrrev_b32_e32 v44, 20, v44
	s_delay_alu instid0(VALU_DEP_2) | instskip(SKIP_2) | instid1(VALU_DEP_2)
	v_cmp_gt_i32_e32 vcc_lo, 16, v43
	v_lshrrev_b32_e32 v45, 24, v45
	v_min_i32_e32 v46, 15, v43
	v_dual_cndmask_b32 v44, 7, v44 :: v_dual_and_b32 v45, 0x80, v45
	s_delay_alu instid0(VALU_DEP_1) | instskip(SKIP_1) | instid1(VALU_DEP_2)
	v_or_b32_e32 v43, v43, v44
	v_and_b32_e32 v47, 7, v44
	v_cmp_ne_u32_e32 vcc_lo, 0, v43
	v_lshlrev_b32_e32 v46, 3, v46
	s_delay_alu instid0(VALU_DEP_1) | instskip(NEXT) | instid1(VALU_DEP_1)
	v_or3_b32 v44, v46, v45, v47
	v_cndmask_b32_e32 v43, 0, v44, vcc_lo
.LBB6_5907:                             ;   in Loop: Header=BB6_5734 Depth=3
	s_or_b32 exec_lo, exec_lo, s31
.LBB6_5908:                             ;   in Loop: Header=BB6_5734 Depth=3
	s_delay_alu instid0(SALU_CYCLE_1) | instskip(SKIP_3) | instid1(VALU_DEP_2)
	s_or_b32 exec_lo, exec_lo, s17
	v_lshrrev_b32_e32 v45, 16, v49
	v_lshrrev_b32_e32 v44, 16, v37
	s_and_b32 vcc_lo, exec_lo, s16
	v_and_b32_e32 v46, 0xff, v45
	s_delay_alu instid0(VALU_DEP_1)
	v_cmp_lt_i16_e64 s13, 0x7f, v46
	s_cbranch_vccz .LBB6_5918
; %bb.5909:                             ;   in Loop: Header=BB6_5734 Depth=3
	s_mov_b32 s17, 0
                                        ; implicit-def: $sgpr31
	s_delay_alu instid0(VALU_DEP_1) | instskip(NEXT) | instid1(SALU_CYCLE_1)
	s_and_saveexec_b32 vcc_lo, s13
	s_xor_b32 s13, exec_lo, vcc_lo
	s_cbranch_execnz .LBB6_7684
; %bb.5910:                             ;   in Loop: Header=BB6_5734 Depth=3
	s_or_saveexec_b32 s13, s13
	v_mov_b32_e32 v47, s31
	s_xor_b32 exec_lo, exec_lo, s13
	s_cbranch_execnz .LBB6_7687
.LBB6_5911:                             ;   in Loop: Header=BB6_5734 Depth=3
	s_or_b32 exec_lo, exec_lo, s13
	s_and_saveexec_b32 s13, s17
	s_cbranch_execz .LBB6_5913
.LBB6_5912:                             ;   in Loop: Header=BB6_5734 Depth=3
	v_bfe_u32 v47, v49, 16, 3
	v_bfe_u32 v58, v49, 19, 4
	v_lshlrev_b32_e32 v59, 24, v45
	s_delay_alu instid0(VALU_DEP_3) | instskip(NEXT) | instid1(VALU_DEP_3)
	v_clz_i32_u32_e32 v56, v47
	v_cmp_eq_u32_e32 vcc_lo, 0, v58
	s_delay_alu instid0(VALU_DEP_2) | instskip(NEXT) | instid1(VALU_DEP_1)
	v_min_u32_e32 v56, 32, v56
	v_subrev_nc_u32_e32 v57, 28, v56
	v_sub_nc_u32_e32 v56, 29, v56
	s_delay_alu instid0(VALU_DEP_1) | instskip(NEXT) | instid1(VALU_DEP_1)
	v_dual_cndmask_b32 v56, v58, v56 :: v_dual_lshlrev_b32 v57, v57, v45
	v_and_b32_e32 v57, 7, v57
	s_delay_alu instid0(VALU_DEP_2) | instskip(NEXT) | instid1(VALU_DEP_2)
	v_lshl_add_u32 v56, v56, 23, 0x3b800000
	v_cndmask_b32_e32 v47, v47, v57, vcc_lo
	v_and_b32_e32 v57, 0x80000000, v59
	s_delay_alu instid0(VALU_DEP_2) | instskip(NEXT) | instid1(VALU_DEP_1)
	v_lshlrev_b32_e32 v47, 20, v47
	v_or3_b32 v47, v57, v56, v47
.LBB6_5913:                             ;   in Loop: Header=BB6_5734 Depth=3
	s_or_b32 exec_lo, exec_lo, s13
	v_and_b32_e32 v57, 0xff, v44
	s_mov_b32 s13, 0
	s_mov_b32 s31, exec_lo
                                        ; implicit-def: $sgpr17
	s_delay_alu instid0(VALU_DEP_1)
	v_cmpx_lt_i16_e32 0x7f, v57
	s_xor_b32 s31, exec_lo, s31
	s_cbranch_execnz .LBB6_7688
; %bb.5914:                             ;   in Loop: Header=BB6_5734 Depth=3
	s_or_saveexec_b32 s31, s31
	v_mov_b32_e32 v56, s17
	s_xor_b32 exec_lo, exec_lo, s31
	s_cbranch_execnz .LBB6_7691
.LBB6_5915:                             ;   in Loop: Header=BB6_5734 Depth=3
	s_or_b32 exec_lo, exec_lo, s31
	s_and_saveexec_b32 s17, s13
	s_cbranch_execz .LBB6_5917
.LBB6_5916:                             ;   in Loop: Header=BB6_5734 Depth=3
	v_bfe_u32 v56, v37, 16, 3
	v_bfe_u32 v59, v37, 19, 4
	v_lshlrev_b32_e32 v60, 24, v44
	s_delay_alu instid0(VALU_DEP_3) | instskip(NEXT) | instid1(VALU_DEP_3)
	v_clz_i32_u32_e32 v57, v56
	v_cmp_eq_u32_e32 vcc_lo, 0, v59
	s_delay_alu instid0(VALU_DEP_2) | instskip(NEXT) | instid1(VALU_DEP_1)
	v_min_u32_e32 v57, 32, v57
	v_subrev_nc_u32_e32 v58, 28, v57
	v_sub_nc_u32_e32 v57, 29, v57
	s_delay_alu instid0(VALU_DEP_1) | instskip(NEXT) | instid1(VALU_DEP_1)
	v_dual_cndmask_b32 v57, v59, v57 :: v_dual_lshlrev_b32 v58, v58, v44
	v_and_b32_e32 v58, 7, v58
	s_delay_alu instid0(VALU_DEP_2) | instskip(NEXT) | instid1(VALU_DEP_2)
	v_lshl_add_u32 v57, v57, 23, 0x3b800000
	v_cndmask_b32_e32 v56, v56, v58, vcc_lo
	v_and_b32_e32 v58, 0x80000000, v60
	s_delay_alu instid0(VALU_DEP_2) | instskip(NEXT) | instid1(VALU_DEP_1)
	v_lshlrev_b32_e32 v56, 20, v56
	v_or3_b32 v56, v58, v57, v56
.LBB6_5917:                             ;   in Loop: Header=BB6_5734 Depth=3
	s_or_b32 exec_lo, exec_lo, s17
	s_delay_alu instid0(VALU_DEP_1) | instskip(SKIP_1) | instid1(VALU_DEP_1)
	v_dual_max_f32 v56, v56, v56 :: v_dual_max_f32 v47, v47, v47
	s_mov_b32 s13, 0
	v_max_f32_e32 v47, v47, v56
	s_branch .LBB6_5919
.LBB6_5918:                             ;   in Loop: Header=BB6_5734 Depth=3
	s_mov_b32 s13, -1
                                        ; implicit-def: $vgpr47
.LBB6_5919:                             ;   in Loop: Header=BB6_5734 Depth=3
	s_delay_alu instid0(SALU_CYCLE_1)
	s_and_b32 vcc_lo, exec_lo, s13
	s_cbranch_vccz .LBB6_5929
; %bb.5920:                             ;   in Loop: Header=BB6_5734 Depth=3
	s_mov_b32 s13, 0
	s_mov_b32 s31, exec_lo
                                        ; implicit-def: $sgpr17
	v_cmpx_lt_i16_e32 0x7f, v46
	s_xor_b32 s31, exec_lo, s31
	s_cbranch_execnz .LBB6_7692
; %bb.5921:                             ;   in Loop: Header=BB6_5734 Depth=3
	s_or_saveexec_b32 s31, s31
	v_mov_b32_e32 v47, s17
	s_xor_b32 exec_lo, exec_lo, s31
	s_cbranch_execnz .LBB6_7695
.LBB6_5922:                             ;   in Loop: Header=BB6_5734 Depth=3
	s_or_b32 exec_lo, exec_lo, s31
	s_and_saveexec_b32 s17, s13
	s_cbranch_execz .LBB6_5924
.LBB6_5923:                             ;   in Loop: Header=BB6_5734 Depth=3
	v_bfe_u32 v46, v49, 16, 3
	v_bfe_u32 v57, v49, 19, 4
	s_delay_alu instid0(VALU_DEP_2) | instskip(NEXT) | instid1(VALU_DEP_2)
	v_clz_i32_u32_e32 v47, v46
	v_cmp_eq_u32_e32 vcc_lo, 0, v57
	s_delay_alu instid0(VALU_DEP_2) | instskip(NEXT) | instid1(VALU_DEP_1)
	v_min_u32_e32 v47, 32, v47
	v_subrev_nc_u32_e32 v56, 28, v47
	v_sub_nc_u32_e32 v47, 29, v47
	s_delay_alu instid0(VALU_DEP_1) | instskip(NEXT) | instid1(VALU_DEP_1)
	v_dual_cndmask_b32 v47, v57, v47 :: v_dual_lshlrev_b32 v56, v56, v45
	v_and_b32_e32 v56, 7, v56
	v_lshlrev_b32_e32 v45, 24, v45
	s_delay_alu instid0(VALU_DEP_3) | instskip(NEXT) | instid1(VALU_DEP_2)
	v_lshl_add_u32 v47, v47, 23, 0x3b800000
	v_dual_cndmask_b32 v46, v46, v56 :: v_dual_and_b32 v45, 0x80000000, v45
	s_delay_alu instid0(VALU_DEP_1) | instskip(NEXT) | instid1(VALU_DEP_1)
	v_lshlrev_b32_e32 v46, 20, v46
	v_or3_b32 v47, v45, v47, v46
.LBB6_5924:                             ;   in Loop: Header=BB6_5734 Depth=3
	s_or_b32 exec_lo, exec_lo, s17
	v_and_b32_e32 v46, 0xff, v44
	s_mov_b32 s13, 0
	s_mov_b32 s31, exec_lo
                                        ; implicit-def: $sgpr17
	s_delay_alu instid0(VALU_DEP_1)
	v_cmpx_lt_i16_e32 0x7f, v46
	s_xor_b32 s31, exec_lo, s31
	s_cbranch_execnz .LBB6_7696
; %bb.5925:                             ;   in Loop: Header=BB6_5734 Depth=3
	s_or_saveexec_b32 s31, s31
	v_mov_b32_e32 v45, s17
	s_xor_b32 exec_lo, exec_lo, s31
	s_cbranch_execnz .LBB6_7699
.LBB6_5926:                             ;   in Loop: Header=BB6_5734 Depth=3
	s_or_b32 exec_lo, exec_lo, s31
	s_and_saveexec_b32 s17, s13
	s_cbranch_execz .LBB6_5928
.LBB6_5927:                             ;   in Loop: Header=BB6_5734 Depth=3
	v_bfe_u32 v45, v37, 16, 3
	v_bfe_u32 v57, v37, 19, 4
	s_delay_alu instid0(VALU_DEP_2) | instskip(NEXT) | instid1(VALU_DEP_2)
	v_clz_i32_u32_e32 v46, v45
	v_cmp_eq_u32_e32 vcc_lo, 0, v57
	s_delay_alu instid0(VALU_DEP_2) | instskip(NEXT) | instid1(VALU_DEP_1)
	v_min_u32_e32 v46, 32, v46
	v_subrev_nc_u32_e32 v56, 28, v46
	v_sub_nc_u32_e32 v46, 29, v46
	s_delay_alu instid0(VALU_DEP_2) | instskip(SKIP_1) | instid1(VALU_DEP_2)
	v_lshlrev_b32_e32 v56, v56, v44
	v_lshlrev_b32_e32 v44, 24, v44
	v_and_b32_e32 v56, 7, v56
	s_delay_alu instid0(VALU_DEP_2) | instskip(NEXT) | instid1(VALU_DEP_2)
	v_and_b32_e32 v44, 0x80000000, v44
	v_cndmask_b32_e32 v45, v45, v56, vcc_lo
	s_delay_alu instid0(VALU_DEP_1) | instskip(NEXT) | instid1(VALU_DEP_1)
	v_dual_cndmask_b32 v46, v57, v46 :: v_dual_lshlrev_b32 v45, 20, v45
	v_lshl_add_u32 v46, v46, 23, 0x3b800000
	s_delay_alu instid0(VALU_DEP_1)
	v_or3_b32 v45, v44, v46, v45
.LBB6_5928:                             ;   in Loop: Header=BB6_5734 Depth=3
	s_or_b32 exec_lo, exec_lo, s17
	s_delay_alu instid0(VALU_DEP_1) | instskip(NEXT) | instid1(VALU_DEP_1)
	v_dual_max_f32 v44, v45, v45 :: v_dual_max_f32 v45, v47, v47
	v_min_f32_e32 v47, v45, v44
.LBB6_5929:                             ;   in Loop: Header=BB6_5734 Depth=3
	s_delay_alu instid0(VALU_DEP_1) | instskip(NEXT) | instid1(VALU_DEP_1)
	v_and_b32_e32 v44, 0x7f800000, v47
	v_cmp_ne_u32_e32 vcc_lo, 0x7f800000, v44
	v_mov_b32_e32 v44, 0x80
	s_and_saveexec_b32 s17, vcc_lo
	s_cbranch_execz .LBB6_5937
; %bb.5930:                             ;   in Loop: Header=BB6_5734 Depth=3
	v_mov_b32_e32 v44, 0
	s_mov_b32 s31, exec_lo
	v_cmpx_ne_u32_e32 0, v47
	s_cbranch_execz .LBB6_5936
; %bb.5931:                             ;   in Loop: Header=BB6_5734 Depth=3
	v_bfe_u32 v44, v47, 23, 8
	s_delay_alu instid0(VALU_DEP_1) | instskip(SKIP_1) | instid1(VALU_DEP_2)
	v_sub_nc_u32_e32 v46, 0x78, v44
	v_cmp_gt_u32_e32 vcc_lo, 0x79, v44
	v_dual_cndmask_b32 v46, 0, v46 :: v_dual_and_b32 v45, 0x7fffff, v47
	s_delay_alu instid0(VALU_DEP_1) | instskip(SKIP_2) | instid1(VALU_DEP_4)
	v_or_b32_e32 v56, 0x800000, v45
	v_cmp_eq_u32_e32 vcc_lo, 0, v44
	v_add_nc_u32_e32 v44, 0xffffff89, v44
	v_cndmask_b32_e64 v46, v46, 0x77, vcc_lo
	s_delay_alu instid0(VALU_DEP_4) | instskip(NEXT) | instid1(VALU_DEP_3)
	v_cndmask_b32_e32 v45, v56, v45, vcc_lo
	v_cndmask_b32_e64 v44, v44, 0xffffff8a, vcc_lo
	s_delay_alu instid0(VALU_DEP_3) | instskip(NEXT) | instid1(VALU_DEP_3)
	v_lshl_add_u32 v56, 0x100000, v46, -1
	v_lshrrev_b32_e32 v57, v46, v45
	v_lshlrev_b32_e64 v59, v46, 0x80000
	s_delay_alu instid0(VALU_DEP_4) | instskip(NEXT) | instid1(VALU_DEP_4)
	v_add_nc_u32_e32 v46, v46, v44
	v_and_b32_e32 v45, v56, v45
	s_delay_alu instid0(VALU_DEP_4) | instskip(NEXT) | instid1(VALU_DEP_2)
	v_bfe_u32 v58, v57, 20, 1
	v_cmp_eq_u32_e64 s13, v45, v59
	s_delay_alu instid0(VALU_DEP_2) | instskip(NEXT) | instid1(VALU_DEP_1)
	v_add_nc_u32_e32 v56, -1, v58
	v_cndmask_b32_e64 v45, 0, v56, s13
	v_lshrrev_b32_e32 v56, 23, v57
	s_mov_b32 s13, exec_lo
	s_delay_alu instid0(VALU_DEP_2) | instskip(NEXT) | instid1(VALU_DEP_2)
	v_add_nc_u32_e32 v45, v45, v57
	v_xor_b32_e32 v56, 1, v56
	s_delay_alu instid0(VALU_DEP_2) | instskip(NEXT) | instid1(VALU_DEP_1)
	v_and_b32_e32 v44, 0xfffff, v45
	v_add_nc_u32_e32 v45, v44, v57
                                        ; implicit-def: $vgpr44
	s_delay_alu instid0(VALU_DEP_3)
	v_cmpx_ne_u32_e64 v46, v56
	s_xor_b32 s13, exec_lo, s13
; %bb.5932:                             ;   in Loop: Header=BB6_5734 Depth=3
	s_delay_alu instid0(VALU_DEP_2) | instskip(SKIP_2) | instid1(VALU_DEP_2)
	v_cmp_lt_u32_e32 vcc_lo, 0xffffff, v45
	v_sub_nc_u32_e32 v44, v46, v56
	v_cndmask_b32_e64 v46, 0, 1, vcc_lo
	v_add_co_ci_u32_e32 v44, vcc_lo, 0, v44, vcc_lo
	s_delay_alu instid0(VALU_DEP_2)
	v_lshrrev_b32_e32 v45, v46, v45
; %bb.5933:                             ;   in Loop: Header=BB6_5734 Depth=3
	s_and_not1_saveexec_b32 s13, s13
; %bb.5934:                             ;   in Loop: Header=BB6_5734 Depth=3
	s_delay_alu instid0(VALU_DEP_1)
	v_bfe_u32 v44, v45, 23, 1
; %bb.5935:                             ;   in Loop: Header=BB6_5734 Depth=3
	s_or_b32 exec_lo, exec_lo, s13
	v_lshrrev_b32_e32 v45, 20, v45
	s_delay_alu instid0(VALU_DEP_2) | instskip(SKIP_2) | instid1(VALU_DEP_2)
	v_cmp_gt_i32_e32 vcc_lo, 16, v44
	v_min_i32_e32 v46, 15, v44
	v_lshrrev_b32_e32 v47, 24, v47
	v_dual_cndmask_b32 v45, 7, v45 :: v_dual_lshlrev_b32 v46, 3, v46
	s_delay_alu instid0(VALU_DEP_1) | instskip(SKIP_1) | instid1(VALU_DEP_3)
	v_or_b32_e32 v44, v44, v45
	v_and_b32_e32 v56, 7, v45
	v_and_b32_e32 v46, 0xf8, v46
	s_delay_alu instid0(VALU_DEP_3) | instskip(SKIP_1) | instid1(VALU_DEP_1)
	v_cmp_ne_u32_e32 vcc_lo, 0, v44
	v_and_b32_e32 v47, 0x80, v47
	v_or3_b32 v45, v46, v47, v56
	s_delay_alu instid0(VALU_DEP_1)
	v_cndmask_b32_e32 v44, 0, v45, vcc_lo
.LBB6_5936:                             ;   in Loop: Header=BB6_5734 Depth=3
	s_or_b32 exec_lo, exec_lo, s31
.LBB6_5937:                             ;   in Loop: Header=BB6_5734 Depth=3
	s_delay_alu instid0(SALU_CYCLE_1) | instskip(SKIP_3) | instid1(VALU_DEP_2)
	s_or_b32 exec_lo, exec_lo, s17
	v_lshrrev_b32_e32 v46, 24, v49
	v_lshrrev_b32_e32 v45, 24, v37
	s_and_b32 vcc_lo, exec_lo, s16
	v_cmp_lt_i16_e64 s13, 0x7f, v46
	s_cbranch_vccz .LBB6_5947
; %bb.5938:                             ;   in Loop: Header=BB6_5734 Depth=3
	s_mov_b32 s17, 0
                                        ; implicit-def: $sgpr31
	s_delay_alu instid0(VALU_DEP_1) | instskip(NEXT) | instid1(SALU_CYCLE_1)
	s_and_saveexec_b32 vcc_lo, s13
	s_xor_b32 s13, exec_lo, vcc_lo
	s_cbranch_execnz .LBB6_7700
; %bb.5939:                             ;   in Loop: Header=BB6_5734 Depth=3
	s_or_saveexec_b32 s13, s13
	v_mov_b32_e32 v47, s31
	s_xor_b32 exec_lo, exec_lo, s13
	s_cbranch_execnz .LBB6_7703
.LBB6_5940:                             ;   in Loop: Header=BB6_5734 Depth=3
	s_or_b32 exec_lo, exec_lo, s13
	s_and_saveexec_b32 s13, s17
	s_cbranch_execz .LBB6_5942
.LBB6_5941:                             ;   in Loop: Header=BB6_5734 Depth=3
	v_bfe_u32 v47, v49, 24, 3
	v_bfe_u32 v58, v49, 27, 4
	s_delay_alu instid0(VALU_DEP_2) | instskip(NEXT) | instid1(VALU_DEP_2)
	v_clz_i32_u32_e32 v56, v47
	v_cmp_eq_u32_e32 vcc_lo, 0, v58
	s_delay_alu instid0(VALU_DEP_2) | instskip(NEXT) | instid1(VALU_DEP_1)
	v_min_u32_e32 v56, 32, v56
	v_subrev_nc_u32_e32 v57, 28, v56
	v_sub_nc_u32_e32 v56, 29, v56
	s_delay_alu instid0(VALU_DEP_1) | instskip(NEXT) | instid1(VALU_DEP_1)
	v_dual_cndmask_b32 v56, v58, v56 :: v_dual_lshlrev_b32 v57, v57, v46
	v_and_b32_e32 v57, 7, v57
	s_delay_alu instid0(VALU_DEP_2) | instskip(NEXT) | instid1(VALU_DEP_2)
	v_lshl_add_u32 v56, v56, 23, 0x3b800000
	v_cndmask_b32_e32 v47, v47, v57, vcc_lo
	v_and_b32_e32 v57, 0x80000000, v49
	s_delay_alu instid0(VALU_DEP_2) | instskip(NEXT) | instid1(VALU_DEP_1)
	v_lshlrev_b32_e32 v47, 20, v47
	v_or3_b32 v47, v57, v56, v47
.LBB6_5942:                             ;   in Loop: Header=BB6_5734 Depth=3
	s_or_b32 exec_lo, exec_lo, s13
	s_mov_b32 s13, 0
	s_mov_b32 s31, exec_lo
                                        ; implicit-def: $sgpr17
	v_cmpx_lt_i16_e32 0x7f, v45
	s_xor_b32 s31, exec_lo, s31
	s_cbranch_execnz .LBB6_7704
; %bb.5943:                             ;   in Loop: Header=BB6_5734 Depth=3
	s_or_saveexec_b32 s31, s31
	v_mov_b32_e32 v56, s17
	s_xor_b32 exec_lo, exec_lo, s31
	s_cbranch_execnz .LBB6_7707
.LBB6_5944:                             ;   in Loop: Header=BB6_5734 Depth=3
	s_or_b32 exec_lo, exec_lo, s31
	s_and_saveexec_b32 s17, s13
	s_cbranch_execz .LBB6_5946
.LBB6_5945:                             ;   in Loop: Header=BB6_5734 Depth=3
	v_bfe_u32 v56, v37, 24, 3
	v_bfe_u32 v59, v37, 27, 4
	s_delay_alu instid0(VALU_DEP_2) | instskip(NEXT) | instid1(VALU_DEP_2)
	v_clz_i32_u32_e32 v57, v56
	v_cmp_eq_u32_e32 vcc_lo, 0, v59
	s_delay_alu instid0(VALU_DEP_2) | instskip(NEXT) | instid1(VALU_DEP_1)
	v_min_u32_e32 v57, 32, v57
	v_subrev_nc_u32_e32 v58, 28, v57
	v_sub_nc_u32_e32 v57, 29, v57
	s_delay_alu instid0(VALU_DEP_2) | instskip(NEXT) | instid1(VALU_DEP_1)
	v_lshlrev_b32_e32 v58, v58, v45
	v_dual_cndmask_b32 v57, v59, v57 :: v_dual_and_b32 v58, 7, v58
	s_delay_alu instid0(VALU_DEP_1) | instskip(NEXT) | instid1(VALU_DEP_2)
	v_lshl_add_u32 v57, v57, 23, 0x3b800000
	v_cndmask_b32_e32 v56, v56, v58, vcc_lo
	v_and_b32_e32 v58, 0x80000000, v37
	s_delay_alu instid0(VALU_DEP_2) | instskip(NEXT) | instid1(VALU_DEP_1)
	v_lshlrev_b32_e32 v56, 20, v56
	v_or3_b32 v56, v58, v57, v56
.LBB6_5946:                             ;   in Loop: Header=BB6_5734 Depth=3
	s_or_b32 exec_lo, exec_lo, s17
	s_delay_alu instid0(VALU_DEP_1) | instskip(SKIP_1) | instid1(VALU_DEP_1)
	v_dual_max_f32 v56, v56, v56 :: v_dual_max_f32 v47, v47, v47
	s_mov_b32 s13, 0
	v_max_f32_e32 v47, v47, v56
	s_branch .LBB6_5948
.LBB6_5947:                             ;   in Loop: Header=BB6_5734 Depth=3
	s_mov_b32 s13, -1
                                        ; implicit-def: $vgpr47
.LBB6_5948:                             ;   in Loop: Header=BB6_5734 Depth=3
	s_delay_alu instid0(SALU_CYCLE_1)
	s_and_b32 vcc_lo, exec_lo, s13
	s_cbranch_vccz .LBB6_5958
; %bb.5949:                             ;   in Loop: Header=BB6_5734 Depth=3
	s_mov_b32 s13, 0
	s_mov_b32 s31, exec_lo
                                        ; implicit-def: $sgpr17
	v_cmpx_lt_i16_e32 0x7f, v46
	s_xor_b32 s31, exec_lo, s31
	s_cbranch_execnz .LBB6_7708
; %bb.5950:                             ;   in Loop: Header=BB6_5734 Depth=3
	s_or_saveexec_b32 s31, s31
	v_mov_b32_e32 v47, s17
	s_xor_b32 exec_lo, exec_lo, s31
	s_cbranch_execnz .LBB6_7711
.LBB6_5951:                             ;   in Loop: Header=BB6_5734 Depth=3
	s_or_b32 exec_lo, exec_lo, s31
	s_and_saveexec_b32 s17, s13
	s_cbranch_execz .LBB6_5953
.LBB6_5952:                             ;   in Loop: Header=BB6_5734 Depth=3
	v_bfe_u32 v47, v49, 24, 3
	s_delay_alu instid0(VALU_DEP_1) | instskip(NEXT) | instid1(VALU_DEP_1)
	v_clz_i32_u32_e32 v56, v47
	v_min_u32_e32 v56, 32, v56
	s_delay_alu instid0(VALU_DEP_1) | instskip(SKIP_1) | instid1(VALU_DEP_2)
	v_subrev_nc_u32_e32 v57, 28, v56
	v_sub_nc_u32_e32 v56, 29, v56
	v_lshlrev_b32_e32 v46, v57, v46
	v_bfe_u32 v57, v49, 27, 4
	v_and_b32_e32 v49, 0x80000000, v49
	s_delay_alu instid0(VALU_DEP_3) | instskip(NEXT) | instid1(VALU_DEP_3)
	v_and_b32_e32 v46, 7, v46
	v_cmp_eq_u32_e32 vcc_lo, 0, v57
	v_cndmask_b32_e32 v56, v57, v56, vcc_lo
	s_delay_alu instid0(VALU_DEP_3) | instskip(NEXT) | instid1(VALU_DEP_2)
	v_cndmask_b32_e32 v46, v47, v46, vcc_lo
	v_lshl_add_u32 v47, v56, 23, 0x3b800000
	s_delay_alu instid0(VALU_DEP_2) | instskip(NEXT) | instid1(VALU_DEP_1)
	v_lshlrev_b32_e32 v46, 20, v46
	v_or3_b32 v47, v49, v47, v46
.LBB6_5953:                             ;   in Loop: Header=BB6_5734 Depth=3
	s_or_b32 exec_lo, exec_lo, s17
	s_mov_b32 s13, 0
	s_mov_b32 s31, exec_lo
                                        ; implicit-def: $sgpr17
	v_cmpx_lt_i16_e32 0x7f, v45
	s_xor_b32 s31, exec_lo, s31
	s_cbranch_execnz .LBB6_7712
; %bb.5954:                             ;   in Loop: Header=BB6_5734 Depth=3
	s_or_saveexec_b32 s31, s31
	v_mov_b32_e32 v49, s17
	s_xor_b32 exec_lo, exec_lo, s31
	s_cbranch_execnz .LBB6_7715
.LBB6_5955:                             ;   in Loop: Header=BB6_5734 Depth=3
	s_or_b32 exec_lo, exec_lo, s31
	s_and_saveexec_b32 s17, s13
	s_cbranch_execz .LBB6_5957
.LBB6_5956:                             ;   in Loop: Header=BB6_5734 Depth=3
	v_bfe_u32 v49, v37, 24, 3
	s_delay_alu instid0(VALU_DEP_1) | instskip(NEXT) | instid1(VALU_DEP_1)
	v_clz_i32_u32_e32 v46, v49
	v_min_u32_e32 v46, 32, v46
	s_delay_alu instid0(VALU_DEP_1) | instskip(SKIP_1) | instid1(VALU_DEP_2)
	v_subrev_nc_u32_e32 v56, 28, v46
	v_sub_nc_u32_e32 v46, 29, v46
	v_lshlrev_b32_e32 v45, v56, v45
	v_bfe_u32 v56, v37, 27, 4
	v_and_b32_e32 v37, 0x80000000, v37
	s_delay_alu instid0(VALU_DEP_2) | instskip(NEXT) | instid1(VALU_DEP_4)
	v_cmp_eq_u32_e32 vcc_lo, 0, v56
	v_dual_cndmask_b32 v46, v56, v46 :: v_dual_and_b32 v45, 7, v45
	s_delay_alu instid0(VALU_DEP_1) | instskip(NEXT) | instid1(VALU_DEP_2)
	v_cndmask_b32_e32 v49, v49, v45, vcc_lo
	v_lshl_add_u32 v45, v46, 23, 0x3b800000
	s_delay_alu instid0(VALU_DEP_2) | instskip(NEXT) | instid1(VALU_DEP_1)
	v_lshlrev_b32_e32 v49, 20, v49
	v_or3_b32 v49, v37, v45, v49
.LBB6_5957:                             ;   in Loop: Header=BB6_5734 Depth=3
	s_or_b32 exec_lo, exec_lo, s17
	s_delay_alu instid0(VALU_DEP_1) | instskip(SKIP_1) | instid1(VALU_DEP_1)
	v_max_f32_e32 v37, v49, v49
	v_max_f32_e32 v49, v47, v47
	v_min_f32_e32 v47, v49, v37
.LBB6_5958:                             ;   in Loop: Header=BB6_5734 Depth=3
	s_delay_alu instid0(VALU_DEP_1) | instskip(NEXT) | instid1(VALU_DEP_1)
	v_and_b32_e32 v37, 0x7f800000, v47
	v_cmp_ne_u32_e32 vcc_lo, 0x7f800000, v37
	v_mov_b32_e32 v37, 0x8000
	s_and_saveexec_b32 s17, vcc_lo
	s_cbranch_execz .LBB6_5966
; %bb.5959:                             ;   in Loop: Header=BB6_5734 Depth=3
	v_mov_b32_e32 v37, 0
	s_mov_b32 s31, exec_lo
	v_cmpx_ne_u32_e32 0, v47
	s_cbranch_execz .LBB6_5965
; %bb.5960:                             ;   in Loop: Header=BB6_5734 Depth=3
	v_bfe_u32 v37, v47, 23, 8
	v_and_b32_e32 v49, 0x7fffff, v47
	s_delay_alu instid0(VALU_DEP_2) | instskip(SKIP_1) | instid1(VALU_DEP_3)
	v_sub_nc_u32_e32 v45, 0x78, v37
	v_cmp_gt_u32_e32 vcc_lo, 0x79, v37
	v_or_b32_e32 v46, 0x800000, v49
	s_delay_alu instid0(VALU_DEP_3) | instskip(SKIP_2) | instid1(VALU_DEP_3)
	v_cndmask_b32_e32 v45, 0, v45, vcc_lo
	v_cmp_eq_u32_e32 vcc_lo, 0, v37
	v_add_nc_u32_e32 v37, 0xffffff89, v37
	v_cndmask_b32_e64 v45, v45, 0x77, vcc_lo
	v_cndmask_b32_e32 v49, v46, v49, vcc_lo
	s_delay_alu instid0(VALU_DEP_3) | instskip(NEXT) | instid1(VALU_DEP_3)
	v_cndmask_b32_e64 v37, v37, 0xffffff8a, vcc_lo
	v_lshl_add_u32 v46, 0x100000, v45, -1
	s_delay_alu instid0(VALU_DEP_3) | instskip(SKIP_1) | instid1(VALU_DEP_4)
	v_lshrrev_b32_e32 v56, v45, v49
	v_lshlrev_b32_e64 v58, v45, 0x80000
	v_add_nc_u32_e32 v45, v45, v37
	s_delay_alu instid0(VALU_DEP_4) | instskip(NEXT) | instid1(VALU_DEP_4)
	v_and_b32_e32 v49, v46, v49
	v_bfe_u32 v57, v56, 20, 1
	s_delay_alu instid0(VALU_DEP_2) | instskip(NEXT) | instid1(VALU_DEP_2)
	v_cmp_eq_u32_e64 s13, v49, v58
	v_add_nc_u32_e32 v46, -1, v57
	s_delay_alu instid0(VALU_DEP_1) | instskip(SKIP_2) | instid1(VALU_DEP_2)
	v_cndmask_b32_e64 v49, 0, v46, s13
	v_lshrrev_b32_e32 v46, 23, v56
	s_mov_b32 s13, exec_lo
	v_add_nc_u32_e32 v49, v49, v56
	s_delay_alu instid0(VALU_DEP_2) | instskip(NEXT) | instid1(VALU_DEP_2)
	v_xor_b32_e32 v46, 1, v46
	v_and_b32_e32 v37, 0xfffff, v49
	s_delay_alu instid0(VALU_DEP_1) | instskip(NEXT) | instid1(VALU_DEP_3)
	v_add_nc_u32_e32 v49, v37, v56
                                        ; implicit-def: $vgpr37
	v_cmpx_ne_u32_e64 v45, v46
	s_xor_b32 s13, exec_lo, s13
; %bb.5961:                             ;   in Loop: Header=BB6_5734 Depth=3
	s_delay_alu instid0(VALU_DEP_2) | instskip(SKIP_2) | instid1(VALU_DEP_2)
	v_cmp_lt_u32_e32 vcc_lo, 0xffffff, v49
	v_sub_nc_u32_e32 v37, v45, v46
	v_cndmask_b32_e64 v45, 0, 1, vcc_lo
	v_add_co_ci_u32_e32 v37, vcc_lo, 0, v37, vcc_lo
	s_delay_alu instid0(VALU_DEP_2)
	v_lshrrev_b32_e32 v49, v45, v49
; %bb.5962:                             ;   in Loop: Header=BB6_5734 Depth=3
	s_and_not1_saveexec_b32 s13, s13
; %bb.5963:                             ;   in Loop: Header=BB6_5734 Depth=3
	s_delay_alu instid0(VALU_DEP_1)
	v_bfe_u32 v37, v49, 23, 1
; %bb.5964:                             ;   in Loop: Header=BB6_5734 Depth=3
	s_or_b32 exec_lo, exec_lo, s13
	v_lshrrev_b32_e32 v49, 20, v49
	s_delay_alu instid0(VALU_DEP_2) | instskip(SKIP_2) | instid1(VALU_DEP_3)
	v_min_i32_e32 v45, 15, v37
	v_cmp_gt_i32_e32 vcc_lo, 16, v37
	v_lshrrev_b32_e32 v46, 24, v47
	v_lshlrev_b32_e32 v45, 3, v45
	s_delay_alu instid0(VALU_DEP_2) | instskip(NEXT) | instid1(VALU_DEP_2)
	v_dual_cndmask_b32 v49, 7, v49 :: v_dual_and_b32 v46, 0x80, v46
	v_and_b32_e32 v45, 0xf8, v45
	s_delay_alu instid0(VALU_DEP_2) | instskip(SKIP_1) | instid1(VALU_DEP_2)
	v_and_b32_e32 v47, 7, v49
	v_or_b32_e32 v37, v37, v49
	v_or3_b32 v45, v46, v45, v47
	s_delay_alu instid0(VALU_DEP_2) | instskip(NEXT) | instid1(VALU_DEP_2)
	v_cmp_ne_u32_e32 vcc_lo, 0, v37
	v_lshlrev_b32_e32 v49, 8, v45
	s_delay_alu instid0(VALU_DEP_1)
	v_cndmask_b32_e32 v37, 0, v49, vcc_lo
.LBB6_5965:                             ;   in Loop: Header=BB6_5734 Depth=3
	s_or_b32 exec_lo, exec_lo, s31
.LBB6_5966:                             ;   in Loop: Header=BB6_5734 Depth=3
	s_delay_alu instid0(SALU_CYCLE_1) | instskip(SKIP_2) | instid1(VALU_DEP_1)
	s_or_b32 exec_lo, exec_lo, s17
	v_and_b32_e32 v49, 0xff, v50
	s_and_b32 vcc_lo, exec_lo, s16
	v_cmp_lt_i16_e64 s13, 0x7f, v49
	s_cbranch_vccz .LBB6_5976
; %bb.5967:                             ;   in Loop: Header=BB6_5734 Depth=3
	s_mov_b32 s17, 0
                                        ; implicit-def: $sgpr31
	s_delay_alu instid0(VALU_DEP_1) | instskip(NEXT) | instid1(SALU_CYCLE_1)
	s_and_saveexec_b32 vcc_lo, s13
	s_xor_b32 s13, exec_lo, vcc_lo
	s_cbranch_execnz .LBB6_7716
; %bb.5968:                             ;   in Loop: Header=BB6_5734 Depth=3
	s_or_saveexec_b32 s13, s13
	v_mov_b32_e32 v45, s31
	s_xor_b32 exec_lo, exec_lo, s13
	s_cbranch_execnz .LBB6_7719
.LBB6_5969:                             ;   in Loop: Header=BB6_5734 Depth=3
	s_or_b32 exec_lo, exec_lo, s13
	s_and_saveexec_b32 s13, s17
	s_cbranch_execz .LBB6_5971
.LBB6_5970:                             ;   in Loop: Header=BB6_5734 Depth=3
	v_and_b32_e32 v45, 7, v50
	v_bfe_u32 v56, v50, 3, 4
	v_lshlrev_b32_e32 v57, 24, v50
	s_delay_alu instid0(VALU_DEP_3) | instskip(NEXT) | instid1(VALU_DEP_3)
	v_clz_i32_u32_e32 v46, v45
	v_cmp_eq_u32_e32 vcc_lo, 0, v56
	s_delay_alu instid0(VALU_DEP_2) | instskip(NEXT) | instid1(VALU_DEP_1)
	v_min_u32_e32 v46, 32, v46
	v_subrev_nc_u32_e32 v47, 28, v46
	v_sub_nc_u32_e32 v46, 29, v46
	s_delay_alu instid0(VALU_DEP_2) | instskip(NEXT) | instid1(VALU_DEP_1)
	v_lshlrev_b32_e32 v47, v47, v50
	v_dual_cndmask_b32 v46, v56, v46 :: v_dual_and_b32 v47, 7, v47
	s_delay_alu instid0(VALU_DEP_1) | instskip(NEXT) | instid1(VALU_DEP_2)
	v_lshl_add_u32 v46, v46, 23, 0x3b800000
	v_cndmask_b32_e32 v45, v45, v47, vcc_lo
	v_and_b32_e32 v47, 0x80000000, v57
	s_delay_alu instid0(VALU_DEP_2) | instskip(NEXT) | instid1(VALU_DEP_1)
	v_lshlrev_b32_e32 v45, 20, v45
	v_or3_b32 v45, v47, v46, v45
.LBB6_5971:                             ;   in Loop: Header=BB6_5734 Depth=3
	s_or_b32 exec_lo, exec_lo, s13
	v_and_b32_e32 v47, 0xff, v38
	s_mov_b32 s13, 0
	s_mov_b32 s31, exec_lo
                                        ; implicit-def: $sgpr17
	s_delay_alu instid0(VALU_DEP_1)
	v_cmpx_lt_i16_e32 0x7f, v47
	s_xor_b32 s31, exec_lo, s31
	s_cbranch_execnz .LBB6_7720
; %bb.5972:                             ;   in Loop: Header=BB6_5734 Depth=3
	s_or_saveexec_b32 s31, s31
	v_mov_b32_e32 v46, s17
	s_xor_b32 exec_lo, exec_lo, s31
	s_cbranch_execnz .LBB6_7723
.LBB6_5973:                             ;   in Loop: Header=BB6_5734 Depth=3
	s_or_b32 exec_lo, exec_lo, s31
	s_and_saveexec_b32 s17, s13
	s_cbranch_execz .LBB6_5975
.LBB6_5974:                             ;   in Loop: Header=BB6_5734 Depth=3
	v_bfe_u32 v57, v38, 3, 4
	v_lshlrev_b32_e32 v58, 24, v38
	s_delay_alu instid0(VALU_DEP_2) | instskip(SKIP_1) | instid1(VALU_DEP_1)
	v_cmp_eq_u32_e32 vcc_lo, 0, v57
	v_and_b32_e32 v46, 7, v38
	v_clz_i32_u32_e32 v47, v46
	s_delay_alu instid0(VALU_DEP_1) | instskip(NEXT) | instid1(VALU_DEP_1)
	v_min_u32_e32 v47, 32, v47
	v_subrev_nc_u32_e32 v56, 28, v47
	v_sub_nc_u32_e32 v47, 29, v47
	s_delay_alu instid0(VALU_DEP_1) | instskip(NEXT) | instid1(VALU_DEP_1)
	v_dual_cndmask_b32 v47, v57, v47 :: v_dual_lshlrev_b32 v56, v56, v38
	v_and_b32_e32 v56, 7, v56
	s_delay_alu instid0(VALU_DEP_2) | instskip(NEXT) | instid1(VALU_DEP_2)
	v_lshl_add_u32 v47, v47, 23, 0x3b800000
	v_cndmask_b32_e32 v46, v46, v56, vcc_lo
	v_and_b32_e32 v56, 0x80000000, v58
	s_delay_alu instid0(VALU_DEP_2) | instskip(NEXT) | instid1(VALU_DEP_1)
	v_lshlrev_b32_e32 v46, 20, v46
	v_or3_b32 v46, v56, v47, v46
.LBB6_5975:                             ;   in Loop: Header=BB6_5734 Depth=3
	s_or_b32 exec_lo, exec_lo, s17
	s_delay_alu instid0(VALU_DEP_1) | instskip(SKIP_1) | instid1(VALU_DEP_1)
	v_dual_max_f32 v46, v46, v46 :: v_dual_max_f32 v45, v45, v45
	s_mov_b32 s13, 0
	v_max_f32_e32 v45, v45, v46
	s_branch .LBB6_5977
.LBB6_5976:                             ;   in Loop: Header=BB6_5734 Depth=3
	s_mov_b32 s13, -1
                                        ; implicit-def: $vgpr45
.LBB6_5977:                             ;   in Loop: Header=BB6_5734 Depth=3
	s_delay_alu instid0(SALU_CYCLE_1)
	s_and_b32 vcc_lo, exec_lo, s13
	s_cbranch_vccz .LBB6_5987
; %bb.5978:                             ;   in Loop: Header=BB6_5734 Depth=3
	s_mov_b32 s13, 0
	s_mov_b32 s31, exec_lo
                                        ; implicit-def: $sgpr17
	v_cmpx_lt_i16_e32 0x7f, v49
	s_xor_b32 s31, exec_lo, s31
	s_cbranch_execnz .LBB6_7724
; %bb.5979:                             ;   in Loop: Header=BB6_5734 Depth=3
	s_or_saveexec_b32 s31, s31
	v_mov_b32_e32 v45, s17
	s_xor_b32 exec_lo, exec_lo, s31
	s_cbranch_execnz .LBB6_7727
.LBB6_5980:                             ;   in Loop: Header=BB6_5734 Depth=3
	s_or_b32 exec_lo, exec_lo, s31
	s_and_saveexec_b32 s17, s13
	s_cbranch_execz .LBB6_5982
.LBB6_5981:                             ;   in Loop: Header=BB6_5734 Depth=3
	v_and_b32_e32 v49, 7, v50
	v_bfe_u32 v47, v50, 3, 4
	v_lshlrev_b32_e32 v56, 24, v50
	s_delay_alu instid0(VALU_DEP_3) | instskip(NEXT) | instid1(VALU_DEP_3)
	v_clz_i32_u32_e32 v45, v49
	v_cmp_eq_u32_e32 vcc_lo, 0, v47
	s_delay_alu instid0(VALU_DEP_2) | instskip(NEXT) | instid1(VALU_DEP_1)
	v_min_u32_e32 v45, 32, v45
	v_subrev_nc_u32_e32 v46, 28, v45
	v_sub_nc_u32_e32 v45, 29, v45
	s_delay_alu instid0(VALU_DEP_1) | instskip(NEXT) | instid1(VALU_DEP_1)
	v_dual_cndmask_b32 v45, v47, v45 :: v_dual_lshlrev_b32 v46, v46, v50
	v_and_b32_e32 v46, 7, v46
	s_delay_alu instid0(VALU_DEP_2) | instskip(NEXT) | instid1(VALU_DEP_2)
	v_lshl_add_u32 v45, v45, 23, 0x3b800000
	v_dual_cndmask_b32 v49, v49, v46 :: v_dual_and_b32 v46, 0x80000000, v56
	s_delay_alu instid0(VALU_DEP_1) | instskip(NEXT) | instid1(VALU_DEP_1)
	v_lshlrev_b32_e32 v49, 20, v49
	v_or3_b32 v45, v46, v45, v49
.LBB6_5982:                             ;   in Loop: Header=BB6_5734 Depth=3
	s_or_b32 exec_lo, exec_lo, s17
	v_and_b32_e32 v46, 0xff, v38
	s_mov_b32 s13, 0
	s_mov_b32 s31, exec_lo
                                        ; implicit-def: $sgpr17
	s_delay_alu instid0(VALU_DEP_1)
	v_cmpx_lt_i16_e32 0x7f, v46
	s_xor_b32 s31, exec_lo, s31
	s_cbranch_execnz .LBB6_7728
; %bb.5983:                             ;   in Loop: Header=BB6_5734 Depth=3
	s_or_saveexec_b32 s31, s31
	v_mov_b32_e32 v49, s17
	s_xor_b32 exec_lo, exec_lo, s31
	s_cbranch_execnz .LBB6_7731
.LBB6_5984:                             ;   in Loop: Header=BB6_5734 Depth=3
	s_or_b32 exec_lo, exec_lo, s31
	s_and_saveexec_b32 s17, s13
	s_cbranch_execz .LBB6_5986
.LBB6_5985:                             ;   in Loop: Header=BB6_5734 Depth=3
	v_and_b32_e32 v49, 7, v38
	v_bfe_u32 v56, v38, 3, 4
	v_lshlrev_b32_e32 v57, 24, v38
	s_delay_alu instid0(VALU_DEP_3) | instskip(NEXT) | instid1(VALU_DEP_3)
	v_clz_i32_u32_e32 v46, v49
	v_cmp_eq_u32_e32 vcc_lo, 0, v56
	s_delay_alu instid0(VALU_DEP_2) | instskip(NEXT) | instid1(VALU_DEP_1)
	v_min_u32_e32 v46, 32, v46
	v_subrev_nc_u32_e32 v47, 28, v46
	v_sub_nc_u32_e32 v46, 29, v46
	s_delay_alu instid0(VALU_DEP_2) | instskip(NEXT) | instid1(VALU_DEP_1)
	v_lshlrev_b32_e32 v47, v47, v38
	v_dual_cndmask_b32 v46, v56, v46 :: v_dual_and_b32 v47, 7, v47
	s_delay_alu instid0(VALU_DEP_1) | instskip(NEXT) | instid1(VALU_DEP_2)
	v_lshl_add_u32 v46, v46, 23, 0x3b800000
	v_cndmask_b32_e32 v49, v49, v47, vcc_lo
	v_and_b32_e32 v47, 0x80000000, v57
	s_delay_alu instid0(VALU_DEP_2) | instskip(NEXT) | instid1(VALU_DEP_1)
	v_lshlrev_b32_e32 v49, 20, v49
	v_or3_b32 v49, v47, v46, v49
.LBB6_5986:                             ;   in Loop: Header=BB6_5734 Depth=3
	s_or_b32 exec_lo, exec_lo, s17
	s_delay_alu instid0(VALU_DEP_1) | instskip(SKIP_1) | instid1(VALU_DEP_1)
	v_max_f32_e32 v49, v49, v49
	v_max_f32_e32 v45, v45, v45
	v_min_f32_e32 v45, v45, v49
.LBB6_5987:                             ;   in Loop: Header=BB6_5734 Depth=3
	s_delay_alu instid0(VALU_DEP_1) | instskip(NEXT) | instid1(VALU_DEP_1)
	v_and_b32_e32 v49, 0x7f800000, v45
	v_cmp_ne_u32_e32 vcc_lo, 0x7f800000, v49
	v_mov_b32_e32 v49, 0x80
	s_and_saveexec_b32 s17, vcc_lo
	s_cbranch_execz .LBB6_5995
; %bb.5988:                             ;   in Loop: Header=BB6_5734 Depth=3
	v_mov_b32_e32 v49, 0
	s_mov_b32 s31, exec_lo
	v_cmpx_ne_u32_e32 0, v45
	s_cbranch_execz .LBB6_5994
; %bb.5989:                             ;   in Loop: Header=BB6_5734 Depth=3
	v_bfe_u32 v49, v45, 23, 8
	s_delay_alu instid0(VALU_DEP_1) | instskip(SKIP_1) | instid1(VALU_DEP_2)
	v_sub_nc_u32_e32 v47, 0x78, v49
	v_cmp_gt_u32_e32 vcc_lo, 0x79, v49
	v_dual_cndmask_b32 v47, 0, v47 :: v_dual_and_b32 v46, 0x7fffff, v45
	s_delay_alu instid0(VALU_DEP_1) | instskip(SKIP_2) | instid1(VALU_DEP_4)
	v_or_b32_e32 v56, 0x800000, v46
	v_cmp_eq_u32_e32 vcc_lo, 0, v49
	v_add_nc_u32_e32 v49, 0xffffff89, v49
	v_cndmask_b32_e64 v47, v47, 0x77, vcc_lo
	s_delay_alu instid0(VALU_DEP_4) | instskip(NEXT) | instid1(VALU_DEP_3)
	v_cndmask_b32_e32 v46, v56, v46, vcc_lo
	v_cndmask_b32_e64 v49, v49, 0xffffff8a, vcc_lo
	s_delay_alu instid0(VALU_DEP_3) | instskip(NEXT) | instid1(VALU_DEP_3)
	v_lshl_add_u32 v56, 0x100000, v47, -1
	v_lshrrev_b32_e32 v57, v47, v46
	v_lshlrev_b32_e64 v59, v47, 0x80000
	s_delay_alu instid0(VALU_DEP_4) | instskip(NEXT) | instid1(VALU_DEP_4)
	v_add_nc_u32_e32 v47, v47, v49
	v_and_b32_e32 v46, v56, v46
	s_delay_alu instid0(VALU_DEP_4) | instskip(NEXT) | instid1(VALU_DEP_2)
	v_bfe_u32 v58, v57, 20, 1
	v_cmp_eq_u32_e64 s13, v46, v59
	s_delay_alu instid0(VALU_DEP_2) | instskip(NEXT) | instid1(VALU_DEP_1)
	v_add_nc_u32_e32 v56, -1, v58
	v_cndmask_b32_e64 v46, 0, v56, s13
	v_lshrrev_b32_e32 v56, 23, v57
	s_mov_b32 s13, exec_lo
	s_delay_alu instid0(VALU_DEP_2) | instskip(NEXT) | instid1(VALU_DEP_2)
	v_add_nc_u32_e32 v46, v46, v57
	v_xor_b32_e32 v56, 1, v56
	s_delay_alu instid0(VALU_DEP_2) | instskip(NEXT) | instid1(VALU_DEP_1)
	v_and_b32_e32 v49, 0xfffff, v46
	v_add_nc_u32_e32 v46, v49, v57
                                        ; implicit-def: $vgpr49
	s_delay_alu instid0(VALU_DEP_3)
	v_cmpx_ne_u32_e64 v47, v56
	s_xor_b32 s13, exec_lo, s13
; %bb.5990:                             ;   in Loop: Header=BB6_5734 Depth=3
	s_delay_alu instid0(VALU_DEP_2) | instskip(SKIP_2) | instid1(VALU_DEP_2)
	v_cmp_lt_u32_e32 vcc_lo, 0xffffff, v46
	v_sub_nc_u32_e32 v49, v47, v56
	v_cndmask_b32_e64 v47, 0, 1, vcc_lo
	v_add_co_ci_u32_e32 v49, vcc_lo, 0, v49, vcc_lo
	s_delay_alu instid0(VALU_DEP_2)
	v_lshrrev_b32_e32 v46, v47, v46
; %bb.5991:                             ;   in Loop: Header=BB6_5734 Depth=3
	s_and_not1_saveexec_b32 s13, s13
; %bb.5992:                             ;   in Loop: Header=BB6_5734 Depth=3
	s_delay_alu instid0(VALU_DEP_1)
	v_bfe_u32 v49, v46, 23, 1
; %bb.5993:                             ;   in Loop: Header=BB6_5734 Depth=3
	s_or_b32 exec_lo, exec_lo, s13
	v_lshrrev_b32_e32 v46, 20, v46
	s_delay_alu instid0(VALU_DEP_2) | instskip(SKIP_2) | instid1(VALU_DEP_2)
	v_cmp_gt_i32_e32 vcc_lo, 16, v49
	v_lshrrev_b32_e32 v45, 24, v45
	v_min_i32_e32 v47, 15, v49
	v_dual_cndmask_b32 v46, 7, v46 :: v_dual_and_b32 v45, 0x80, v45
	s_delay_alu instid0(VALU_DEP_2) | instskip(NEXT) | instid1(VALU_DEP_2)
	v_lshlrev_b32_e32 v47, 3, v47
	v_or_b32_e32 v49, v49, v46
	s_delay_alu instid0(VALU_DEP_1) | instskip(SKIP_1) | instid1(VALU_DEP_1)
	v_cmp_ne_u32_e32 vcc_lo, 0, v49
	v_and_b32_e32 v56, 7, v46
	v_or3_b32 v45, v47, v45, v56
	s_delay_alu instid0(VALU_DEP_1)
	v_cndmask_b32_e32 v49, 0, v45, vcc_lo
.LBB6_5994:                             ;   in Loop: Header=BB6_5734 Depth=3
	s_or_b32 exec_lo, exec_lo, s31
.LBB6_5995:                             ;   in Loop: Header=BB6_5734 Depth=3
	s_delay_alu instid0(SALU_CYCLE_1) | instskip(SKIP_3) | instid1(VALU_DEP_2)
	s_or_b32 exec_lo, exec_lo, s17
	v_lshrrev_b16 v46, 8, v50
	v_lshrrev_b16 v45, 8, v38
	s_and_b32 vcc_lo, exec_lo, s16
	v_cmp_lt_i16_e64 s13, 0x7f, v46
	s_cbranch_vccz .LBB6_6005
; %bb.5996:                             ;   in Loop: Header=BB6_5734 Depth=3
	s_mov_b32 s17, 0
                                        ; implicit-def: $sgpr31
	s_delay_alu instid0(VALU_DEP_1) | instskip(NEXT) | instid1(SALU_CYCLE_1)
	s_and_saveexec_b32 vcc_lo, s13
	s_xor_b32 s13, exec_lo, vcc_lo
	s_cbranch_execnz .LBB6_7732
; %bb.5997:                             ;   in Loop: Header=BB6_5734 Depth=3
	s_or_saveexec_b32 s13, s13
	v_mov_b32_e32 v47, s31
	s_xor_b32 exec_lo, exec_lo, s13
	s_cbranch_execnz .LBB6_7735
.LBB6_5998:                             ;   in Loop: Header=BB6_5734 Depth=3
	s_or_b32 exec_lo, exec_lo, s13
	s_and_saveexec_b32 s13, s17
	s_cbranch_execz .LBB6_6000
.LBB6_5999:                             ;   in Loop: Header=BB6_5734 Depth=3
	v_and_b32_e32 v47, 0xffff, v46
	v_lshlrev_b32_e32 v59, 16, v50
	s_delay_alu instid0(VALU_DEP_2) | instskip(NEXT) | instid1(VALU_DEP_1)
	v_and_b32_e32 v56, 7, v47
	v_clz_i32_u32_e32 v57, v56
	s_delay_alu instid0(VALU_DEP_1) | instskip(NEXT) | instid1(VALU_DEP_1)
	v_min_u32_e32 v57, 32, v57
	v_subrev_nc_u32_e32 v58, 28, v57
	v_sub_nc_u32_e32 v57, 29, v57
	s_delay_alu instid0(VALU_DEP_2) | instskip(SKIP_1) | instid1(VALU_DEP_2)
	v_lshlrev_b32_e32 v58, v58, v47
	v_bfe_u32 v47, v47, 3, 4
	v_and_b32_e32 v58, 7, v58
	s_delay_alu instid0(VALU_DEP_2) | instskip(NEXT) | instid1(VALU_DEP_2)
	v_cmp_eq_u32_e32 vcc_lo, 0, v47
	v_dual_cndmask_b32 v47, v47, v57 :: v_dual_cndmask_b32 v56, v56, v58
	v_and_b32_e32 v57, 0x80000000, v59
	s_delay_alu instid0(VALU_DEP_2) | instskip(NEXT) | instid1(VALU_DEP_3)
	v_lshl_add_u32 v47, v47, 23, 0x3b800000
	v_lshlrev_b32_e32 v56, 20, v56
	s_delay_alu instid0(VALU_DEP_1)
	v_or3_b32 v47, v57, v47, v56
.LBB6_6000:                             ;   in Loop: Header=BB6_5734 Depth=3
	s_or_b32 exec_lo, exec_lo, s13
	s_mov_b32 s13, 0
	s_mov_b32 s31, exec_lo
                                        ; implicit-def: $sgpr17
	v_cmpx_lt_i16_e32 0x7f, v45
	s_xor_b32 s31, exec_lo, s31
	s_cbranch_execnz .LBB6_7736
; %bb.6001:                             ;   in Loop: Header=BB6_5734 Depth=3
	s_or_saveexec_b32 s31, s31
	v_mov_b32_e32 v56, s17
	s_xor_b32 exec_lo, exec_lo, s31
	s_cbranch_execnz .LBB6_7739
.LBB6_6002:                             ;   in Loop: Header=BB6_5734 Depth=3
	s_or_b32 exec_lo, exec_lo, s31
	s_and_saveexec_b32 s17, s13
	s_cbranch_execz .LBB6_6004
.LBB6_6003:                             ;   in Loop: Header=BB6_5734 Depth=3
	v_and_b32_e32 v56, 0xffff, v45
	v_lshlrev_b32_e32 v60, 16, v38
	s_delay_alu instid0(VALU_DEP_2) | instskip(NEXT) | instid1(VALU_DEP_1)
	v_and_b32_e32 v57, 7, v56
	v_clz_i32_u32_e32 v58, v57
	s_delay_alu instid0(VALU_DEP_1) | instskip(NEXT) | instid1(VALU_DEP_1)
	v_min_u32_e32 v58, 32, v58
	v_subrev_nc_u32_e32 v59, 28, v58
	v_sub_nc_u32_e32 v58, 29, v58
	s_delay_alu instid0(VALU_DEP_2) | instskip(SKIP_1) | instid1(VALU_DEP_2)
	v_lshlrev_b32_e32 v59, v59, v56
	v_bfe_u32 v56, v56, 3, 4
	v_and_b32_e32 v59, 7, v59
	s_delay_alu instid0(VALU_DEP_2) | instskip(NEXT) | instid1(VALU_DEP_2)
	v_cmp_eq_u32_e32 vcc_lo, 0, v56
	v_dual_cndmask_b32 v56, v56, v58 :: v_dual_cndmask_b32 v57, v57, v59
	v_and_b32_e32 v58, 0x80000000, v60
	s_delay_alu instid0(VALU_DEP_2) | instskip(NEXT) | instid1(VALU_DEP_3)
	v_lshl_add_u32 v56, v56, 23, 0x3b800000
	v_lshlrev_b32_e32 v57, 20, v57
	s_delay_alu instid0(VALU_DEP_1)
	v_or3_b32 v56, v58, v56, v57
.LBB6_6004:                             ;   in Loop: Header=BB6_5734 Depth=3
	s_or_b32 exec_lo, exec_lo, s17
	s_delay_alu instid0(VALU_DEP_1) | instskip(SKIP_1) | instid1(VALU_DEP_1)
	v_dual_max_f32 v56, v56, v56 :: v_dual_max_f32 v47, v47, v47
	s_mov_b32 s13, 0
	v_max_f32_e32 v47, v47, v56
	s_branch .LBB6_6006
.LBB6_6005:                             ;   in Loop: Header=BB6_5734 Depth=3
	s_mov_b32 s13, -1
                                        ; implicit-def: $vgpr47
.LBB6_6006:                             ;   in Loop: Header=BB6_5734 Depth=3
	s_delay_alu instid0(SALU_CYCLE_1)
	s_and_b32 vcc_lo, exec_lo, s13
	s_cbranch_vccz .LBB6_6016
; %bb.6007:                             ;   in Loop: Header=BB6_5734 Depth=3
	s_mov_b32 s13, 0
	s_mov_b32 s31, exec_lo
                                        ; implicit-def: $sgpr17
	v_cmpx_lt_i16_e32 0x7f, v46
	s_xor_b32 s31, exec_lo, s31
	s_cbranch_execnz .LBB6_7740
; %bb.6008:                             ;   in Loop: Header=BB6_5734 Depth=3
	s_or_saveexec_b32 s31, s31
	v_mov_b32_e32 v47, s17
	s_xor_b32 exec_lo, exec_lo, s31
	s_cbranch_execnz .LBB6_7743
.LBB6_6009:                             ;   in Loop: Header=BB6_5734 Depth=3
	s_or_b32 exec_lo, exec_lo, s31
	s_and_saveexec_b32 s17, s13
	s_cbranch_execz .LBB6_6011
.LBB6_6010:                             ;   in Loop: Header=BB6_5734 Depth=3
	v_and_b32_e32 v46, 0xffff, v46
	v_lshlrev_b32_e32 v58, 16, v50
	s_delay_alu instid0(VALU_DEP_2) | instskip(NEXT) | instid1(VALU_DEP_1)
	v_and_b32_e32 v47, 7, v46
	v_clz_i32_u32_e32 v56, v47
	s_delay_alu instid0(VALU_DEP_1) | instskip(NEXT) | instid1(VALU_DEP_1)
	v_min_u32_e32 v56, 32, v56
	v_subrev_nc_u32_e32 v57, 28, v56
	v_sub_nc_u32_e32 v56, 29, v56
	s_delay_alu instid0(VALU_DEP_2) | instskip(SKIP_1) | instid1(VALU_DEP_2)
	v_lshlrev_b32_e32 v57, v57, v46
	v_bfe_u32 v46, v46, 3, 4
	v_and_b32_e32 v57, 7, v57
	s_delay_alu instid0(VALU_DEP_2) | instskip(NEXT) | instid1(VALU_DEP_2)
	v_cmp_eq_u32_e32 vcc_lo, 0, v46
	v_dual_cndmask_b32 v46, v46, v56 :: v_dual_cndmask_b32 v47, v47, v57
	v_and_b32_e32 v56, 0x80000000, v58
	s_delay_alu instid0(VALU_DEP_2) | instskip(NEXT) | instid1(VALU_DEP_3)
	v_lshl_add_u32 v46, v46, 23, 0x3b800000
	v_lshlrev_b32_e32 v47, 20, v47
	s_delay_alu instid0(VALU_DEP_1)
	v_or3_b32 v47, v56, v46, v47
.LBB6_6011:                             ;   in Loop: Header=BB6_5734 Depth=3
	s_or_b32 exec_lo, exec_lo, s17
	s_mov_b32 s13, 0
	s_mov_b32 s31, exec_lo
                                        ; implicit-def: $sgpr17
	v_cmpx_lt_i16_e32 0x7f, v45
	s_xor_b32 s31, exec_lo, s31
	s_cbranch_execnz .LBB6_7744
; %bb.6012:                             ;   in Loop: Header=BB6_5734 Depth=3
	s_or_saveexec_b32 s31, s31
	v_mov_b32_e32 v46, s17
	s_xor_b32 exec_lo, exec_lo, s31
	s_cbranch_execnz .LBB6_7747
.LBB6_6013:                             ;   in Loop: Header=BB6_5734 Depth=3
	s_or_b32 exec_lo, exec_lo, s31
	s_and_saveexec_b32 s17, s13
	s_cbranch_execz .LBB6_6015
.LBB6_6014:                             ;   in Loop: Header=BB6_5734 Depth=3
	v_and_b32_e32 v45, 0xffff, v45
	v_lshlrev_b32_e32 v58, 16, v38
	s_delay_alu instid0(VALU_DEP_2) | instskip(NEXT) | instid1(VALU_DEP_1)
	v_and_b32_e32 v46, 7, v45
	v_clz_i32_u32_e32 v56, v46
	s_delay_alu instid0(VALU_DEP_1) | instskip(NEXT) | instid1(VALU_DEP_1)
	v_min_u32_e32 v56, 32, v56
	v_subrev_nc_u32_e32 v57, 28, v56
	v_sub_nc_u32_e32 v56, 29, v56
	s_delay_alu instid0(VALU_DEP_2) | instskip(SKIP_1) | instid1(VALU_DEP_2)
	v_lshlrev_b32_e32 v57, v57, v45
	v_bfe_u32 v45, v45, 3, 4
	v_and_b32_e32 v57, 7, v57
	s_delay_alu instid0(VALU_DEP_2) | instskip(NEXT) | instid1(VALU_DEP_2)
	v_cmp_eq_u32_e32 vcc_lo, 0, v45
	v_dual_cndmask_b32 v45, v45, v56 :: v_dual_cndmask_b32 v46, v46, v57
	v_and_b32_e32 v56, 0x80000000, v58
	s_delay_alu instid0(VALU_DEP_2) | instskip(NEXT) | instid1(VALU_DEP_3)
	v_lshl_add_u32 v45, v45, 23, 0x3b800000
	v_lshlrev_b32_e32 v46, 20, v46
	s_delay_alu instid0(VALU_DEP_1)
	v_or3_b32 v46, v56, v45, v46
.LBB6_6015:                             ;   in Loop: Header=BB6_5734 Depth=3
	s_or_b32 exec_lo, exec_lo, s17
	s_delay_alu instid0(VALU_DEP_1) | instskip(NEXT) | instid1(VALU_DEP_1)
	v_dual_max_f32 v45, v46, v46 :: v_dual_max_f32 v46, v47, v47
	v_min_f32_e32 v47, v46, v45
.LBB6_6016:                             ;   in Loop: Header=BB6_5734 Depth=3
	s_delay_alu instid0(VALU_DEP_1) | instskip(NEXT) | instid1(VALU_DEP_1)
	v_and_b32_e32 v45, 0x7f800000, v47
	v_cmp_ne_u32_e32 vcc_lo, 0x7f800000, v45
	v_mov_b32_e32 v45, 0x80
	s_and_saveexec_b32 s17, vcc_lo
	s_cbranch_execz .LBB6_6024
; %bb.6017:                             ;   in Loop: Header=BB6_5734 Depth=3
	v_mov_b32_e32 v45, 0
	s_mov_b32 s31, exec_lo
	v_cmpx_ne_u32_e32 0, v47
	s_cbranch_execz .LBB6_6023
; %bb.6018:                             ;   in Loop: Header=BB6_5734 Depth=3
	v_bfe_u32 v45, v47, 23, 8
	v_and_b32_e32 v46, 0x7fffff, v47
	s_delay_alu instid0(VALU_DEP_2) | instskip(SKIP_1) | instid1(VALU_DEP_3)
	v_sub_nc_u32_e32 v56, 0x78, v45
	v_cmp_gt_u32_e32 vcc_lo, 0x79, v45
	v_or_b32_e32 v57, 0x800000, v46
	s_delay_alu instid0(VALU_DEP_3) | instskip(SKIP_2) | instid1(VALU_DEP_3)
	v_cndmask_b32_e32 v56, 0, v56, vcc_lo
	v_cmp_eq_u32_e32 vcc_lo, 0, v45
	v_add_nc_u32_e32 v45, 0xffffff89, v45
	v_cndmask_b32_e64 v56, v56, 0x77, vcc_lo
	v_cndmask_b32_e32 v46, v57, v46, vcc_lo
	s_delay_alu instid0(VALU_DEP_3) | instskip(NEXT) | instid1(VALU_DEP_3)
	v_cndmask_b32_e64 v45, v45, 0xffffff8a, vcc_lo
	v_lshl_add_u32 v57, 0x100000, v56, -1
	s_delay_alu instid0(VALU_DEP_3) | instskip(SKIP_1) | instid1(VALU_DEP_4)
	v_lshrrev_b32_e32 v58, v56, v46
	v_lshlrev_b32_e64 v60, v56, 0x80000
	v_add_nc_u32_e32 v56, v56, v45
	s_delay_alu instid0(VALU_DEP_4) | instskip(NEXT) | instid1(VALU_DEP_4)
	v_and_b32_e32 v46, v57, v46
	v_bfe_u32 v59, v58, 20, 1
	s_delay_alu instid0(VALU_DEP_2) | instskip(NEXT) | instid1(VALU_DEP_2)
	v_cmp_eq_u32_e64 s13, v46, v60
	v_add_nc_u32_e32 v57, -1, v59
	s_delay_alu instid0(VALU_DEP_1) | instskip(SKIP_2) | instid1(VALU_DEP_2)
	v_cndmask_b32_e64 v46, 0, v57, s13
	v_lshrrev_b32_e32 v57, 23, v58
	s_mov_b32 s13, exec_lo
	v_add_nc_u32_e32 v46, v46, v58
	s_delay_alu instid0(VALU_DEP_2) | instskip(NEXT) | instid1(VALU_DEP_2)
	v_xor_b32_e32 v57, 1, v57
	v_and_b32_e32 v45, 0xfffff, v46
	s_delay_alu instid0(VALU_DEP_1) | instskip(NEXT) | instid1(VALU_DEP_3)
	v_add_nc_u32_e32 v46, v45, v58
                                        ; implicit-def: $vgpr45
	v_cmpx_ne_u32_e64 v56, v57
	s_xor_b32 s13, exec_lo, s13
; %bb.6019:                             ;   in Loop: Header=BB6_5734 Depth=3
	s_delay_alu instid0(VALU_DEP_2) | instskip(SKIP_2) | instid1(VALU_DEP_2)
	v_cmp_lt_u32_e32 vcc_lo, 0xffffff, v46
	v_sub_nc_u32_e32 v45, v56, v57
	v_cndmask_b32_e64 v56, 0, 1, vcc_lo
	v_add_co_ci_u32_e32 v45, vcc_lo, 0, v45, vcc_lo
	s_delay_alu instid0(VALU_DEP_2)
	v_lshrrev_b32_e32 v46, v56, v46
; %bb.6020:                             ;   in Loop: Header=BB6_5734 Depth=3
	s_and_not1_saveexec_b32 s13, s13
; %bb.6021:                             ;   in Loop: Header=BB6_5734 Depth=3
	s_delay_alu instid0(VALU_DEP_1)
	v_bfe_u32 v45, v46, 23, 1
; %bb.6022:                             ;   in Loop: Header=BB6_5734 Depth=3
	s_or_b32 exec_lo, exec_lo, s13
	v_lshrrev_b32_e32 v46, 20, v46
	s_delay_alu instid0(VALU_DEP_2) | instskip(SKIP_2) | instid1(VALU_DEP_2)
	v_cmp_gt_i32_e32 vcc_lo, 16, v45
	v_lshrrev_b32_e32 v47, 24, v47
	v_min_i32_e32 v56, 15, v45
	v_dual_cndmask_b32 v46, 7, v46 :: v_dual_and_b32 v47, 0x80, v47
	s_delay_alu instid0(VALU_DEP_1) | instskip(SKIP_1) | instid1(VALU_DEP_2)
	v_or_b32_e32 v45, v45, v46
	v_and_b32_e32 v57, 7, v46
	v_cmp_ne_u32_e32 vcc_lo, 0, v45
	v_lshlrev_b32_e32 v56, 3, v56
	s_delay_alu instid0(VALU_DEP_1) | instskip(NEXT) | instid1(VALU_DEP_1)
	v_or3_b32 v46, v56, v47, v57
	v_cndmask_b32_e32 v45, 0, v46, vcc_lo
.LBB6_6023:                             ;   in Loop: Header=BB6_5734 Depth=3
	s_or_b32 exec_lo, exec_lo, s31
.LBB6_6024:                             ;   in Loop: Header=BB6_5734 Depth=3
	s_delay_alu instid0(SALU_CYCLE_1) | instskip(SKIP_3) | instid1(VALU_DEP_2)
	s_or_b32 exec_lo, exec_lo, s17
	v_lshrrev_b32_e32 v47, 16, v50
	v_lshrrev_b32_e32 v46, 16, v38
	s_and_b32 vcc_lo, exec_lo, s16
	v_and_b32_e32 v56, 0xff, v47
	s_delay_alu instid0(VALU_DEP_1)
	v_cmp_lt_i16_e64 s13, 0x7f, v56
	s_cbranch_vccz .LBB6_6034
; %bb.6025:                             ;   in Loop: Header=BB6_5734 Depth=3
	s_mov_b32 s17, 0
                                        ; implicit-def: $sgpr31
	s_delay_alu instid0(VALU_DEP_1) | instskip(NEXT) | instid1(SALU_CYCLE_1)
	s_and_saveexec_b32 vcc_lo, s13
	s_xor_b32 s13, exec_lo, vcc_lo
	s_cbranch_execnz .LBB6_7748
; %bb.6026:                             ;   in Loop: Header=BB6_5734 Depth=3
	s_or_saveexec_b32 s13, s13
	v_mov_b32_e32 v57, s31
	s_xor_b32 exec_lo, exec_lo, s13
	s_cbranch_execnz .LBB6_7751
.LBB6_6027:                             ;   in Loop: Header=BB6_5734 Depth=3
	s_or_b32 exec_lo, exec_lo, s13
	s_and_saveexec_b32 s13, s17
	s_cbranch_execz .LBB6_6029
.LBB6_6028:                             ;   in Loop: Header=BB6_5734 Depth=3
	v_bfe_u32 v57, v50, 16, 3
	v_bfe_u32 v60, v50, 19, 4
	v_lshlrev_b32_e32 v61, 24, v47
	s_delay_alu instid0(VALU_DEP_3) | instskip(NEXT) | instid1(VALU_DEP_3)
	v_clz_i32_u32_e32 v58, v57
	v_cmp_eq_u32_e32 vcc_lo, 0, v60
	s_delay_alu instid0(VALU_DEP_2) | instskip(NEXT) | instid1(VALU_DEP_1)
	v_min_u32_e32 v58, 32, v58
	v_subrev_nc_u32_e32 v59, 28, v58
	v_sub_nc_u32_e32 v58, 29, v58
	s_delay_alu instid0(VALU_DEP_1) | instskip(NEXT) | instid1(VALU_DEP_1)
	v_dual_cndmask_b32 v58, v60, v58 :: v_dual_lshlrev_b32 v59, v59, v47
	v_and_b32_e32 v59, 7, v59
	s_delay_alu instid0(VALU_DEP_2) | instskip(NEXT) | instid1(VALU_DEP_2)
	v_lshl_add_u32 v58, v58, 23, 0x3b800000
	v_cndmask_b32_e32 v57, v57, v59, vcc_lo
	v_and_b32_e32 v59, 0x80000000, v61
	s_delay_alu instid0(VALU_DEP_2) | instskip(NEXT) | instid1(VALU_DEP_1)
	v_lshlrev_b32_e32 v57, 20, v57
	v_or3_b32 v57, v59, v58, v57
.LBB6_6029:                             ;   in Loop: Header=BB6_5734 Depth=3
	s_or_b32 exec_lo, exec_lo, s13
	v_and_b32_e32 v59, 0xff, v46
	s_mov_b32 s13, 0
	s_mov_b32 s31, exec_lo
                                        ; implicit-def: $sgpr17
	s_delay_alu instid0(VALU_DEP_1)
	v_cmpx_lt_i16_e32 0x7f, v59
	s_xor_b32 s31, exec_lo, s31
	s_cbranch_execnz .LBB6_7752
; %bb.6030:                             ;   in Loop: Header=BB6_5734 Depth=3
	s_or_saveexec_b32 s31, s31
	v_mov_b32_e32 v58, s17
	s_xor_b32 exec_lo, exec_lo, s31
	s_cbranch_execnz .LBB6_7755
.LBB6_6031:                             ;   in Loop: Header=BB6_5734 Depth=3
	s_or_b32 exec_lo, exec_lo, s31
	s_and_saveexec_b32 s17, s13
	s_cbranch_execz .LBB6_6033
.LBB6_6032:                             ;   in Loop: Header=BB6_5734 Depth=3
	v_bfe_u32 v58, v38, 16, 3
	v_bfe_u32 v61, v38, 19, 4
	v_lshlrev_b32_e32 v62, 24, v46
	s_delay_alu instid0(VALU_DEP_3) | instskip(NEXT) | instid1(VALU_DEP_3)
	v_clz_i32_u32_e32 v59, v58
	v_cmp_eq_u32_e32 vcc_lo, 0, v61
	s_delay_alu instid0(VALU_DEP_2) | instskip(NEXT) | instid1(VALU_DEP_1)
	v_min_u32_e32 v59, 32, v59
	v_subrev_nc_u32_e32 v60, 28, v59
	v_sub_nc_u32_e32 v59, 29, v59
	s_delay_alu instid0(VALU_DEP_1) | instskip(NEXT) | instid1(VALU_DEP_1)
	v_dual_cndmask_b32 v59, v61, v59 :: v_dual_lshlrev_b32 v60, v60, v46
	v_and_b32_e32 v60, 7, v60
	s_delay_alu instid0(VALU_DEP_2) | instskip(NEXT) | instid1(VALU_DEP_2)
	v_lshl_add_u32 v59, v59, 23, 0x3b800000
	v_cndmask_b32_e32 v58, v58, v60, vcc_lo
	v_and_b32_e32 v60, 0x80000000, v62
	s_delay_alu instid0(VALU_DEP_2) | instskip(NEXT) | instid1(VALU_DEP_1)
	v_lshlrev_b32_e32 v58, 20, v58
	v_or3_b32 v58, v60, v59, v58
.LBB6_6033:                             ;   in Loop: Header=BB6_5734 Depth=3
	s_or_b32 exec_lo, exec_lo, s17
	s_delay_alu instid0(VALU_DEP_1) | instskip(SKIP_1) | instid1(VALU_DEP_1)
	v_dual_max_f32 v58, v58, v58 :: v_dual_max_f32 v57, v57, v57
	s_mov_b32 s13, 0
	v_max_f32_e32 v57, v57, v58
	s_branch .LBB6_6035
.LBB6_6034:                             ;   in Loop: Header=BB6_5734 Depth=3
	s_mov_b32 s13, -1
                                        ; implicit-def: $vgpr57
.LBB6_6035:                             ;   in Loop: Header=BB6_5734 Depth=3
	s_delay_alu instid0(SALU_CYCLE_1)
	s_and_b32 vcc_lo, exec_lo, s13
	s_cbranch_vccz .LBB6_6045
; %bb.6036:                             ;   in Loop: Header=BB6_5734 Depth=3
	s_mov_b32 s13, 0
	s_mov_b32 s31, exec_lo
                                        ; implicit-def: $sgpr17
	v_cmpx_lt_i16_e32 0x7f, v56
	s_xor_b32 s31, exec_lo, s31
	s_cbranch_execnz .LBB6_7756
; %bb.6037:                             ;   in Loop: Header=BB6_5734 Depth=3
	s_or_saveexec_b32 s31, s31
	v_mov_b32_e32 v57, s17
	s_xor_b32 exec_lo, exec_lo, s31
	s_cbranch_execnz .LBB6_7759
.LBB6_6038:                             ;   in Loop: Header=BB6_5734 Depth=3
	s_or_b32 exec_lo, exec_lo, s31
	s_and_saveexec_b32 s17, s13
	s_cbranch_execz .LBB6_6040
.LBB6_6039:                             ;   in Loop: Header=BB6_5734 Depth=3
	v_bfe_u32 v56, v50, 16, 3
	v_bfe_u32 v59, v50, 19, 4
	s_delay_alu instid0(VALU_DEP_2) | instskip(NEXT) | instid1(VALU_DEP_2)
	v_clz_i32_u32_e32 v57, v56
	v_cmp_eq_u32_e32 vcc_lo, 0, v59
	s_delay_alu instid0(VALU_DEP_2) | instskip(NEXT) | instid1(VALU_DEP_1)
	v_min_u32_e32 v57, 32, v57
	v_subrev_nc_u32_e32 v58, 28, v57
	v_sub_nc_u32_e32 v57, 29, v57
	s_delay_alu instid0(VALU_DEP_1) | instskip(NEXT) | instid1(VALU_DEP_1)
	v_dual_cndmask_b32 v57, v59, v57 :: v_dual_lshlrev_b32 v58, v58, v47
	v_and_b32_e32 v58, 7, v58
	v_lshlrev_b32_e32 v47, 24, v47
	s_delay_alu instid0(VALU_DEP_3) | instskip(NEXT) | instid1(VALU_DEP_2)
	v_lshl_add_u32 v57, v57, 23, 0x3b800000
	v_dual_cndmask_b32 v56, v56, v58 :: v_dual_and_b32 v47, 0x80000000, v47
	s_delay_alu instid0(VALU_DEP_1) | instskip(NEXT) | instid1(VALU_DEP_1)
	v_lshlrev_b32_e32 v56, 20, v56
	v_or3_b32 v57, v47, v57, v56
.LBB6_6040:                             ;   in Loop: Header=BB6_5734 Depth=3
	s_or_b32 exec_lo, exec_lo, s17
	v_and_b32_e32 v56, 0xff, v46
	s_mov_b32 s13, 0
	s_mov_b32 s31, exec_lo
                                        ; implicit-def: $sgpr17
	s_delay_alu instid0(VALU_DEP_1)
	v_cmpx_lt_i16_e32 0x7f, v56
	s_xor_b32 s31, exec_lo, s31
	s_cbranch_execnz .LBB6_7760
; %bb.6041:                             ;   in Loop: Header=BB6_5734 Depth=3
	s_or_saveexec_b32 s31, s31
	v_mov_b32_e32 v47, s17
	s_xor_b32 exec_lo, exec_lo, s31
	s_cbranch_execnz .LBB6_7763
.LBB6_6042:                             ;   in Loop: Header=BB6_5734 Depth=3
	s_or_b32 exec_lo, exec_lo, s31
	s_and_saveexec_b32 s17, s13
	s_cbranch_execz .LBB6_6044
.LBB6_6043:                             ;   in Loop: Header=BB6_5734 Depth=3
	v_bfe_u32 v47, v38, 16, 3
	v_bfe_u32 v59, v38, 19, 4
	s_delay_alu instid0(VALU_DEP_2) | instskip(NEXT) | instid1(VALU_DEP_2)
	v_clz_i32_u32_e32 v56, v47
	v_cmp_eq_u32_e32 vcc_lo, 0, v59
	s_delay_alu instid0(VALU_DEP_2) | instskip(NEXT) | instid1(VALU_DEP_1)
	v_min_u32_e32 v56, 32, v56
	v_subrev_nc_u32_e32 v58, 28, v56
	v_sub_nc_u32_e32 v56, 29, v56
	s_delay_alu instid0(VALU_DEP_2) | instskip(SKIP_1) | instid1(VALU_DEP_2)
	v_lshlrev_b32_e32 v58, v58, v46
	v_lshlrev_b32_e32 v46, 24, v46
	v_and_b32_e32 v58, 7, v58
	s_delay_alu instid0(VALU_DEP_2) | instskip(NEXT) | instid1(VALU_DEP_2)
	v_and_b32_e32 v46, 0x80000000, v46
	v_cndmask_b32_e32 v47, v47, v58, vcc_lo
	s_delay_alu instid0(VALU_DEP_1) | instskip(NEXT) | instid1(VALU_DEP_1)
	v_dual_cndmask_b32 v56, v59, v56 :: v_dual_lshlrev_b32 v47, 20, v47
	v_lshl_add_u32 v56, v56, 23, 0x3b800000
	s_delay_alu instid0(VALU_DEP_1)
	v_or3_b32 v47, v46, v56, v47
.LBB6_6044:                             ;   in Loop: Header=BB6_5734 Depth=3
	s_or_b32 exec_lo, exec_lo, s17
	s_delay_alu instid0(VALU_DEP_1) | instskip(NEXT) | instid1(VALU_DEP_1)
	v_dual_max_f32 v46, v47, v47 :: v_dual_max_f32 v47, v57, v57
	v_min_f32_e32 v57, v47, v46
.LBB6_6045:                             ;   in Loop: Header=BB6_5734 Depth=3
	s_delay_alu instid0(VALU_DEP_1) | instskip(NEXT) | instid1(VALU_DEP_1)
	v_and_b32_e32 v46, 0x7f800000, v57
	v_cmp_ne_u32_e32 vcc_lo, 0x7f800000, v46
	v_mov_b32_e32 v46, 0x80
	s_and_saveexec_b32 s17, vcc_lo
	s_cbranch_execz .LBB6_6053
; %bb.6046:                             ;   in Loop: Header=BB6_5734 Depth=3
	v_mov_b32_e32 v46, 0
	s_mov_b32 s31, exec_lo
	v_cmpx_ne_u32_e32 0, v57
	s_cbranch_execz .LBB6_6052
; %bb.6047:                             ;   in Loop: Header=BB6_5734 Depth=3
	v_bfe_u32 v46, v57, 23, 8
	s_delay_alu instid0(VALU_DEP_1) | instskip(SKIP_1) | instid1(VALU_DEP_2)
	v_sub_nc_u32_e32 v56, 0x78, v46
	v_cmp_gt_u32_e32 vcc_lo, 0x79, v46
	v_dual_cndmask_b32 v56, 0, v56 :: v_dual_and_b32 v47, 0x7fffff, v57
	s_delay_alu instid0(VALU_DEP_1) | instskip(SKIP_2) | instid1(VALU_DEP_4)
	v_or_b32_e32 v58, 0x800000, v47
	v_cmp_eq_u32_e32 vcc_lo, 0, v46
	v_add_nc_u32_e32 v46, 0xffffff89, v46
	v_cndmask_b32_e64 v56, v56, 0x77, vcc_lo
	s_delay_alu instid0(VALU_DEP_4) | instskip(NEXT) | instid1(VALU_DEP_3)
	v_cndmask_b32_e32 v47, v58, v47, vcc_lo
	v_cndmask_b32_e64 v46, v46, 0xffffff8a, vcc_lo
	s_delay_alu instid0(VALU_DEP_3) | instskip(NEXT) | instid1(VALU_DEP_3)
	v_lshl_add_u32 v58, 0x100000, v56, -1
	v_lshrrev_b32_e32 v59, v56, v47
	v_lshlrev_b32_e64 v61, v56, 0x80000
	s_delay_alu instid0(VALU_DEP_4) | instskip(NEXT) | instid1(VALU_DEP_4)
	v_add_nc_u32_e32 v56, v56, v46
	v_and_b32_e32 v47, v58, v47
	s_delay_alu instid0(VALU_DEP_4) | instskip(NEXT) | instid1(VALU_DEP_2)
	v_bfe_u32 v60, v59, 20, 1
	v_cmp_eq_u32_e64 s13, v47, v61
	s_delay_alu instid0(VALU_DEP_2) | instskip(NEXT) | instid1(VALU_DEP_1)
	v_add_nc_u32_e32 v58, -1, v60
	v_cndmask_b32_e64 v47, 0, v58, s13
	v_lshrrev_b32_e32 v58, 23, v59
	s_mov_b32 s13, exec_lo
	s_delay_alu instid0(VALU_DEP_2) | instskip(NEXT) | instid1(VALU_DEP_2)
	v_add_nc_u32_e32 v47, v47, v59
	v_xor_b32_e32 v58, 1, v58
	s_delay_alu instid0(VALU_DEP_2) | instskip(NEXT) | instid1(VALU_DEP_1)
	v_and_b32_e32 v46, 0xfffff, v47
	v_add_nc_u32_e32 v47, v46, v59
                                        ; implicit-def: $vgpr46
	s_delay_alu instid0(VALU_DEP_3)
	v_cmpx_ne_u32_e64 v56, v58
	s_xor_b32 s13, exec_lo, s13
; %bb.6048:                             ;   in Loop: Header=BB6_5734 Depth=3
	s_delay_alu instid0(VALU_DEP_2) | instskip(SKIP_2) | instid1(VALU_DEP_2)
	v_cmp_lt_u32_e32 vcc_lo, 0xffffff, v47
	v_sub_nc_u32_e32 v46, v56, v58
	v_cndmask_b32_e64 v56, 0, 1, vcc_lo
	v_add_co_ci_u32_e32 v46, vcc_lo, 0, v46, vcc_lo
	s_delay_alu instid0(VALU_DEP_2)
	v_lshrrev_b32_e32 v47, v56, v47
; %bb.6049:                             ;   in Loop: Header=BB6_5734 Depth=3
	s_and_not1_saveexec_b32 s13, s13
; %bb.6050:                             ;   in Loop: Header=BB6_5734 Depth=3
	s_delay_alu instid0(VALU_DEP_1)
	v_bfe_u32 v46, v47, 23, 1
; %bb.6051:                             ;   in Loop: Header=BB6_5734 Depth=3
	s_or_b32 exec_lo, exec_lo, s13
	v_lshrrev_b32_e32 v47, 20, v47
	s_delay_alu instid0(VALU_DEP_2) | instskip(SKIP_2) | instid1(VALU_DEP_2)
	v_cmp_gt_i32_e32 vcc_lo, 16, v46
	v_lshrrev_b32_e32 v56, 24, v57
	v_min_i32_e32 v57, 15, v46
	v_dual_cndmask_b32 v47, 7, v47 :: v_dual_and_b32 v56, 0x80, v56
	s_delay_alu instid0(VALU_DEP_1) | instskip(SKIP_1) | instid1(VALU_DEP_2)
	v_or_b32_e32 v46, v46, v47
	v_and_b32_e32 v58, 7, v47
	v_cmp_ne_u32_e32 vcc_lo, 0, v46
	v_lshlrev_b32_e32 v57, 3, v57
	s_delay_alu instid0(VALU_DEP_1) | instskip(NEXT) | instid1(VALU_DEP_1)
	v_or3_b32 v47, v57, v56, v58
	v_cndmask_b32_e32 v46, 0, v47, vcc_lo
.LBB6_6052:                             ;   in Loop: Header=BB6_5734 Depth=3
	s_or_b32 exec_lo, exec_lo, s31
.LBB6_6053:                             ;   in Loop: Header=BB6_5734 Depth=3
	s_delay_alu instid0(SALU_CYCLE_1) | instskip(SKIP_3) | instid1(VALU_DEP_2)
	s_or_b32 exec_lo, exec_lo, s17
	v_lshrrev_b32_e32 v56, 24, v50
	v_lshrrev_b32_e32 v47, 24, v38
	s_and_b32 vcc_lo, exec_lo, s16
	v_cmp_lt_i16_e64 s13, 0x7f, v56
	s_cbranch_vccz .LBB6_6063
; %bb.6054:                             ;   in Loop: Header=BB6_5734 Depth=3
	s_mov_b32 s17, 0
                                        ; implicit-def: $sgpr31
	s_delay_alu instid0(VALU_DEP_1) | instskip(NEXT) | instid1(SALU_CYCLE_1)
	s_and_saveexec_b32 vcc_lo, s13
	s_xor_b32 s13, exec_lo, vcc_lo
	s_cbranch_execnz .LBB6_7764
; %bb.6055:                             ;   in Loop: Header=BB6_5734 Depth=3
	s_or_saveexec_b32 s13, s13
	v_mov_b32_e32 v57, s31
	s_xor_b32 exec_lo, exec_lo, s13
	s_cbranch_execnz .LBB6_7767
.LBB6_6056:                             ;   in Loop: Header=BB6_5734 Depth=3
	s_or_b32 exec_lo, exec_lo, s13
	s_and_saveexec_b32 s13, s17
	s_cbranch_execz .LBB6_6058
.LBB6_6057:                             ;   in Loop: Header=BB6_5734 Depth=3
	v_bfe_u32 v57, v50, 24, 3
	v_bfe_u32 v60, v50, 27, 4
	s_delay_alu instid0(VALU_DEP_2) | instskip(NEXT) | instid1(VALU_DEP_2)
	v_clz_i32_u32_e32 v58, v57
	v_cmp_eq_u32_e32 vcc_lo, 0, v60
	s_delay_alu instid0(VALU_DEP_2) | instskip(NEXT) | instid1(VALU_DEP_1)
	v_min_u32_e32 v58, 32, v58
	v_subrev_nc_u32_e32 v59, 28, v58
	v_sub_nc_u32_e32 v58, 29, v58
	s_delay_alu instid0(VALU_DEP_1) | instskip(NEXT) | instid1(VALU_DEP_1)
	v_dual_cndmask_b32 v58, v60, v58 :: v_dual_lshlrev_b32 v59, v59, v56
	v_and_b32_e32 v59, 7, v59
	s_delay_alu instid0(VALU_DEP_2) | instskip(NEXT) | instid1(VALU_DEP_2)
	v_lshl_add_u32 v58, v58, 23, 0x3b800000
	v_cndmask_b32_e32 v57, v57, v59, vcc_lo
	v_and_b32_e32 v59, 0x80000000, v50
	s_delay_alu instid0(VALU_DEP_2) | instskip(NEXT) | instid1(VALU_DEP_1)
	v_lshlrev_b32_e32 v57, 20, v57
	v_or3_b32 v57, v59, v58, v57
.LBB6_6058:                             ;   in Loop: Header=BB6_5734 Depth=3
	s_or_b32 exec_lo, exec_lo, s13
	s_mov_b32 s13, 0
	s_mov_b32 s31, exec_lo
                                        ; implicit-def: $sgpr17
	v_cmpx_lt_i16_e32 0x7f, v47
	s_xor_b32 s31, exec_lo, s31
	s_cbranch_execnz .LBB6_7768
; %bb.6059:                             ;   in Loop: Header=BB6_5734 Depth=3
	s_or_saveexec_b32 s31, s31
	v_mov_b32_e32 v58, s17
	s_xor_b32 exec_lo, exec_lo, s31
	s_cbranch_execnz .LBB6_7771
.LBB6_6060:                             ;   in Loop: Header=BB6_5734 Depth=3
	s_or_b32 exec_lo, exec_lo, s31
	s_and_saveexec_b32 s17, s13
	s_cbranch_execz .LBB6_6062
.LBB6_6061:                             ;   in Loop: Header=BB6_5734 Depth=3
	v_bfe_u32 v58, v38, 24, 3
	v_bfe_u32 v61, v38, 27, 4
	s_delay_alu instid0(VALU_DEP_2) | instskip(NEXT) | instid1(VALU_DEP_2)
	v_clz_i32_u32_e32 v59, v58
	v_cmp_eq_u32_e32 vcc_lo, 0, v61
	s_delay_alu instid0(VALU_DEP_2) | instskip(NEXT) | instid1(VALU_DEP_1)
	v_min_u32_e32 v59, 32, v59
	v_subrev_nc_u32_e32 v60, 28, v59
	v_sub_nc_u32_e32 v59, 29, v59
	s_delay_alu instid0(VALU_DEP_2) | instskip(NEXT) | instid1(VALU_DEP_1)
	v_lshlrev_b32_e32 v60, v60, v47
	v_dual_cndmask_b32 v59, v61, v59 :: v_dual_and_b32 v60, 7, v60
	s_delay_alu instid0(VALU_DEP_1) | instskip(NEXT) | instid1(VALU_DEP_2)
	v_lshl_add_u32 v59, v59, 23, 0x3b800000
	v_cndmask_b32_e32 v58, v58, v60, vcc_lo
	v_and_b32_e32 v60, 0x80000000, v38
	s_delay_alu instid0(VALU_DEP_2) | instskip(NEXT) | instid1(VALU_DEP_1)
	v_lshlrev_b32_e32 v58, 20, v58
	v_or3_b32 v58, v60, v59, v58
.LBB6_6062:                             ;   in Loop: Header=BB6_5734 Depth=3
	s_or_b32 exec_lo, exec_lo, s17
	s_delay_alu instid0(VALU_DEP_1) | instskip(SKIP_1) | instid1(VALU_DEP_1)
	v_dual_max_f32 v58, v58, v58 :: v_dual_max_f32 v57, v57, v57
	s_mov_b32 s13, 0
	v_max_f32_e32 v57, v57, v58
	s_branch .LBB6_6064
.LBB6_6063:                             ;   in Loop: Header=BB6_5734 Depth=3
	s_mov_b32 s13, -1
                                        ; implicit-def: $vgpr57
.LBB6_6064:                             ;   in Loop: Header=BB6_5734 Depth=3
	s_delay_alu instid0(SALU_CYCLE_1)
	s_and_b32 vcc_lo, exec_lo, s13
	s_cbranch_vccz .LBB6_6074
; %bb.6065:                             ;   in Loop: Header=BB6_5734 Depth=3
	s_mov_b32 s13, 0
	s_mov_b32 s31, exec_lo
                                        ; implicit-def: $sgpr17
	v_cmpx_lt_i16_e32 0x7f, v56
	s_xor_b32 s31, exec_lo, s31
	s_cbranch_execnz .LBB6_7772
; %bb.6066:                             ;   in Loop: Header=BB6_5734 Depth=3
	s_or_saveexec_b32 s31, s31
	v_mov_b32_e32 v57, s17
	s_xor_b32 exec_lo, exec_lo, s31
	s_cbranch_execnz .LBB6_7775
.LBB6_6067:                             ;   in Loop: Header=BB6_5734 Depth=3
	s_or_b32 exec_lo, exec_lo, s31
	s_and_saveexec_b32 s17, s13
	s_cbranch_execz .LBB6_6069
.LBB6_6068:                             ;   in Loop: Header=BB6_5734 Depth=3
	v_bfe_u32 v57, v50, 24, 3
	s_delay_alu instid0(VALU_DEP_1) | instskip(NEXT) | instid1(VALU_DEP_1)
	v_clz_i32_u32_e32 v58, v57
	v_min_u32_e32 v58, 32, v58
	s_delay_alu instid0(VALU_DEP_1) | instskip(SKIP_1) | instid1(VALU_DEP_2)
	v_subrev_nc_u32_e32 v59, 28, v58
	v_sub_nc_u32_e32 v58, 29, v58
	v_lshlrev_b32_e32 v56, v59, v56
	v_bfe_u32 v59, v50, 27, 4
	v_and_b32_e32 v50, 0x80000000, v50
	s_delay_alu instid0(VALU_DEP_3) | instskip(NEXT) | instid1(VALU_DEP_3)
	v_and_b32_e32 v56, 7, v56
	v_cmp_eq_u32_e32 vcc_lo, 0, v59
	v_cndmask_b32_e32 v58, v59, v58, vcc_lo
	s_delay_alu instid0(VALU_DEP_3) | instskip(NEXT) | instid1(VALU_DEP_2)
	v_cndmask_b32_e32 v56, v57, v56, vcc_lo
	v_lshl_add_u32 v57, v58, 23, 0x3b800000
	s_delay_alu instid0(VALU_DEP_2) | instskip(NEXT) | instid1(VALU_DEP_1)
	v_lshlrev_b32_e32 v56, 20, v56
	v_or3_b32 v57, v50, v57, v56
.LBB6_6069:                             ;   in Loop: Header=BB6_5734 Depth=3
	s_or_b32 exec_lo, exec_lo, s17
	s_mov_b32 s13, 0
	s_mov_b32 s31, exec_lo
                                        ; implicit-def: $sgpr17
	v_cmpx_lt_i16_e32 0x7f, v47
	s_xor_b32 s31, exec_lo, s31
	s_cbranch_execnz .LBB6_7776
; %bb.6070:                             ;   in Loop: Header=BB6_5734 Depth=3
	s_or_saveexec_b32 s31, s31
	v_mov_b32_e32 v50, s17
	s_xor_b32 exec_lo, exec_lo, s31
	s_cbranch_execnz .LBB6_7779
.LBB6_6071:                             ;   in Loop: Header=BB6_5734 Depth=3
	s_or_b32 exec_lo, exec_lo, s31
	s_and_saveexec_b32 s17, s13
	s_cbranch_execz .LBB6_6073
.LBB6_6072:                             ;   in Loop: Header=BB6_5734 Depth=3
	v_bfe_u32 v50, v38, 24, 3
	s_delay_alu instid0(VALU_DEP_1) | instskip(NEXT) | instid1(VALU_DEP_1)
	v_clz_i32_u32_e32 v56, v50
	v_min_u32_e32 v56, 32, v56
	s_delay_alu instid0(VALU_DEP_1) | instskip(SKIP_1) | instid1(VALU_DEP_2)
	v_subrev_nc_u32_e32 v58, 28, v56
	v_sub_nc_u32_e32 v56, 29, v56
	v_lshlrev_b32_e32 v47, v58, v47
	v_bfe_u32 v58, v38, 27, 4
	v_and_b32_e32 v38, 0x80000000, v38
	s_delay_alu instid0(VALU_DEP_2) | instskip(NEXT) | instid1(VALU_DEP_4)
	v_cmp_eq_u32_e32 vcc_lo, 0, v58
	v_dual_cndmask_b32 v56, v58, v56 :: v_dual_and_b32 v47, 7, v47
	s_delay_alu instid0(VALU_DEP_1) | instskip(NEXT) | instid1(VALU_DEP_2)
	v_cndmask_b32_e32 v50, v50, v47, vcc_lo
	v_lshl_add_u32 v47, v56, 23, 0x3b800000
	s_delay_alu instid0(VALU_DEP_2) | instskip(NEXT) | instid1(VALU_DEP_1)
	v_lshlrev_b32_e32 v50, 20, v50
	v_or3_b32 v50, v38, v47, v50
.LBB6_6073:                             ;   in Loop: Header=BB6_5734 Depth=3
	s_or_b32 exec_lo, exec_lo, s17
	s_delay_alu instid0(VALU_DEP_1) | instskip(SKIP_1) | instid1(VALU_DEP_1)
	v_max_f32_e32 v38, v50, v50
	v_max_f32_e32 v50, v57, v57
	v_min_f32_e32 v57, v50, v38
.LBB6_6074:                             ;   in Loop: Header=BB6_5734 Depth=3
	s_delay_alu instid0(VALU_DEP_1) | instskip(NEXT) | instid1(VALU_DEP_1)
	v_and_b32_e32 v38, 0x7f800000, v57
	v_cmp_ne_u32_e32 vcc_lo, 0x7f800000, v38
	v_mov_b32_e32 v38, 0x80
	s_and_saveexec_b32 s17, vcc_lo
	s_cbranch_execz .LBB6_6082
; %bb.6075:                             ;   in Loop: Header=BB6_5734 Depth=3
	v_mov_b32_e32 v38, 0
	s_mov_b32 s31, exec_lo
	v_cmpx_ne_u32_e32 0, v57
	s_cbranch_execz .LBB6_6081
; %bb.6076:                             ;   in Loop: Header=BB6_5734 Depth=3
	v_bfe_u32 v38, v57, 23, 8
	s_delay_alu instid0(VALU_DEP_1) | instskip(SKIP_1) | instid1(VALU_DEP_2)
	v_sub_nc_u32_e32 v47, 0x78, v38
	v_cmp_gt_u32_e32 vcc_lo, 0x79, v38
	v_dual_cndmask_b32 v47, 0, v47 :: v_dual_and_b32 v50, 0x7fffff, v57
	s_delay_alu instid0(VALU_DEP_1) | instskip(SKIP_2) | instid1(VALU_DEP_4)
	v_or_b32_e32 v56, 0x800000, v50
	v_cmp_eq_u32_e32 vcc_lo, 0, v38
	v_add_nc_u32_e32 v38, 0xffffff89, v38
	v_cndmask_b32_e64 v47, v47, 0x77, vcc_lo
	s_delay_alu instid0(VALU_DEP_4) | instskip(NEXT) | instid1(VALU_DEP_3)
	v_cndmask_b32_e32 v50, v56, v50, vcc_lo
	v_cndmask_b32_e64 v38, v38, 0xffffff8a, vcc_lo
	s_delay_alu instid0(VALU_DEP_3) | instskip(NEXT) | instid1(VALU_DEP_3)
	v_lshl_add_u32 v56, 0x100000, v47, -1
	v_lshrrev_b32_e32 v58, v47, v50
	v_lshlrev_b32_e64 v60, v47, 0x80000
	s_delay_alu instid0(VALU_DEP_4) | instskip(NEXT) | instid1(VALU_DEP_4)
	v_add_nc_u32_e32 v47, v47, v38
	v_and_b32_e32 v50, v56, v50
	s_delay_alu instid0(VALU_DEP_4) | instskip(NEXT) | instid1(VALU_DEP_2)
	v_bfe_u32 v59, v58, 20, 1
	v_cmp_eq_u32_e64 s13, v50, v60
	s_delay_alu instid0(VALU_DEP_2) | instskip(NEXT) | instid1(VALU_DEP_1)
	v_add_nc_u32_e32 v56, -1, v59
	v_cndmask_b32_e64 v50, 0, v56, s13
	v_lshrrev_b32_e32 v56, 23, v58
	s_mov_b32 s13, exec_lo
	s_delay_alu instid0(VALU_DEP_2) | instskip(NEXT) | instid1(VALU_DEP_2)
	v_add_nc_u32_e32 v50, v50, v58
	v_xor_b32_e32 v56, 1, v56
	s_delay_alu instid0(VALU_DEP_2) | instskip(NEXT) | instid1(VALU_DEP_1)
	v_and_b32_e32 v38, 0xfffff, v50
	v_add_nc_u32_e32 v50, v38, v58
                                        ; implicit-def: $vgpr38
	s_delay_alu instid0(VALU_DEP_3)
	v_cmpx_ne_u32_e64 v47, v56
	s_xor_b32 s13, exec_lo, s13
; %bb.6077:                             ;   in Loop: Header=BB6_5734 Depth=3
	s_delay_alu instid0(VALU_DEP_2) | instskip(SKIP_2) | instid1(VALU_DEP_2)
	v_cmp_lt_u32_e32 vcc_lo, 0xffffff, v50
	v_sub_nc_u32_e32 v38, v47, v56
	v_cndmask_b32_e64 v47, 0, 1, vcc_lo
	v_add_co_ci_u32_e32 v38, vcc_lo, 0, v38, vcc_lo
	s_delay_alu instid0(VALU_DEP_2)
	v_lshrrev_b32_e32 v50, v47, v50
; %bb.6078:                             ;   in Loop: Header=BB6_5734 Depth=3
	s_and_not1_saveexec_b32 s13, s13
; %bb.6079:                             ;   in Loop: Header=BB6_5734 Depth=3
	s_delay_alu instid0(VALU_DEP_1)
	v_bfe_u32 v38, v50, 23, 1
; %bb.6080:                             ;   in Loop: Header=BB6_5734 Depth=3
	s_or_b32 exec_lo, exec_lo, s13
	v_lshrrev_b32_e32 v50, 20, v50
	s_delay_alu instid0(VALU_DEP_2) | instskip(SKIP_2) | instid1(VALU_DEP_2)
	v_cmp_gt_i32_e32 vcc_lo, 16, v38
	v_lshrrev_b32_e32 v47, 24, v57
	v_min_i32_e32 v56, 15, v38
	v_dual_cndmask_b32 v50, 7, v50 :: v_dual_and_b32 v47, 0x80, v47
	s_delay_alu instid0(VALU_DEP_2) | instskip(NEXT) | instid1(VALU_DEP_2)
	v_lshlrev_b32_e32 v56, 3, v56
	v_and_b32_e32 v57, 7, v50
	v_or_b32_e32 v38, v38, v50
	s_delay_alu instid0(VALU_DEP_2) | instskip(NEXT) | instid1(VALU_DEP_2)
	v_or3_b32 v50, v56, v47, v57
	v_cmp_ne_u32_e32 vcc_lo, 0, v38
	s_delay_alu instid0(VALU_DEP_2)
	v_cndmask_b32_e32 v38, 0, v50, vcc_lo
.LBB6_6081:                             ;   in Loop: Header=BB6_5734 Depth=3
	s_or_b32 exec_lo, exec_lo, s31
.LBB6_6082:                             ;   in Loop: Header=BB6_5734 Depth=3
	s_delay_alu instid0(SALU_CYCLE_1) | instskip(SKIP_2) | instid1(VALU_DEP_1)
	s_or_b32 exec_lo, exec_lo, s17
	v_and_b32_e32 v50, 0xff, v51
	s_and_b32 vcc_lo, exec_lo, s16
	v_cmp_lt_i16_e64 s13, 0x7f, v50
	s_cbranch_vccz .LBB6_6092
; %bb.6083:                             ;   in Loop: Header=BB6_5734 Depth=3
	s_mov_b32 s17, 0
                                        ; implicit-def: $sgpr31
	s_delay_alu instid0(VALU_DEP_1) | instskip(NEXT) | instid1(SALU_CYCLE_1)
	s_and_saveexec_b32 vcc_lo, s13
	s_xor_b32 s13, exec_lo, vcc_lo
	s_cbranch_execnz .LBB6_7780
; %bb.6084:                             ;   in Loop: Header=BB6_5734 Depth=3
	s_or_saveexec_b32 s13, s13
	v_mov_b32_e32 v47, s31
	s_xor_b32 exec_lo, exec_lo, s13
	s_cbranch_execnz .LBB6_7783
.LBB6_6085:                             ;   in Loop: Header=BB6_5734 Depth=3
	s_or_b32 exec_lo, exec_lo, s13
	s_and_saveexec_b32 s13, s17
	s_cbranch_execz .LBB6_6087
.LBB6_6086:                             ;   in Loop: Header=BB6_5734 Depth=3
	v_bfe_u32 v58, v51, 3, 4
	v_lshlrev_b32_e32 v59, 24, v51
	s_delay_alu instid0(VALU_DEP_2) | instskip(SKIP_1) | instid1(VALU_DEP_1)
	v_cmp_eq_u32_e32 vcc_lo, 0, v58
	v_and_b32_e32 v47, 7, v51
	v_clz_i32_u32_e32 v56, v47
	s_delay_alu instid0(VALU_DEP_1) | instskip(NEXT) | instid1(VALU_DEP_1)
	v_min_u32_e32 v56, 32, v56
	v_subrev_nc_u32_e32 v57, 28, v56
	v_sub_nc_u32_e32 v56, 29, v56
	s_delay_alu instid0(VALU_DEP_1) | instskip(NEXT) | instid1(VALU_DEP_1)
	v_dual_cndmask_b32 v56, v58, v56 :: v_dual_lshlrev_b32 v57, v57, v51
	v_and_b32_e32 v57, 7, v57
	s_delay_alu instid0(VALU_DEP_2) | instskip(NEXT) | instid1(VALU_DEP_2)
	v_lshl_add_u32 v56, v56, 23, 0x3b800000
	v_cndmask_b32_e32 v47, v47, v57, vcc_lo
	v_and_b32_e32 v57, 0x80000000, v59
	s_delay_alu instid0(VALU_DEP_2) | instskip(NEXT) | instid1(VALU_DEP_1)
	v_lshlrev_b32_e32 v47, 20, v47
	v_or3_b32 v47, v57, v56, v47
.LBB6_6087:                             ;   in Loop: Header=BB6_5734 Depth=3
	s_or_b32 exec_lo, exec_lo, s13
	v_and_b32_e32 v57, 0xff, v39
	s_mov_b32 s13, 0
	s_mov_b32 s31, exec_lo
                                        ; implicit-def: $sgpr17
	s_delay_alu instid0(VALU_DEP_1)
	v_cmpx_lt_i16_e32 0x7f, v57
	s_xor_b32 s31, exec_lo, s31
	s_cbranch_execnz .LBB6_7784
; %bb.6088:                             ;   in Loop: Header=BB6_5734 Depth=3
	s_or_saveexec_b32 s31, s31
	v_mov_b32_e32 v56, s17
	s_xor_b32 exec_lo, exec_lo, s31
	s_cbranch_execnz .LBB6_7787
.LBB6_6089:                             ;   in Loop: Header=BB6_5734 Depth=3
	s_or_b32 exec_lo, exec_lo, s31
	s_and_saveexec_b32 s17, s13
	s_cbranch_execz .LBB6_6091
.LBB6_6090:                             ;   in Loop: Header=BB6_5734 Depth=3
	v_bfe_u32 v59, v39, 3, 4
	v_lshlrev_b32_e32 v60, 24, v39
	s_delay_alu instid0(VALU_DEP_2) | instskip(SKIP_1) | instid1(VALU_DEP_1)
	v_cmp_eq_u32_e32 vcc_lo, 0, v59
	v_and_b32_e32 v56, 7, v39
	v_clz_i32_u32_e32 v57, v56
	s_delay_alu instid0(VALU_DEP_1) | instskip(NEXT) | instid1(VALU_DEP_1)
	v_min_u32_e32 v57, 32, v57
	v_subrev_nc_u32_e32 v58, 28, v57
	v_sub_nc_u32_e32 v57, 29, v57
	s_delay_alu instid0(VALU_DEP_1) | instskip(NEXT) | instid1(VALU_DEP_1)
	v_dual_cndmask_b32 v57, v59, v57 :: v_dual_lshlrev_b32 v58, v58, v39
	v_and_b32_e32 v58, 7, v58
	s_delay_alu instid0(VALU_DEP_2) | instskip(NEXT) | instid1(VALU_DEP_2)
	v_lshl_add_u32 v57, v57, 23, 0x3b800000
	v_cndmask_b32_e32 v56, v56, v58, vcc_lo
	v_and_b32_e32 v58, 0x80000000, v60
	s_delay_alu instid0(VALU_DEP_2) | instskip(NEXT) | instid1(VALU_DEP_1)
	v_lshlrev_b32_e32 v56, 20, v56
	v_or3_b32 v56, v58, v57, v56
.LBB6_6091:                             ;   in Loop: Header=BB6_5734 Depth=3
	s_or_b32 exec_lo, exec_lo, s17
	s_delay_alu instid0(VALU_DEP_1) | instskip(SKIP_1) | instid1(VALU_DEP_1)
	v_dual_max_f32 v56, v56, v56 :: v_dual_max_f32 v47, v47, v47
	s_mov_b32 s13, 0
	v_max_f32_e32 v47, v47, v56
	s_branch .LBB6_6093
.LBB6_6092:                             ;   in Loop: Header=BB6_5734 Depth=3
	s_mov_b32 s13, -1
                                        ; implicit-def: $vgpr47
.LBB6_6093:                             ;   in Loop: Header=BB6_5734 Depth=3
	s_delay_alu instid0(SALU_CYCLE_1)
	s_and_b32 vcc_lo, exec_lo, s13
	s_cbranch_vccz .LBB6_6103
; %bb.6094:                             ;   in Loop: Header=BB6_5734 Depth=3
	s_mov_b32 s13, 0
	s_mov_b32 s31, exec_lo
                                        ; implicit-def: $sgpr17
	v_cmpx_lt_i16_e32 0x7f, v50
	s_xor_b32 s31, exec_lo, s31
	s_cbranch_execnz .LBB6_7788
; %bb.6095:                             ;   in Loop: Header=BB6_5734 Depth=3
	s_or_saveexec_b32 s31, s31
	v_mov_b32_e32 v47, s17
	s_xor_b32 exec_lo, exec_lo, s31
	s_cbranch_execnz .LBB6_7791
.LBB6_6096:                             ;   in Loop: Header=BB6_5734 Depth=3
	s_or_b32 exec_lo, exec_lo, s31
	s_and_saveexec_b32 s17, s13
	s_cbranch_execz .LBB6_6098
.LBB6_6097:                             ;   in Loop: Header=BB6_5734 Depth=3
	v_and_b32_e32 v50, 7, v51
	v_bfe_u32 v57, v51, 3, 4
	v_lshlrev_b32_e32 v58, 24, v51
	s_delay_alu instid0(VALU_DEP_3) | instskip(NEXT) | instid1(VALU_DEP_3)
	v_clz_i32_u32_e32 v47, v50
	v_cmp_eq_u32_e32 vcc_lo, 0, v57
	s_delay_alu instid0(VALU_DEP_2) | instskip(NEXT) | instid1(VALU_DEP_1)
	v_min_u32_e32 v47, 32, v47
	v_subrev_nc_u32_e32 v56, 28, v47
	v_sub_nc_u32_e32 v47, 29, v47
	s_delay_alu instid0(VALU_DEP_2) | instskip(NEXT) | instid1(VALU_DEP_1)
	v_lshlrev_b32_e32 v56, v56, v51
	v_dual_cndmask_b32 v47, v57, v47 :: v_dual_and_b32 v56, 7, v56
	s_delay_alu instid0(VALU_DEP_1) | instskip(NEXT) | instid1(VALU_DEP_2)
	v_lshl_add_u32 v47, v47, 23, 0x3b800000
	v_cndmask_b32_e32 v50, v50, v56, vcc_lo
	v_and_b32_e32 v56, 0x80000000, v58
	s_delay_alu instid0(VALU_DEP_2) | instskip(NEXT) | instid1(VALU_DEP_1)
	v_lshlrev_b32_e32 v50, 20, v50
	v_or3_b32 v47, v56, v47, v50
.LBB6_6098:                             ;   in Loop: Header=BB6_5734 Depth=3
	s_or_b32 exec_lo, exec_lo, s17
	v_and_b32_e32 v56, 0xff, v39
	s_mov_b32 s13, 0
	s_mov_b32 s31, exec_lo
                                        ; implicit-def: $sgpr17
	s_delay_alu instid0(VALU_DEP_1)
	v_cmpx_lt_i16_e32 0x7f, v56
	s_xor_b32 s31, exec_lo, s31
	s_cbranch_execnz .LBB6_7792
; %bb.6099:                             ;   in Loop: Header=BB6_5734 Depth=3
	s_or_saveexec_b32 s31, s31
	v_mov_b32_e32 v50, s17
	s_xor_b32 exec_lo, exec_lo, s31
	s_cbranch_execnz .LBB6_7795
.LBB6_6100:                             ;   in Loop: Header=BB6_5734 Depth=3
	s_or_b32 exec_lo, exec_lo, s31
	s_and_saveexec_b32 s17, s13
	s_cbranch_execz .LBB6_6102
.LBB6_6101:                             ;   in Loop: Header=BB6_5734 Depth=3
	v_and_b32_e32 v50, 7, v39
	v_bfe_u32 v58, v39, 3, 4
	s_delay_alu instid0(VALU_DEP_2) | instskip(NEXT) | instid1(VALU_DEP_2)
	v_clz_i32_u32_e32 v56, v50
	v_cmp_eq_u32_e32 vcc_lo, 0, v58
	s_delay_alu instid0(VALU_DEP_2) | instskip(NEXT) | instid1(VALU_DEP_1)
	v_min_u32_e32 v56, 32, v56
	v_subrev_nc_u32_e32 v57, 28, v56
	v_sub_nc_u32_e32 v56, 29, v56
	s_delay_alu instid0(VALU_DEP_1) | instskip(NEXT) | instid1(VALU_DEP_1)
	v_dual_cndmask_b32 v56, v58, v56 :: v_dual_lshlrev_b32 v57, v57, v39
	v_and_b32_e32 v57, 7, v57
	v_lshlrev_b32_e32 v59, 24, v39
	s_delay_alu instid0(VALU_DEP_3) | instskip(NEXT) | instid1(VALU_DEP_2)
	v_lshl_add_u32 v56, v56, 23, 0x3b800000
	v_dual_cndmask_b32 v50, v50, v57 :: v_dual_and_b32 v57, 0x80000000, v59
	s_delay_alu instid0(VALU_DEP_1) | instskip(NEXT) | instid1(VALU_DEP_1)
	v_lshlrev_b32_e32 v50, 20, v50
	v_or3_b32 v50, v57, v56, v50
.LBB6_6102:                             ;   in Loop: Header=BB6_5734 Depth=3
	s_or_b32 exec_lo, exec_lo, s17
	s_delay_alu instid0(VALU_DEP_1) | instskip(NEXT) | instid1(VALU_DEP_1)
	v_dual_max_f32 v50, v50, v50 :: v_dual_max_f32 v47, v47, v47
	v_min_f32_e32 v47, v47, v50
.LBB6_6103:                             ;   in Loop: Header=BB6_5734 Depth=3
	s_delay_alu instid0(VALU_DEP_1) | instskip(NEXT) | instid1(VALU_DEP_1)
	v_and_b32_e32 v50, 0x7f800000, v47
	v_cmp_ne_u32_e32 vcc_lo, 0x7f800000, v50
	v_mov_b32_e32 v50, 0x80
	s_and_saveexec_b32 s17, vcc_lo
	s_cbranch_execz .LBB6_6111
; %bb.6104:                             ;   in Loop: Header=BB6_5734 Depth=3
	v_mov_b32_e32 v50, 0
	s_mov_b32 s31, exec_lo
	v_cmpx_ne_u32_e32 0, v47
	s_cbranch_execz .LBB6_6110
; %bb.6105:                             ;   in Loop: Header=BB6_5734 Depth=3
	v_bfe_u32 v50, v47, 23, 8
	s_delay_alu instid0(VALU_DEP_1) | instskip(SKIP_1) | instid1(VALU_DEP_2)
	v_sub_nc_u32_e32 v57, 0x78, v50
	v_cmp_gt_u32_e32 vcc_lo, 0x79, v50
	v_dual_cndmask_b32 v57, 0, v57 :: v_dual_and_b32 v56, 0x7fffff, v47
	s_delay_alu instid0(VALU_DEP_1) | instskip(SKIP_2) | instid1(VALU_DEP_4)
	v_or_b32_e32 v58, 0x800000, v56
	v_cmp_eq_u32_e32 vcc_lo, 0, v50
	v_add_nc_u32_e32 v50, 0xffffff89, v50
	v_cndmask_b32_e64 v57, v57, 0x77, vcc_lo
	s_delay_alu instid0(VALU_DEP_2) | instskip(SKIP_1) | instid1(VALU_DEP_3)
	v_cndmask_b32_e64 v50, v50, 0xffffff8a, vcc_lo
	v_cndmask_b32_e32 v56, v58, v56, vcc_lo
	v_lshl_add_u32 v58, 0x100000, v57, -1
	v_lshlrev_b32_e64 v61, v57, 0x80000
	s_delay_alu instid0(VALU_DEP_3) | instskip(SKIP_1) | instid1(VALU_DEP_4)
	v_lshrrev_b32_e32 v59, v57, v56
	v_add_nc_u32_e32 v57, v57, v50
	v_and_b32_e32 v56, v58, v56
	s_delay_alu instid0(VALU_DEP_3) | instskip(NEXT) | instid1(VALU_DEP_2)
	v_bfe_u32 v60, v59, 20, 1
	v_cmp_eq_u32_e64 s13, v56, v61
	s_delay_alu instid0(VALU_DEP_2) | instskip(NEXT) | instid1(VALU_DEP_1)
	v_add_nc_u32_e32 v58, -1, v60
	v_cndmask_b32_e64 v56, 0, v58, s13
	v_lshrrev_b32_e32 v58, 23, v59
	s_mov_b32 s13, exec_lo
	s_delay_alu instid0(VALU_DEP_2) | instskip(NEXT) | instid1(VALU_DEP_2)
	v_add_nc_u32_e32 v56, v56, v59
	v_xor_b32_e32 v58, 1, v58
	s_delay_alu instid0(VALU_DEP_2) | instskip(NEXT) | instid1(VALU_DEP_1)
	v_and_b32_e32 v50, 0xfffff, v56
	v_add_nc_u32_e32 v56, v50, v59
                                        ; implicit-def: $vgpr50
	s_delay_alu instid0(VALU_DEP_3)
	v_cmpx_ne_u32_e64 v57, v58
	s_xor_b32 s13, exec_lo, s13
; %bb.6106:                             ;   in Loop: Header=BB6_5734 Depth=3
	s_delay_alu instid0(VALU_DEP_2) | instskip(SKIP_2) | instid1(VALU_DEP_2)
	v_cmp_lt_u32_e32 vcc_lo, 0xffffff, v56
	v_sub_nc_u32_e32 v50, v57, v58
	v_cndmask_b32_e64 v57, 0, 1, vcc_lo
	v_add_co_ci_u32_e32 v50, vcc_lo, 0, v50, vcc_lo
	s_delay_alu instid0(VALU_DEP_2)
	v_lshrrev_b32_e32 v56, v57, v56
; %bb.6107:                             ;   in Loop: Header=BB6_5734 Depth=3
	s_and_not1_saveexec_b32 s13, s13
; %bb.6108:                             ;   in Loop: Header=BB6_5734 Depth=3
	s_delay_alu instid0(VALU_DEP_1)
	v_bfe_u32 v50, v56, 23, 1
; %bb.6109:                             ;   in Loop: Header=BB6_5734 Depth=3
	s_or_b32 exec_lo, exec_lo, s13
	v_lshrrev_b32_e32 v56, 20, v56
	s_delay_alu instid0(VALU_DEP_2) | instskip(SKIP_2) | instid1(VALU_DEP_2)
	v_cmp_gt_i32_e32 vcc_lo, 16, v50
	v_lshrrev_b32_e32 v47, 24, v47
	v_min_i32_e32 v57, 15, v50
	v_dual_cndmask_b32 v56, 7, v56 :: v_dual_and_b32 v47, 0x80, v47
	s_delay_alu instid0(VALU_DEP_1) | instskip(SKIP_1) | instid1(VALU_DEP_2)
	v_or_b32_e32 v50, v50, v56
	v_and_b32_e32 v58, 7, v56
	v_cmp_ne_u32_e32 vcc_lo, 0, v50
	v_lshlrev_b32_e32 v57, 3, v57
	s_delay_alu instid0(VALU_DEP_1) | instskip(NEXT) | instid1(VALU_DEP_1)
	v_or3_b32 v47, v57, v47, v58
	v_cndmask_b32_e32 v50, 0, v47, vcc_lo
.LBB6_6110:                             ;   in Loop: Header=BB6_5734 Depth=3
	s_or_b32 exec_lo, exec_lo, s31
.LBB6_6111:                             ;   in Loop: Header=BB6_5734 Depth=3
	s_delay_alu instid0(SALU_CYCLE_1) | instskip(SKIP_3) | instid1(VALU_DEP_2)
	s_or_b32 exec_lo, exec_lo, s17
	v_lshrrev_b16 v56, 8, v51
	v_lshrrev_b16 v47, 8, v39
	s_and_b32 vcc_lo, exec_lo, s16
	v_cmp_lt_i16_e64 s13, 0x7f, v56
	s_cbranch_vccz .LBB6_6121
; %bb.6112:                             ;   in Loop: Header=BB6_5734 Depth=3
	s_mov_b32 s17, 0
                                        ; implicit-def: $sgpr31
	s_delay_alu instid0(VALU_DEP_1) | instskip(NEXT) | instid1(SALU_CYCLE_1)
	s_and_saveexec_b32 vcc_lo, s13
	s_xor_b32 s13, exec_lo, vcc_lo
	s_cbranch_execnz .LBB6_7796
; %bb.6113:                             ;   in Loop: Header=BB6_5734 Depth=3
	s_or_saveexec_b32 s13, s13
	v_mov_b32_e32 v57, s31
	s_xor_b32 exec_lo, exec_lo, s13
	s_cbranch_execnz .LBB6_7799
.LBB6_6114:                             ;   in Loop: Header=BB6_5734 Depth=3
	s_or_b32 exec_lo, exec_lo, s13
	s_and_saveexec_b32 s13, s17
	s_cbranch_execz .LBB6_6116
.LBB6_6115:                             ;   in Loop: Header=BB6_5734 Depth=3
	v_and_b32_e32 v57, 0xffff, v56
	s_delay_alu instid0(VALU_DEP_1) | instskip(NEXT) | instid1(VALU_DEP_1)
	v_and_b32_e32 v58, 7, v57
	v_clz_i32_u32_e32 v59, v58
	s_delay_alu instid0(VALU_DEP_1) | instskip(NEXT) | instid1(VALU_DEP_1)
	v_min_u32_e32 v59, 32, v59
	v_subrev_nc_u32_e32 v60, 28, v59
	v_sub_nc_u32_e32 v59, 29, v59
	s_delay_alu instid0(VALU_DEP_2) | instskip(SKIP_1) | instid1(VALU_DEP_2)
	v_lshlrev_b32_e32 v60, v60, v57
	v_bfe_u32 v57, v57, 3, 4
	v_and_b32_e32 v60, 7, v60
	s_delay_alu instid0(VALU_DEP_2) | instskip(SKIP_1) | instid1(VALU_DEP_3)
	v_cmp_eq_u32_e32 vcc_lo, 0, v57
	v_cndmask_b32_e32 v57, v57, v59, vcc_lo
	v_dual_cndmask_b32 v58, v58, v60 :: v_dual_lshlrev_b32 v61, 16, v51
	s_delay_alu instid0(VALU_DEP_2) | instskip(NEXT) | instid1(VALU_DEP_2)
	v_lshl_add_u32 v57, v57, 23, 0x3b800000
	v_and_b32_e32 v59, 0x80000000, v61
	s_delay_alu instid0(VALU_DEP_3) | instskip(NEXT) | instid1(VALU_DEP_1)
	v_lshlrev_b32_e32 v58, 20, v58
	v_or3_b32 v57, v59, v57, v58
.LBB6_6116:                             ;   in Loop: Header=BB6_5734 Depth=3
	s_or_b32 exec_lo, exec_lo, s13
	s_mov_b32 s13, 0
	s_mov_b32 s31, exec_lo
                                        ; implicit-def: $sgpr17
	v_cmpx_lt_i16_e32 0x7f, v47
	s_xor_b32 s31, exec_lo, s31
	s_cbranch_execnz .LBB6_7800
; %bb.6117:                             ;   in Loop: Header=BB6_5734 Depth=3
	s_or_saveexec_b32 s31, s31
	v_mov_b32_e32 v58, s17
	s_xor_b32 exec_lo, exec_lo, s31
	s_cbranch_execnz .LBB6_7803
.LBB6_6118:                             ;   in Loop: Header=BB6_5734 Depth=3
	s_or_b32 exec_lo, exec_lo, s31
	s_and_saveexec_b32 s17, s13
	s_cbranch_execz .LBB6_6120
.LBB6_6119:                             ;   in Loop: Header=BB6_5734 Depth=3
	v_and_b32_e32 v58, 0xffff, v47
	v_lshlrev_b32_e32 v62, 16, v39
	s_delay_alu instid0(VALU_DEP_2) | instskip(NEXT) | instid1(VALU_DEP_1)
	v_and_b32_e32 v59, 7, v58
	v_clz_i32_u32_e32 v60, v59
	s_delay_alu instid0(VALU_DEP_1) | instskip(NEXT) | instid1(VALU_DEP_1)
	v_min_u32_e32 v60, 32, v60
	v_subrev_nc_u32_e32 v61, 28, v60
	v_sub_nc_u32_e32 v60, 29, v60
	s_delay_alu instid0(VALU_DEP_2) | instskip(SKIP_1) | instid1(VALU_DEP_2)
	v_lshlrev_b32_e32 v61, v61, v58
	v_bfe_u32 v58, v58, 3, 4
	v_and_b32_e32 v61, 7, v61
	s_delay_alu instid0(VALU_DEP_2) | instskip(NEXT) | instid1(VALU_DEP_2)
	v_cmp_eq_u32_e32 vcc_lo, 0, v58
	v_dual_cndmask_b32 v58, v58, v60 :: v_dual_cndmask_b32 v59, v59, v61
	v_and_b32_e32 v60, 0x80000000, v62
	s_delay_alu instid0(VALU_DEP_2) | instskip(NEXT) | instid1(VALU_DEP_3)
	v_lshl_add_u32 v58, v58, 23, 0x3b800000
	v_lshlrev_b32_e32 v59, 20, v59
	s_delay_alu instid0(VALU_DEP_1)
	v_or3_b32 v58, v60, v58, v59
.LBB6_6120:                             ;   in Loop: Header=BB6_5734 Depth=3
	s_or_b32 exec_lo, exec_lo, s17
	s_delay_alu instid0(VALU_DEP_1) | instskip(SKIP_1) | instid1(VALU_DEP_1)
	v_dual_max_f32 v58, v58, v58 :: v_dual_max_f32 v57, v57, v57
	s_mov_b32 s13, 0
	v_max_f32_e32 v57, v57, v58
	s_branch .LBB6_6122
.LBB6_6121:                             ;   in Loop: Header=BB6_5734 Depth=3
	s_mov_b32 s13, -1
                                        ; implicit-def: $vgpr57
.LBB6_6122:                             ;   in Loop: Header=BB6_5734 Depth=3
	s_delay_alu instid0(SALU_CYCLE_1)
	s_and_b32 vcc_lo, exec_lo, s13
	s_cbranch_vccz .LBB6_6132
; %bb.6123:                             ;   in Loop: Header=BB6_5734 Depth=3
	s_mov_b32 s13, 0
	s_mov_b32 s31, exec_lo
                                        ; implicit-def: $sgpr17
	v_cmpx_lt_i16_e32 0x7f, v56
	s_xor_b32 s31, exec_lo, s31
	s_cbranch_execnz .LBB6_7804
; %bb.6124:                             ;   in Loop: Header=BB6_5734 Depth=3
	s_or_saveexec_b32 s31, s31
	v_mov_b32_e32 v57, s17
	s_xor_b32 exec_lo, exec_lo, s31
	s_cbranch_execnz .LBB6_7807
.LBB6_6125:                             ;   in Loop: Header=BB6_5734 Depth=3
	s_or_b32 exec_lo, exec_lo, s31
	s_and_saveexec_b32 s17, s13
	s_cbranch_execz .LBB6_6127
.LBB6_6126:                             ;   in Loop: Header=BB6_5734 Depth=3
	v_and_b32_e32 v56, 0xffff, v56
	v_lshlrev_b32_e32 v60, 16, v51
	s_delay_alu instid0(VALU_DEP_2) | instskip(NEXT) | instid1(VALU_DEP_1)
	v_and_b32_e32 v57, 7, v56
	v_clz_i32_u32_e32 v58, v57
	s_delay_alu instid0(VALU_DEP_1) | instskip(NEXT) | instid1(VALU_DEP_1)
	v_min_u32_e32 v58, 32, v58
	v_subrev_nc_u32_e32 v59, 28, v58
	v_sub_nc_u32_e32 v58, 29, v58
	s_delay_alu instid0(VALU_DEP_2) | instskip(SKIP_1) | instid1(VALU_DEP_2)
	v_lshlrev_b32_e32 v59, v59, v56
	v_bfe_u32 v56, v56, 3, 4
	v_and_b32_e32 v59, 7, v59
	s_delay_alu instid0(VALU_DEP_2) | instskip(NEXT) | instid1(VALU_DEP_2)
	v_cmp_eq_u32_e32 vcc_lo, 0, v56
	v_dual_cndmask_b32 v56, v56, v58 :: v_dual_cndmask_b32 v57, v57, v59
	v_and_b32_e32 v58, 0x80000000, v60
	s_delay_alu instid0(VALU_DEP_2) | instskip(NEXT) | instid1(VALU_DEP_3)
	v_lshl_add_u32 v56, v56, 23, 0x3b800000
	v_lshlrev_b32_e32 v57, 20, v57
	s_delay_alu instid0(VALU_DEP_1)
	v_or3_b32 v57, v58, v56, v57
.LBB6_6127:                             ;   in Loop: Header=BB6_5734 Depth=3
	s_or_b32 exec_lo, exec_lo, s17
	s_mov_b32 s13, 0
	s_mov_b32 s31, exec_lo
                                        ; implicit-def: $sgpr17
	v_cmpx_lt_i16_e32 0x7f, v47
	s_xor_b32 s31, exec_lo, s31
	s_cbranch_execnz .LBB6_7808
; %bb.6128:                             ;   in Loop: Header=BB6_5734 Depth=3
	s_or_saveexec_b32 s31, s31
	v_mov_b32_e32 v56, s17
	s_xor_b32 exec_lo, exec_lo, s31
	s_cbranch_execnz .LBB6_7811
.LBB6_6129:                             ;   in Loop: Header=BB6_5734 Depth=3
	s_or_b32 exec_lo, exec_lo, s31
	s_and_saveexec_b32 s17, s13
	s_cbranch_execz .LBB6_6131
.LBB6_6130:                             ;   in Loop: Header=BB6_5734 Depth=3
	v_and_b32_e32 v47, 0xffff, v47
	v_lshlrev_b32_e32 v60, 16, v39
	s_delay_alu instid0(VALU_DEP_2) | instskip(NEXT) | instid1(VALU_DEP_1)
	v_and_b32_e32 v56, 7, v47
	v_clz_i32_u32_e32 v58, v56
	s_delay_alu instid0(VALU_DEP_1) | instskip(NEXT) | instid1(VALU_DEP_1)
	v_min_u32_e32 v58, 32, v58
	v_subrev_nc_u32_e32 v59, 28, v58
	v_sub_nc_u32_e32 v58, 29, v58
	s_delay_alu instid0(VALU_DEP_2) | instskip(SKIP_1) | instid1(VALU_DEP_2)
	v_lshlrev_b32_e32 v59, v59, v47
	v_bfe_u32 v47, v47, 3, 4
	v_and_b32_e32 v59, 7, v59
	s_delay_alu instid0(VALU_DEP_2) | instskip(NEXT) | instid1(VALU_DEP_2)
	v_cmp_eq_u32_e32 vcc_lo, 0, v47
	v_dual_cndmask_b32 v47, v47, v58 :: v_dual_cndmask_b32 v56, v56, v59
	v_and_b32_e32 v58, 0x80000000, v60
	s_delay_alu instid0(VALU_DEP_2) | instskip(NEXT) | instid1(VALU_DEP_3)
	v_lshl_add_u32 v47, v47, 23, 0x3b800000
	v_lshlrev_b32_e32 v56, 20, v56
	s_delay_alu instid0(VALU_DEP_1)
	v_or3_b32 v56, v58, v47, v56
.LBB6_6131:                             ;   in Loop: Header=BB6_5734 Depth=3
	s_or_b32 exec_lo, exec_lo, s17
	s_delay_alu instid0(VALU_DEP_1) | instskip(NEXT) | instid1(VALU_DEP_1)
	v_dual_max_f32 v47, v56, v56 :: v_dual_max_f32 v56, v57, v57
	v_min_f32_e32 v57, v56, v47
.LBB6_6132:                             ;   in Loop: Header=BB6_5734 Depth=3
	s_delay_alu instid0(VALU_DEP_1) | instskip(NEXT) | instid1(VALU_DEP_1)
	v_and_b32_e32 v47, 0x7f800000, v57
	v_cmp_ne_u32_e32 vcc_lo, 0x7f800000, v47
	v_mov_b32_e32 v47, 0x80
	s_and_saveexec_b32 s17, vcc_lo
	s_cbranch_execz .LBB6_6140
; %bb.6133:                             ;   in Loop: Header=BB6_5734 Depth=3
	v_mov_b32_e32 v47, 0
	s_mov_b32 s31, exec_lo
	v_cmpx_ne_u32_e32 0, v57
	s_cbranch_execz .LBB6_6139
; %bb.6134:                             ;   in Loop: Header=BB6_5734 Depth=3
	v_bfe_u32 v47, v57, 23, 8
	v_and_b32_e32 v56, 0x7fffff, v57
	s_delay_alu instid0(VALU_DEP_2) | instskip(SKIP_1) | instid1(VALU_DEP_3)
	v_sub_nc_u32_e32 v58, 0x78, v47
	v_cmp_gt_u32_e32 vcc_lo, 0x79, v47
	v_or_b32_e32 v59, 0x800000, v56
	s_delay_alu instid0(VALU_DEP_3) | instskip(SKIP_2) | instid1(VALU_DEP_3)
	v_cndmask_b32_e32 v58, 0, v58, vcc_lo
	v_cmp_eq_u32_e32 vcc_lo, 0, v47
	v_add_nc_u32_e32 v47, 0xffffff89, v47
	v_cndmask_b32_e64 v58, v58, 0x77, vcc_lo
	v_cndmask_b32_e32 v56, v59, v56, vcc_lo
	s_delay_alu instid0(VALU_DEP_3) | instskip(NEXT) | instid1(VALU_DEP_3)
	v_cndmask_b32_e64 v47, v47, 0xffffff8a, vcc_lo
	v_lshl_add_u32 v59, 0x100000, v58, -1
	s_delay_alu instid0(VALU_DEP_3) | instskip(SKIP_1) | instid1(VALU_DEP_4)
	v_lshrrev_b32_e32 v60, v58, v56
	v_lshlrev_b32_e64 v62, v58, 0x80000
	v_add_nc_u32_e32 v58, v58, v47
	s_delay_alu instid0(VALU_DEP_4) | instskip(NEXT) | instid1(VALU_DEP_4)
	v_and_b32_e32 v56, v59, v56
	v_bfe_u32 v61, v60, 20, 1
	s_delay_alu instid0(VALU_DEP_2) | instskip(NEXT) | instid1(VALU_DEP_2)
	v_cmp_eq_u32_e64 s13, v56, v62
	v_add_nc_u32_e32 v59, -1, v61
	s_delay_alu instid0(VALU_DEP_1) | instskip(SKIP_2) | instid1(VALU_DEP_2)
	v_cndmask_b32_e64 v56, 0, v59, s13
	v_lshrrev_b32_e32 v59, 23, v60
	s_mov_b32 s13, exec_lo
	v_add_nc_u32_e32 v56, v56, v60
	s_delay_alu instid0(VALU_DEP_2) | instskip(NEXT) | instid1(VALU_DEP_2)
	v_xor_b32_e32 v59, 1, v59
	v_and_b32_e32 v47, 0xfffff, v56
	s_delay_alu instid0(VALU_DEP_1) | instskip(NEXT) | instid1(VALU_DEP_3)
	v_add_nc_u32_e32 v56, v47, v60
                                        ; implicit-def: $vgpr47
	v_cmpx_ne_u32_e64 v58, v59
	s_xor_b32 s13, exec_lo, s13
; %bb.6135:                             ;   in Loop: Header=BB6_5734 Depth=3
	s_delay_alu instid0(VALU_DEP_2) | instskip(SKIP_2) | instid1(VALU_DEP_2)
	v_cmp_lt_u32_e32 vcc_lo, 0xffffff, v56
	v_sub_nc_u32_e32 v47, v58, v59
	v_cndmask_b32_e64 v58, 0, 1, vcc_lo
	v_add_co_ci_u32_e32 v47, vcc_lo, 0, v47, vcc_lo
	s_delay_alu instid0(VALU_DEP_2)
	v_lshrrev_b32_e32 v56, v58, v56
; %bb.6136:                             ;   in Loop: Header=BB6_5734 Depth=3
	s_and_not1_saveexec_b32 s13, s13
; %bb.6137:                             ;   in Loop: Header=BB6_5734 Depth=3
	s_delay_alu instid0(VALU_DEP_1)
	v_bfe_u32 v47, v56, 23, 1
; %bb.6138:                             ;   in Loop: Header=BB6_5734 Depth=3
	s_or_b32 exec_lo, exec_lo, s13
	v_lshrrev_b32_e32 v56, 20, v56
	s_delay_alu instid0(VALU_DEP_2) | instskip(SKIP_2) | instid1(VALU_DEP_2)
	v_cmp_gt_i32_e32 vcc_lo, 16, v47
	v_lshrrev_b32_e32 v57, 24, v57
	v_min_i32_e32 v58, 15, v47
	v_dual_cndmask_b32 v56, 7, v56 :: v_dual_and_b32 v57, 0x80, v57
	s_delay_alu instid0(VALU_DEP_1) | instskip(SKIP_1) | instid1(VALU_DEP_2)
	v_or_b32_e32 v47, v47, v56
	v_and_b32_e32 v59, 7, v56
	v_cmp_ne_u32_e32 vcc_lo, 0, v47
	v_lshlrev_b32_e32 v58, 3, v58
	s_delay_alu instid0(VALU_DEP_1) | instskip(NEXT) | instid1(VALU_DEP_1)
	v_or3_b32 v56, v58, v57, v59
	v_cndmask_b32_e32 v47, 0, v56, vcc_lo
.LBB6_6139:                             ;   in Loop: Header=BB6_5734 Depth=3
	s_or_b32 exec_lo, exec_lo, s31
.LBB6_6140:                             ;   in Loop: Header=BB6_5734 Depth=3
	s_delay_alu instid0(SALU_CYCLE_1) | instskip(SKIP_3) | instid1(VALU_DEP_2)
	s_or_b32 exec_lo, exec_lo, s17
	v_lshrrev_b32_e32 v57, 16, v51
	v_lshrrev_b32_e32 v56, 16, v39
	s_and_b32 vcc_lo, exec_lo, s16
	v_and_b32_e32 v58, 0xff, v57
	s_delay_alu instid0(VALU_DEP_1)
	v_cmp_lt_i16_e64 s13, 0x7f, v58
	s_cbranch_vccz .LBB6_6150
; %bb.6141:                             ;   in Loop: Header=BB6_5734 Depth=3
	s_mov_b32 s17, 0
                                        ; implicit-def: $sgpr31
	s_delay_alu instid0(VALU_DEP_1) | instskip(NEXT) | instid1(SALU_CYCLE_1)
	s_and_saveexec_b32 vcc_lo, s13
	s_xor_b32 s13, exec_lo, vcc_lo
	s_cbranch_execnz .LBB6_7812
; %bb.6142:                             ;   in Loop: Header=BB6_5734 Depth=3
	s_or_saveexec_b32 s13, s13
	v_mov_b32_e32 v59, s31
	s_xor_b32 exec_lo, exec_lo, s13
	s_cbranch_execnz .LBB6_7815
.LBB6_6143:                             ;   in Loop: Header=BB6_5734 Depth=3
	s_or_b32 exec_lo, exec_lo, s13
	s_and_saveexec_b32 s13, s17
	s_cbranch_execz .LBB6_6145
.LBB6_6144:                             ;   in Loop: Header=BB6_5734 Depth=3
	v_bfe_u32 v59, v51, 16, 3
	v_bfe_u32 v62, v51, 19, 4
	v_lshlrev_b32_e32 v63, 24, v57
	s_delay_alu instid0(VALU_DEP_3) | instskip(NEXT) | instid1(VALU_DEP_3)
	v_clz_i32_u32_e32 v60, v59
	v_cmp_eq_u32_e32 vcc_lo, 0, v62
	s_delay_alu instid0(VALU_DEP_2) | instskip(NEXT) | instid1(VALU_DEP_1)
	v_min_u32_e32 v60, 32, v60
	v_subrev_nc_u32_e32 v61, 28, v60
	v_sub_nc_u32_e32 v60, 29, v60
	s_delay_alu instid0(VALU_DEP_1) | instskip(NEXT) | instid1(VALU_DEP_1)
	v_dual_cndmask_b32 v60, v62, v60 :: v_dual_lshlrev_b32 v61, v61, v57
	v_and_b32_e32 v61, 7, v61
	s_delay_alu instid0(VALU_DEP_2) | instskip(NEXT) | instid1(VALU_DEP_2)
	v_lshl_add_u32 v60, v60, 23, 0x3b800000
	v_cndmask_b32_e32 v59, v59, v61, vcc_lo
	v_and_b32_e32 v61, 0x80000000, v63
	s_delay_alu instid0(VALU_DEP_2) | instskip(NEXT) | instid1(VALU_DEP_1)
	v_lshlrev_b32_e32 v59, 20, v59
	v_or3_b32 v59, v61, v60, v59
.LBB6_6145:                             ;   in Loop: Header=BB6_5734 Depth=3
	s_or_b32 exec_lo, exec_lo, s13
	v_and_b32_e32 v61, 0xff, v56
	s_mov_b32 s13, 0
	s_mov_b32 s31, exec_lo
                                        ; implicit-def: $sgpr17
	s_delay_alu instid0(VALU_DEP_1)
	v_cmpx_lt_i16_e32 0x7f, v61
	s_xor_b32 s31, exec_lo, s31
	s_cbranch_execnz .LBB6_7816
; %bb.6146:                             ;   in Loop: Header=BB6_5734 Depth=3
	s_or_saveexec_b32 s31, s31
	v_mov_b32_e32 v60, s17
	s_xor_b32 exec_lo, exec_lo, s31
	s_cbranch_execnz .LBB6_7819
.LBB6_6147:                             ;   in Loop: Header=BB6_5734 Depth=3
	s_or_b32 exec_lo, exec_lo, s31
	s_and_saveexec_b32 s17, s13
	s_cbranch_execz .LBB6_6149
.LBB6_6148:                             ;   in Loop: Header=BB6_5734 Depth=3
	v_bfe_u32 v60, v39, 16, 3
	v_bfe_u32 v63, v39, 19, 4
	v_lshlrev_b32_e32 v72, 24, v56
	s_delay_alu instid0(VALU_DEP_3) | instskip(NEXT) | instid1(VALU_DEP_3)
	v_clz_i32_u32_e32 v61, v60
	v_cmp_eq_u32_e32 vcc_lo, 0, v63
	s_delay_alu instid0(VALU_DEP_2) | instskip(NEXT) | instid1(VALU_DEP_1)
	v_min_u32_e32 v61, 32, v61
	v_subrev_nc_u32_e32 v62, 28, v61
	v_sub_nc_u32_e32 v61, 29, v61
	s_delay_alu instid0(VALU_DEP_1) | instskip(NEXT) | instid1(VALU_DEP_1)
	v_dual_cndmask_b32 v61, v63, v61 :: v_dual_lshlrev_b32 v62, v62, v56
	v_and_b32_e32 v62, 7, v62
	s_delay_alu instid0(VALU_DEP_2) | instskip(NEXT) | instid1(VALU_DEP_2)
	v_lshl_add_u32 v61, v61, 23, 0x3b800000
	v_cndmask_b32_e32 v60, v60, v62, vcc_lo
	v_and_b32_e32 v62, 0x80000000, v72
	s_delay_alu instid0(VALU_DEP_2) | instskip(NEXT) | instid1(VALU_DEP_1)
	v_lshlrev_b32_e32 v60, 20, v60
	v_or3_b32 v60, v62, v61, v60
.LBB6_6149:                             ;   in Loop: Header=BB6_5734 Depth=3
	s_or_b32 exec_lo, exec_lo, s17
	s_delay_alu instid0(VALU_DEP_1) | instskip(SKIP_1) | instid1(VALU_DEP_1)
	v_dual_max_f32 v60, v60, v60 :: v_dual_max_f32 v59, v59, v59
	s_mov_b32 s13, 0
	v_max_f32_e32 v59, v59, v60
	s_branch .LBB6_6151
.LBB6_6150:                             ;   in Loop: Header=BB6_5734 Depth=3
	s_mov_b32 s13, -1
                                        ; implicit-def: $vgpr59
.LBB6_6151:                             ;   in Loop: Header=BB6_5734 Depth=3
	s_delay_alu instid0(SALU_CYCLE_1)
	s_and_b32 vcc_lo, exec_lo, s13
	s_cbranch_vccz .LBB6_6161
; %bb.6152:                             ;   in Loop: Header=BB6_5734 Depth=3
	s_mov_b32 s13, 0
	s_mov_b32 s31, exec_lo
                                        ; implicit-def: $sgpr17
	v_cmpx_lt_i16_e32 0x7f, v58
	s_xor_b32 s31, exec_lo, s31
	s_cbranch_execnz .LBB6_7820
; %bb.6153:                             ;   in Loop: Header=BB6_5734 Depth=3
	s_or_saveexec_b32 s31, s31
	v_mov_b32_e32 v59, s17
	s_xor_b32 exec_lo, exec_lo, s31
	s_cbranch_execnz .LBB6_7823
.LBB6_6154:                             ;   in Loop: Header=BB6_5734 Depth=3
	s_or_b32 exec_lo, exec_lo, s31
	s_and_saveexec_b32 s17, s13
	s_cbranch_execz .LBB6_6156
.LBB6_6155:                             ;   in Loop: Header=BB6_5734 Depth=3
	v_bfe_u32 v58, v51, 16, 3
	v_bfe_u32 v61, v51, 19, 4
	s_delay_alu instid0(VALU_DEP_2) | instskip(NEXT) | instid1(VALU_DEP_2)
	v_clz_i32_u32_e32 v59, v58
	v_cmp_eq_u32_e32 vcc_lo, 0, v61
	s_delay_alu instid0(VALU_DEP_2) | instskip(NEXT) | instid1(VALU_DEP_1)
	v_min_u32_e32 v59, 32, v59
	v_subrev_nc_u32_e32 v60, 28, v59
	v_sub_nc_u32_e32 v59, 29, v59
	s_delay_alu instid0(VALU_DEP_1) | instskip(NEXT) | instid1(VALU_DEP_1)
	v_dual_cndmask_b32 v59, v61, v59 :: v_dual_lshlrev_b32 v60, v60, v57
	v_and_b32_e32 v60, 7, v60
	v_lshlrev_b32_e32 v57, 24, v57
	s_delay_alu instid0(VALU_DEP_3) | instskip(NEXT) | instid1(VALU_DEP_2)
	v_lshl_add_u32 v59, v59, 23, 0x3b800000
	v_dual_cndmask_b32 v58, v58, v60 :: v_dual_and_b32 v57, 0x80000000, v57
	s_delay_alu instid0(VALU_DEP_1) | instskip(NEXT) | instid1(VALU_DEP_1)
	v_lshlrev_b32_e32 v58, 20, v58
	v_or3_b32 v59, v57, v59, v58
.LBB6_6156:                             ;   in Loop: Header=BB6_5734 Depth=3
	s_or_b32 exec_lo, exec_lo, s17
	v_and_b32_e32 v58, 0xff, v56
	s_mov_b32 s13, 0
	s_mov_b32 s31, exec_lo
                                        ; implicit-def: $sgpr17
	s_delay_alu instid0(VALU_DEP_1)
	v_cmpx_lt_i16_e32 0x7f, v58
	s_xor_b32 s31, exec_lo, s31
	s_cbranch_execnz .LBB6_7824
; %bb.6157:                             ;   in Loop: Header=BB6_5734 Depth=3
	s_or_saveexec_b32 s31, s31
	v_mov_b32_e32 v57, s17
	s_xor_b32 exec_lo, exec_lo, s31
	s_cbranch_execnz .LBB6_7827
.LBB6_6158:                             ;   in Loop: Header=BB6_5734 Depth=3
	s_or_b32 exec_lo, exec_lo, s31
	s_and_saveexec_b32 s17, s13
	s_cbranch_execz .LBB6_6160
.LBB6_6159:                             ;   in Loop: Header=BB6_5734 Depth=3
	v_bfe_u32 v57, v39, 16, 3
	v_bfe_u32 v61, v39, 19, 4
	s_delay_alu instid0(VALU_DEP_2) | instskip(NEXT) | instid1(VALU_DEP_2)
	v_clz_i32_u32_e32 v58, v57
	v_cmp_eq_u32_e32 vcc_lo, 0, v61
	s_delay_alu instid0(VALU_DEP_2) | instskip(NEXT) | instid1(VALU_DEP_1)
	v_min_u32_e32 v58, 32, v58
	v_subrev_nc_u32_e32 v60, 28, v58
	v_sub_nc_u32_e32 v58, 29, v58
	s_delay_alu instid0(VALU_DEP_2) | instskip(SKIP_1) | instid1(VALU_DEP_2)
	v_lshlrev_b32_e32 v60, v60, v56
	v_lshlrev_b32_e32 v56, 24, v56
	v_and_b32_e32 v60, 7, v60
	s_delay_alu instid0(VALU_DEP_2) | instskip(NEXT) | instid1(VALU_DEP_2)
	v_and_b32_e32 v56, 0x80000000, v56
	v_cndmask_b32_e32 v57, v57, v60, vcc_lo
	s_delay_alu instid0(VALU_DEP_1) | instskip(NEXT) | instid1(VALU_DEP_1)
	v_dual_cndmask_b32 v58, v61, v58 :: v_dual_lshlrev_b32 v57, 20, v57
	v_lshl_add_u32 v58, v58, 23, 0x3b800000
	s_delay_alu instid0(VALU_DEP_1)
	v_or3_b32 v57, v56, v58, v57
.LBB6_6160:                             ;   in Loop: Header=BB6_5734 Depth=3
	s_or_b32 exec_lo, exec_lo, s17
	s_delay_alu instid0(VALU_DEP_1) | instskip(NEXT) | instid1(VALU_DEP_1)
	v_dual_max_f32 v56, v57, v57 :: v_dual_max_f32 v57, v59, v59
	v_min_f32_e32 v59, v57, v56
.LBB6_6161:                             ;   in Loop: Header=BB6_5734 Depth=3
	s_delay_alu instid0(VALU_DEP_1) | instskip(NEXT) | instid1(VALU_DEP_1)
	v_and_b32_e32 v56, 0x7f800000, v59
	v_cmp_ne_u32_e32 vcc_lo, 0x7f800000, v56
	v_mov_b32_e32 v56, 0x80
	s_and_saveexec_b32 s17, vcc_lo
	s_cbranch_execz .LBB6_6169
; %bb.6162:                             ;   in Loop: Header=BB6_5734 Depth=3
	v_mov_b32_e32 v56, 0
	s_mov_b32 s31, exec_lo
	v_cmpx_ne_u32_e32 0, v59
	s_cbranch_execz .LBB6_6168
; %bb.6163:                             ;   in Loop: Header=BB6_5734 Depth=3
	v_bfe_u32 v56, v59, 23, 8
	s_delay_alu instid0(VALU_DEP_1) | instskip(SKIP_1) | instid1(VALU_DEP_2)
	v_sub_nc_u32_e32 v58, 0x78, v56
	v_cmp_gt_u32_e32 vcc_lo, 0x79, v56
	v_dual_cndmask_b32 v58, 0, v58 :: v_dual_and_b32 v57, 0x7fffff, v59
	s_delay_alu instid0(VALU_DEP_1) | instskip(SKIP_2) | instid1(VALU_DEP_4)
	v_or_b32_e32 v60, 0x800000, v57
	v_cmp_eq_u32_e32 vcc_lo, 0, v56
	v_add_nc_u32_e32 v56, 0xffffff89, v56
	v_cndmask_b32_e64 v58, v58, 0x77, vcc_lo
	s_delay_alu instid0(VALU_DEP_4) | instskip(NEXT) | instid1(VALU_DEP_3)
	v_cndmask_b32_e32 v57, v60, v57, vcc_lo
	v_cndmask_b32_e64 v56, v56, 0xffffff8a, vcc_lo
	s_delay_alu instid0(VALU_DEP_3) | instskip(NEXT) | instid1(VALU_DEP_3)
	v_lshl_add_u32 v60, 0x100000, v58, -1
	v_lshrrev_b32_e32 v61, v58, v57
	v_lshlrev_b32_e64 v63, v58, 0x80000
	s_delay_alu instid0(VALU_DEP_4) | instskip(NEXT) | instid1(VALU_DEP_4)
	v_add_nc_u32_e32 v58, v58, v56
	v_and_b32_e32 v57, v60, v57
	s_delay_alu instid0(VALU_DEP_4) | instskip(NEXT) | instid1(VALU_DEP_2)
	v_bfe_u32 v62, v61, 20, 1
	v_cmp_eq_u32_e64 s13, v57, v63
	s_delay_alu instid0(VALU_DEP_2) | instskip(NEXT) | instid1(VALU_DEP_1)
	v_add_nc_u32_e32 v60, -1, v62
	v_cndmask_b32_e64 v57, 0, v60, s13
	v_lshrrev_b32_e32 v60, 23, v61
	s_mov_b32 s13, exec_lo
	s_delay_alu instid0(VALU_DEP_2) | instskip(NEXT) | instid1(VALU_DEP_2)
	v_add_nc_u32_e32 v57, v57, v61
	v_xor_b32_e32 v60, 1, v60
	s_delay_alu instid0(VALU_DEP_2) | instskip(NEXT) | instid1(VALU_DEP_1)
	v_and_b32_e32 v56, 0xfffff, v57
	v_add_nc_u32_e32 v57, v56, v61
                                        ; implicit-def: $vgpr56
	s_delay_alu instid0(VALU_DEP_3)
	v_cmpx_ne_u32_e64 v58, v60
	s_xor_b32 s13, exec_lo, s13
; %bb.6164:                             ;   in Loop: Header=BB6_5734 Depth=3
	s_delay_alu instid0(VALU_DEP_2) | instskip(SKIP_2) | instid1(VALU_DEP_2)
	v_cmp_lt_u32_e32 vcc_lo, 0xffffff, v57
	v_sub_nc_u32_e32 v56, v58, v60
	v_cndmask_b32_e64 v58, 0, 1, vcc_lo
	v_add_co_ci_u32_e32 v56, vcc_lo, 0, v56, vcc_lo
	s_delay_alu instid0(VALU_DEP_2)
	v_lshrrev_b32_e32 v57, v58, v57
; %bb.6165:                             ;   in Loop: Header=BB6_5734 Depth=3
	s_and_not1_saveexec_b32 s13, s13
; %bb.6166:                             ;   in Loop: Header=BB6_5734 Depth=3
	s_delay_alu instid0(VALU_DEP_1)
	v_bfe_u32 v56, v57, 23, 1
; %bb.6167:                             ;   in Loop: Header=BB6_5734 Depth=3
	s_or_b32 exec_lo, exec_lo, s13
	v_lshrrev_b32_e32 v57, 20, v57
	s_delay_alu instid0(VALU_DEP_2) | instskip(SKIP_2) | instid1(VALU_DEP_2)
	v_cmp_gt_i32_e32 vcc_lo, 16, v56
	v_min_i32_e32 v58, 15, v56
	v_lshrrev_b32_e32 v59, 24, v59
	v_dual_cndmask_b32 v57, 7, v57 :: v_dual_lshlrev_b32 v58, 3, v58
	s_delay_alu instid0(VALU_DEP_1) | instskip(SKIP_1) | instid1(VALU_DEP_3)
	v_or_b32_e32 v56, v56, v57
	v_and_b32_e32 v60, 7, v57
	v_and_b32_e32 v58, 0xf8, v58
	s_delay_alu instid0(VALU_DEP_3) | instskip(SKIP_1) | instid1(VALU_DEP_1)
	v_cmp_ne_u32_e32 vcc_lo, 0, v56
	v_and_b32_e32 v59, 0x80, v59
	v_or3_b32 v57, v58, v59, v60
	s_delay_alu instid0(VALU_DEP_1)
	v_cndmask_b32_e32 v56, 0, v57, vcc_lo
.LBB6_6168:                             ;   in Loop: Header=BB6_5734 Depth=3
	s_or_b32 exec_lo, exec_lo, s31
.LBB6_6169:                             ;   in Loop: Header=BB6_5734 Depth=3
	s_delay_alu instid0(SALU_CYCLE_1) | instskip(SKIP_3) | instid1(VALU_DEP_2)
	s_or_b32 exec_lo, exec_lo, s17
	v_lshrrev_b32_e32 v58, 24, v51
	v_lshrrev_b32_e32 v57, 24, v39
	s_and_b32 vcc_lo, exec_lo, s16
	v_cmp_lt_i16_e64 s13, 0x7f, v58
	s_cbranch_vccz .LBB6_6179
; %bb.6170:                             ;   in Loop: Header=BB6_5734 Depth=3
	s_mov_b32 s17, 0
                                        ; implicit-def: $sgpr31
	s_delay_alu instid0(VALU_DEP_1) | instskip(NEXT) | instid1(SALU_CYCLE_1)
	s_and_saveexec_b32 vcc_lo, s13
	s_xor_b32 s13, exec_lo, vcc_lo
	s_cbranch_execnz .LBB6_7828
; %bb.6171:                             ;   in Loop: Header=BB6_5734 Depth=3
	s_or_saveexec_b32 s13, s13
	v_mov_b32_e32 v59, s31
	s_xor_b32 exec_lo, exec_lo, s13
	s_cbranch_execnz .LBB6_7831
.LBB6_6172:                             ;   in Loop: Header=BB6_5734 Depth=3
	s_or_b32 exec_lo, exec_lo, s13
	s_and_saveexec_b32 s13, s17
	s_cbranch_execz .LBB6_6174
.LBB6_6173:                             ;   in Loop: Header=BB6_5734 Depth=3
	v_bfe_u32 v59, v51, 24, 3
	v_bfe_u32 v62, v51, 27, 4
	s_delay_alu instid0(VALU_DEP_2) | instskip(NEXT) | instid1(VALU_DEP_2)
	v_clz_i32_u32_e32 v60, v59
	v_cmp_eq_u32_e32 vcc_lo, 0, v62
	s_delay_alu instid0(VALU_DEP_2) | instskip(NEXT) | instid1(VALU_DEP_1)
	v_min_u32_e32 v60, 32, v60
	v_subrev_nc_u32_e32 v61, 28, v60
	v_sub_nc_u32_e32 v60, 29, v60
	s_delay_alu instid0(VALU_DEP_1) | instskip(NEXT) | instid1(VALU_DEP_1)
	v_dual_cndmask_b32 v60, v62, v60 :: v_dual_lshlrev_b32 v61, v61, v58
	v_and_b32_e32 v61, 7, v61
	s_delay_alu instid0(VALU_DEP_2) | instskip(NEXT) | instid1(VALU_DEP_2)
	v_lshl_add_u32 v60, v60, 23, 0x3b800000
	v_cndmask_b32_e32 v59, v59, v61, vcc_lo
	v_and_b32_e32 v61, 0x80000000, v51
	s_delay_alu instid0(VALU_DEP_2) | instskip(NEXT) | instid1(VALU_DEP_1)
	v_lshlrev_b32_e32 v59, 20, v59
	v_or3_b32 v59, v61, v60, v59
.LBB6_6174:                             ;   in Loop: Header=BB6_5734 Depth=3
	s_or_b32 exec_lo, exec_lo, s13
	s_mov_b32 s13, 0
	s_mov_b32 s31, exec_lo
                                        ; implicit-def: $sgpr17
	v_cmpx_lt_i16_e32 0x7f, v57
	s_xor_b32 s31, exec_lo, s31
	s_cbranch_execnz .LBB6_7832
; %bb.6175:                             ;   in Loop: Header=BB6_5734 Depth=3
	s_or_saveexec_b32 s31, s31
	v_mov_b32_e32 v60, s17
	s_xor_b32 exec_lo, exec_lo, s31
	s_cbranch_execnz .LBB6_7835
.LBB6_6176:                             ;   in Loop: Header=BB6_5734 Depth=3
	s_or_b32 exec_lo, exec_lo, s31
	s_and_saveexec_b32 s17, s13
	s_cbranch_execz .LBB6_6178
.LBB6_6177:                             ;   in Loop: Header=BB6_5734 Depth=3
	v_bfe_u32 v60, v39, 24, 3
	v_bfe_u32 v63, v39, 27, 4
	s_delay_alu instid0(VALU_DEP_2) | instskip(NEXT) | instid1(VALU_DEP_2)
	v_clz_i32_u32_e32 v61, v60
	v_cmp_eq_u32_e32 vcc_lo, 0, v63
	s_delay_alu instid0(VALU_DEP_2) | instskip(NEXT) | instid1(VALU_DEP_1)
	v_min_u32_e32 v61, 32, v61
	v_subrev_nc_u32_e32 v62, 28, v61
	v_sub_nc_u32_e32 v61, 29, v61
	s_delay_alu instid0(VALU_DEP_2) | instskip(NEXT) | instid1(VALU_DEP_1)
	v_lshlrev_b32_e32 v62, v62, v57
	v_dual_cndmask_b32 v61, v63, v61 :: v_dual_and_b32 v62, 7, v62
	s_delay_alu instid0(VALU_DEP_1) | instskip(NEXT) | instid1(VALU_DEP_2)
	v_lshl_add_u32 v61, v61, 23, 0x3b800000
	v_cndmask_b32_e32 v60, v60, v62, vcc_lo
	v_and_b32_e32 v62, 0x80000000, v39
	s_delay_alu instid0(VALU_DEP_2) | instskip(NEXT) | instid1(VALU_DEP_1)
	v_lshlrev_b32_e32 v60, 20, v60
	v_or3_b32 v60, v62, v61, v60
.LBB6_6178:                             ;   in Loop: Header=BB6_5734 Depth=3
	s_or_b32 exec_lo, exec_lo, s17
	s_delay_alu instid0(VALU_DEP_1) | instskip(SKIP_1) | instid1(VALU_DEP_1)
	v_dual_max_f32 v60, v60, v60 :: v_dual_max_f32 v59, v59, v59
	s_mov_b32 s13, 0
	v_max_f32_e32 v59, v59, v60
	s_branch .LBB6_6180
.LBB6_6179:                             ;   in Loop: Header=BB6_5734 Depth=3
	s_mov_b32 s13, -1
                                        ; implicit-def: $vgpr59
.LBB6_6180:                             ;   in Loop: Header=BB6_5734 Depth=3
	s_delay_alu instid0(SALU_CYCLE_1)
	s_and_b32 vcc_lo, exec_lo, s13
	s_cbranch_vccz .LBB6_6190
; %bb.6181:                             ;   in Loop: Header=BB6_5734 Depth=3
	s_mov_b32 s13, 0
	s_mov_b32 s31, exec_lo
                                        ; implicit-def: $sgpr17
	v_cmpx_lt_i16_e32 0x7f, v58
	s_xor_b32 s31, exec_lo, s31
	s_cbranch_execnz .LBB6_7836
; %bb.6182:                             ;   in Loop: Header=BB6_5734 Depth=3
	s_or_saveexec_b32 s31, s31
	v_mov_b32_e32 v59, s17
	s_xor_b32 exec_lo, exec_lo, s31
	s_cbranch_execnz .LBB6_7839
.LBB6_6183:                             ;   in Loop: Header=BB6_5734 Depth=3
	s_or_b32 exec_lo, exec_lo, s31
	s_and_saveexec_b32 s17, s13
	s_cbranch_execz .LBB6_6185
.LBB6_6184:                             ;   in Loop: Header=BB6_5734 Depth=3
	v_bfe_u32 v59, v51, 24, 3
	s_delay_alu instid0(VALU_DEP_1) | instskip(NEXT) | instid1(VALU_DEP_1)
	v_clz_i32_u32_e32 v60, v59
	v_min_u32_e32 v60, 32, v60
	s_delay_alu instid0(VALU_DEP_1) | instskip(SKIP_1) | instid1(VALU_DEP_2)
	v_subrev_nc_u32_e32 v61, 28, v60
	v_sub_nc_u32_e32 v60, 29, v60
	v_lshlrev_b32_e32 v58, v61, v58
	v_bfe_u32 v61, v51, 27, 4
	v_and_b32_e32 v51, 0x80000000, v51
	s_delay_alu instid0(VALU_DEP_3) | instskip(NEXT) | instid1(VALU_DEP_3)
	v_and_b32_e32 v58, 7, v58
	v_cmp_eq_u32_e32 vcc_lo, 0, v61
	v_cndmask_b32_e32 v60, v61, v60, vcc_lo
	s_delay_alu instid0(VALU_DEP_3) | instskip(NEXT) | instid1(VALU_DEP_2)
	v_cndmask_b32_e32 v58, v59, v58, vcc_lo
	v_lshl_add_u32 v59, v60, 23, 0x3b800000
	s_delay_alu instid0(VALU_DEP_2) | instskip(NEXT) | instid1(VALU_DEP_1)
	v_lshlrev_b32_e32 v58, 20, v58
	v_or3_b32 v59, v51, v59, v58
.LBB6_6185:                             ;   in Loop: Header=BB6_5734 Depth=3
	s_or_b32 exec_lo, exec_lo, s17
	s_mov_b32 s13, 0
	s_mov_b32 s31, exec_lo
                                        ; implicit-def: $sgpr17
	v_cmpx_lt_i16_e32 0x7f, v57
	s_xor_b32 s31, exec_lo, s31
	s_cbranch_execnz .LBB6_7840
; %bb.6186:                             ;   in Loop: Header=BB6_5734 Depth=3
	s_or_saveexec_b32 s31, s31
	v_mov_b32_e32 v51, s17
	s_xor_b32 exec_lo, exec_lo, s31
	s_cbranch_execnz .LBB6_7843
.LBB6_6187:                             ;   in Loop: Header=BB6_5734 Depth=3
	s_or_b32 exec_lo, exec_lo, s31
	s_and_saveexec_b32 s17, s13
	s_cbranch_execz .LBB6_6189
.LBB6_6188:                             ;   in Loop: Header=BB6_5734 Depth=3
	v_bfe_u32 v51, v39, 24, 3
	s_delay_alu instid0(VALU_DEP_1) | instskip(NEXT) | instid1(VALU_DEP_1)
	v_clz_i32_u32_e32 v58, v51
	v_min_u32_e32 v58, 32, v58
	s_delay_alu instid0(VALU_DEP_1) | instskip(SKIP_1) | instid1(VALU_DEP_2)
	v_subrev_nc_u32_e32 v60, 28, v58
	v_sub_nc_u32_e32 v58, 29, v58
	v_lshlrev_b32_e32 v57, v60, v57
	v_bfe_u32 v60, v39, 27, 4
	v_and_b32_e32 v39, 0x80000000, v39
	s_delay_alu instid0(VALU_DEP_2) | instskip(NEXT) | instid1(VALU_DEP_4)
	v_cmp_eq_u32_e32 vcc_lo, 0, v60
	v_dual_cndmask_b32 v58, v60, v58 :: v_dual_and_b32 v57, 7, v57
	s_delay_alu instid0(VALU_DEP_1) | instskip(NEXT) | instid1(VALU_DEP_2)
	v_cndmask_b32_e32 v51, v51, v57, vcc_lo
	v_lshl_add_u32 v57, v58, 23, 0x3b800000
	s_delay_alu instid0(VALU_DEP_2) | instskip(NEXT) | instid1(VALU_DEP_1)
	v_lshlrev_b32_e32 v51, 20, v51
	v_or3_b32 v51, v39, v57, v51
.LBB6_6189:                             ;   in Loop: Header=BB6_5734 Depth=3
	s_or_b32 exec_lo, exec_lo, s17
	s_delay_alu instid0(VALU_DEP_1) | instskip(SKIP_1) | instid1(VALU_DEP_1)
	v_max_f32_e32 v39, v51, v51
	v_max_f32_e32 v51, v59, v59
	v_min_f32_e32 v59, v51, v39
.LBB6_6190:                             ;   in Loop: Header=BB6_5734 Depth=3
	s_delay_alu instid0(VALU_DEP_1) | instskip(NEXT) | instid1(VALU_DEP_1)
	v_and_b32_e32 v39, 0x7f800000, v59
	v_cmp_ne_u32_e32 vcc_lo, 0x7f800000, v39
	v_mov_b32_e32 v39, 0x8000
	s_and_saveexec_b32 s17, vcc_lo
	s_cbranch_execz .LBB6_6198
; %bb.6191:                             ;   in Loop: Header=BB6_5734 Depth=3
	v_mov_b32_e32 v39, 0
	s_mov_b32 s31, exec_lo
	v_cmpx_ne_u32_e32 0, v59
	s_cbranch_execz .LBB6_6197
; %bb.6192:                             ;   in Loop: Header=BB6_5734 Depth=3
	v_bfe_u32 v39, v59, 23, 8
	v_and_b32_e32 v51, 0x7fffff, v59
	s_delay_alu instid0(VALU_DEP_2) | instskip(SKIP_1) | instid1(VALU_DEP_3)
	v_sub_nc_u32_e32 v57, 0x78, v39
	v_cmp_gt_u32_e32 vcc_lo, 0x79, v39
	v_or_b32_e32 v58, 0x800000, v51
	s_delay_alu instid0(VALU_DEP_3) | instskip(SKIP_2) | instid1(VALU_DEP_3)
	v_cndmask_b32_e32 v57, 0, v57, vcc_lo
	v_cmp_eq_u32_e32 vcc_lo, 0, v39
	v_add_nc_u32_e32 v39, 0xffffff89, v39
	v_cndmask_b32_e64 v57, v57, 0x77, vcc_lo
	v_cndmask_b32_e32 v51, v58, v51, vcc_lo
	s_delay_alu instid0(VALU_DEP_3) | instskip(NEXT) | instid1(VALU_DEP_3)
	v_cndmask_b32_e64 v39, v39, 0xffffff8a, vcc_lo
	v_lshl_add_u32 v58, 0x100000, v57, -1
	s_delay_alu instid0(VALU_DEP_3) | instskip(SKIP_1) | instid1(VALU_DEP_4)
	v_lshrrev_b32_e32 v60, v57, v51
	v_lshlrev_b32_e64 v62, v57, 0x80000
	v_add_nc_u32_e32 v57, v57, v39
	s_delay_alu instid0(VALU_DEP_4) | instskip(NEXT) | instid1(VALU_DEP_4)
	v_and_b32_e32 v51, v58, v51
	v_bfe_u32 v61, v60, 20, 1
	s_delay_alu instid0(VALU_DEP_2) | instskip(NEXT) | instid1(VALU_DEP_2)
	v_cmp_eq_u32_e64 s13, v51, v62
	v_add_nc_u32_e32 v58, -1, v61
	s_delay_alu instid0(VALU_DEP_1) | instskip(SKIP_2) | instid1(VALU_DEP_2)
	v_cndmask_b32_e64 v51, 0, v58, s13
	v_lshrrev_b32_e32 v58, 23, v60
	s_mov_b32 s13, exec_lo
	v_add_nc_u32_e32 v51, v51, v60
	s_delay_alu instid0(VALU_DEP_2) | instskip(NEXT) | instid1(VALU_DEP_2)
	v_xor_b32_e32 v58, 1, v58
	v_and_b32_e32 v39, 0xfffff, v51
	s_delay_alu instid0(VALU_DEP_1) | instskip(NEXT) | instid1(VALU_DEP_3)
	v_add_nc_u32_e32 v51, v39, v60
                                        ; implicit-def: $vgpr39
	v_cmpx_ne_u32_e64 v57, v58
	s_xor_b32 s13, exec_lo, s13
; %bb.6193:                             ;   in Loop: Header=BB6_5734 Depth=3
	s_delay_alu instid0(VALU_DEP_2) | instskip(SKIP_2) | instid1(VALU_DEP_2)
	v_cmp_lt_u32_e32 vcc_lo, 0xffffff, v51
	v_sub_nc_u32_e32 v39, v57, v58
	v_cndmask_b32_e64 v57, 0, 1, vcc_lo
	v_add_co_ci_u32_e32 v39, vcc_lo, 0, v39, vcc_lo
	s_delay_alu instid0(VALU_DEP_2)
	v_lshrrev_b32_e32 v51, v57, v51
; %bb.6194:                             ;   in Loop: Header=BB6_5734 Depth=3
	s_and_not1_saveexec_b32 s13, s13
; %bb.6195:                             ;   in Loop: Header=BB6_5734 Depth=3
	s_delay_alu instid0(VALU_DEP_1)
	v_bfe_u32 v39, v51, 23, 1
; %bb.6196:                             ;   in Loop: Header=BB6_5734 Depth=3
	s_or_b32 exec_lo, exec_lo, s13
	v_lshrrev_b32_e32 v51, 20, v51
	s_delay_alu instid0(VALU_DEP_2) | instskip(SKIP_2) | instid1(VALU_DEP_3)
	v_min_i32_e32 v57, 15, v39
	v_cmp_gt_i32_e32 vcc_lo, 16, v39
	v_lshrrev_b32_e32 v58, 24, v59
	v_lshlrev_b32_e32 v57, 3, v57
	s_delay_alu instid0(VALU_DEP_2) | instskip(NEXT) | instid1(VALU_DEP_2)
	v_dual_cndmask_b32 v51, 7, v51 :: v_dual_and_b32 v58, 0x80, v58
	v_and_b32_e32 v57, 0xf8, v57
	s_delay_alu instid0(VALU_DEP_2) | instskip(SKIP_1) | instid1(VALU_DEP_2)
	v_and_b32_e32 v59, 7, v51
	v_or_b32_e32 v39, v39, v51
	v_or3_b32 v57, v58, v57, v59
	s_delay_alu instid0(VALU_DEP_2) | instskip(NEXT) | instid1(VALU_DEP_2)
	v_cmp_ne_u32_e32 vcc_lo, 0, v39
	v_lshlrev_b32_e32 v51, 8, v57
	s_delay_alu instid0(VALU_DEP_1)
	v_cndmask_b32_e32 v39, 0, v51, vcc_lo
.LBB6_6197:                             ;   in Loop: Header=BB6_5734 Depth=3
	s_or_b32 exec_lo, exec_lo, s31
.LBB6_6198:                             ;   in Loop: Header=BB6_5734 Depth=3
	s_delay_alu instid0(SALU_CYCLE_1) | instskip(SKIP_2) | instid1(VALU_DEP_1)
	s_or_b32 exec_lo, exec_lo, s17
	v_and_b32_e32 v51, 0xff, v32
	s_and_not1_b32 vcc_lo, exec_lo, s16
	v_cmp_lt_i16_e64 s13, 0x7f, v51
	s_cbranch_vccnz .LBB6_6208
; %bb.6199:                             ;   in Loop: Header=BB6_5734 Depth=3
	s_mov_b32 s17, 0
                                        ; implicit-def: $sgpr31
	s_delay_alu instid0(VALU_DEP_1) | instskip(NEXT) | instid1(SALU_CYCLE_1)
	s_and_saveexec_b32 vcc_lo, s13
	s_xor_b32 s13, exec_lo, vcc_lo
	s_cbranch_execnz .LBB6_7844
; %bb.6200:                             ;   in Loop: Header=BB6_5734 Depth=3
	s_or_saveexec_b32 s13, s13
	v_mov_b32_e32 v57, s31
	s_xor_b32 exec_lo, exec_lo, s13
	s_cbranch_execnz .LBB6_7847
.LBB6_6201:                             ;   in Loop: Header=BB6_5734 Depth=3
	s_or_b32 exec_lo, exec_lo, s13
	s_and_saveexec_b32 s13, s17
	s_cbranch_execz .LBB6_6203
.LBB6_6202:                             ;   in Loop: Header=BB6_5734 Depth=3
	v_bfe_u32 v60, v32, 3, 4
	v_lshlrev_b32_e32 v61, 24, v32
	s_delay_alu instid0(VALU_DEP_2) | instskip(SKIP_1) | instid1(VALU_DEP_1)
	v_cmp_eq_u32_e32 vcc_lo, 0, v60
	v_and_b32_e32 v57, 7, v32
	v_clz_i32_u32_e32 v58, v57
	s_delay_alu instid0(VALU_DEP_1) | instskip(NEXT) | instid1(VALU_DEP_1)
	v_min_u32_e32 v58, 32, v58
	v_subrev_nc_u32_e32 v59, 28, v58
	v_sub_nc_u32_e32 v58, 29, v58
	s_delay_alu instid0(VALU_DEP_1) | instskip(NEXT) | instid1(VALU_DEP_1)
	v_dual_cndmask_b32 v58, v60, v58 :: v_dual_lshlrev_b32 v59, v59, v32
	v_and_b32_e32 v59, 7, v59
	s_delay_alu instid0(VALU_DEP_2) | instskip(NEXT) | instid1(VALU_DEP_2)
	v_lshl_add_u32 v58, v58, 23, 0x3b800000
	v_cndmask_b32_e32 v57, v57, v59, vcc_lo
	v_and_b32_e32 v59, 0x80000000, v61
	s_delay_alu instid0(VALU_DEP_2) | instskip(NEXT) | instid1(VALU_DEP_1)
	v_lshlrev_b32_e32 v57, 20, v57
	v_or3_b32 v57, v59, v58, v57
.LBB6_6203:                             ;   in Loop: Header=BB6_5734 Depth=3
	s_or_b32 exec_lo, exec_lo, s13
	s_waitcnt vmcnt(2)
	v_and_b32_e32 v59, 0xff, v24
	s_mov_b32 s13, 0
	s_mov_b32 s31, exec_lo
                                        ; implicit-def: $sgpr17
	s_delay_alu instid0(VALU_DEP_1)
	v_cmpx_lt_i16_e32 0x7f, v59
	s_xor_b32 s31, exec_lo, s31
	s_cbranch_execnz .LBB6_7848
; %bb.6204:                             ;   in Loop: Header=BB6_5734 Depth=3
	s_or_saveexec_b32 s31, s31
	v_mov_b32_e32 v58, s17
	s_xor_b32 exec_lo, exec_lo, s31
	s_cbranch_execnz .LBB6_7851
.LBB6_6205:                             ;   in Loop: Header=BB6_5734 Depth=3
	s_or_b32 exec_lo, exec_lo, s31
	s_and_saveexec_b32 s17, s13
	s_cbranch_execz .LBB6_6207
.LBB6_6206:                             ;   in Loop: Header=BB6_5734 Depth=3
	v_bfe_u32 v61, v24, 3, 4
	v_lshlrev_b32_e32 v62, 24, v24
	s_delay_alu instid0(VALU_DEP_2) | instskip(SKIP_1) | instid1(VALU_DEP_1)
	v_cmp_eq_u32_e32 vcc_lo, 0, v61
	v_and_b32_e32 v58, 7, v24
	v_clz_i32_u32_e32 v59, v58
	s_delay_alu instid0(VALU_DEP_1) | instskip(NEXT) | instid1(VALU_DEP_1)
	v_min_u32_e32 v59, 32, v59
	v_subrev_nc_u32_e32 v60, 28, v59
	v_sub_nc_u32_e32 v59, 29, v59
	s_delay_alu instid0(VALU_DEP_1) | instskip(NEXT) | instid1(VALU_DEP_1)
	v_dual_cndmask_b32 v59, v61, v59 :: v_dual_lshlrev_b32 v60, v60, v24
	v_and_b32_e32 v60, 7, v60
	s_delay_alu instid0(VALU_DEP_2) | instskip(NEXT) | instid1(VALU_DEP_2)
	v_lshl_add_u32 v59, v59, 23, 0x3b800000
	v_cndmask_b32_e32 v58, v58, v60, vcc_lo
	v_and_b32_e32 v60, 0x80000000, v62
	s_delay_alu instid0(VALU_DEP_2) | instskip(NEXT) | instid1(VALU_DEP_1)
	v_lshlrev_b32_e32 v58, 20, v58
	v_or3_b32 v58, v60, v59, v58
.LBB6_6207:                             ;   in Loop: Header=BB6_5734 Depth=3
	s_or_b32 exec_lo, exec_lo, s17
	s_delay_alu instid0(VALU_DEP_1) | instskip(SKIP_1) | instid1(VALU_DEP_1)
	v_dual_max_f32 v58, v58, v58 :: v_dual_max_f32 v57, v57, v57
	s_mov_b32 s13, 0
	v_max_f32_e32 v57, v57, v58
	s_branch .LBB6_6209
.LBB6_6208:                             ;   in Loop: Header=BB6_5734 Depth=3
	s_mov_b32 s13, -1
                                        ; implicit-def: $vgpr57
.LBB6_6209:                             ;   in Loop: Header=BB6_5734 Depth=3
	s_delay_alu instid0(SALU_CYCLE_1)
	s_and_b32 vcc_lo, exec_lo, s13
	s_cbranch_vccz .LBB6_6219
; %bb.6210:                             ;   in Loop: Header=BB6_5734 Depth=3
	s_mov_b32 s13, 0
	s_mov_b32 s31, exec_lo
                                        ; implicit-def: $sgpr17
	v_cmpx_lt_i16_e32 0x7f, v51
	s_xor_b32 s31, exec_lo, s31
	s_cbranch_execnz .LBB6_7852
; %bb.6211:                             ;   in Loop: Header=BB6_5734 Depth=3
	s_or_saveexec_b32 s31, s31
	v_mov_b32_e32 v57, s17
	s_xor_b32 exec_lo, exec_lo, s31
	s_cbranch_execnz .LBB6_7855
.LBB6_6212:                             ;   in Loop: Header=BB6_5734 Depth=3
	s_or_b32 exec_lo, exec_lo, s31
	s_and_saveexec_b32 s17, s13
	s_cbranch_execz .LBB6_6214
.LBB6_6213:                             ;   in Loop: Header=BB6_5734 Depth=3
	v_and_b32_e32 v51, 7, v32
	v_bfe_u32 v59, v32, 3, 4
	s_delay_alu instid0(VALU_DEP_2) | instskip(NEXT) | instid1(VALU_DEP_2)
	v_clz_i32_u32_e32 v57, v51
	v_cmp_eq_u32_e32 vcc_lo, 0, v59
	s_delay_alu instid0(VALU_DEP_2) | instskip(NEXT) | instid1(VALU_DEP_1)
	v_min_u32_e32 v57, 32, v57
	v_subrev_nc_u32_e32 v58, 28, v57
	v_sub_nc_u32_e32 v57, 29, v57
	s_delay_alu instid0(VALU_DEP_1) | instskip(NEXT) | instid1(VALU_DEP_1)
	v_dual_cndmask_b32 v57, v59, v57 :: v_dual_lshlrev_b32 v58, v58, v32
	v_and_b32_e32 v58, 7, v58
	v_lshlrev_b32_e32 v60, 24, v32
	s_delay_alu instid0(VALU_DEP_3) | instskip(NEXT) | instid1(VALU_DEP_2)
	v_lshl_add_u32 v57, v57, 23, 0x3b800000
	v_dual_cndmask_b32 v51, v51, v58 :: v_dual_and_b32 v58, 0x80000000, v60
	s_delay_alu instid0(VALU_DEP_1) | instskip(NEXT) | instid1(VALU_DEP_1)
	v_lshlrev_b32_e32 v51, 20, v51
	v_or3_b32 v57, v58, v57, v51
.LBB6_6214:                             ;   in Loop: Header=BB6_5734 Depth=3
	s_or_b32 exec_lo, exec_lo, s17
	s_waitcnt vmcnt(2)
	v_and_b32_e32 v58, 0xff, v24
	s_mov_b32 s13, 0
	s_mov_b32 s31, exec_lo
                                        ; implicit-def: $sgpr17
	s_delay_alu instid0(VALU_DEP_1)
	v_cmpx_lt_i16_e32 0x7f, v58
	s_xor_b32 s31, exec_lo, s31
	s_cbranch_execnz .LBB6_7856
; %bb.6215:                             ;   in Loop: Header=BB6_5734 Depth=3
	s_or_saveexec_b32 s31, s31
	v_mov_b32_e32 v51, s17
	s_xor_b32 exec_lo, exec_lo, s31
	s_cbranch_execnz .LBB6_7859
.LBB6_6216:                             ;   in Loop: Header=BB6_5734 Depth=3
	s_or_b32 exec_lo, exec_lo, s31
	s_and_saveexec_b32 s17, s13
	s_cbranch_execz .LBB6_6218
.LBB6_6217:                             ;   in Loop: Header=BB6_5734 Depth=3
	v_bfe_u32 v60, v24, 3, 4
	v_lshlrev_b32_e32 v61, 24, v24
	s_delay_alu instid0(VALU_DEP_2) | instskip(SKIP_1) | instid1(VALU_DEP_1)
	v_cmp_eq_u32_e32 vcc_lo, 0, v60
	v_and_b32_e32 v51, 7, v24
	v_clz_i32_u32_e32 v58, v51
	s_delay_alu instid0(VALU_DEP_1) | instskip(NEXT) | instid1(VALU_DEP_1)
	v_min_u32_e32 v58, 32, v58
	v_subrev_nc_u32_e32 v59, 28, v58
	v_sub_nc_u32_e32 v58, 29, v58
	s_delay_alu instid0(VALU_DEP_1) | instskip(NEXT) | instid1(VALU_DEP_1)
	v_dual_cndmask_b32 v58, v60, v58 :: v_dual_lshlrev_b32 v59, v59, v24
	v_and_b32_e32 v59, 7, v59
	s_delay_alu instid0(VALU_DEP_2) | instskip(NEXT) | instid1(VALU_DEP_2)
	v_lshl_add_u32 v58, v58, 23, 0x3b800000
	v_cndmask_b32_e32 v51, v51, v59, vcc_lo
	v_and_b32_e32 v59, 0x80000000, v61
	s_delay_alu instid0(VALU_DEP_2) | instskip(NEXT) | instid1(VALU_DEP_1)
	v_lshlrev_b32_e32 v51, 20, v51
	v_or3_b32 v51, v59, v58, v51
.LBB6_6218:                             ;   in Loop: Header=BB6_5734 Depth=3
	s_or_b32 exec_lo, exec_lo, s17
	s_delay_alu instid0(VALU_DEP_1) | instskip(SKIP_1) | instid1(VALU_DEP_1)
	v_max_f32_e32 v51, v51, v51
	v_max_f32_e32 v57, v57, v57
	v_min_f32_e32 v57, v57, v51
.LBB6_6219:                             ;   in Loop: Header=BB6_5734 Depth=3
	s_delay_alu instid0(VALU_DEP_1) | instskip(NEXT) | instid1(VALU_DEP_1)
	v_and_b32_e32 v51, 0x7f800000, v57
	v_cmp_ne_u32_e32 vcc_lo, 0x7f800000, v51
	v_mov_b32_e32 v51, 0x80
	s_and_saveexec_b32 s17, vcc_lo
	s_cbranch_execz .LBB6_6227
; %bb.6220:                             ;   in Loop: Header=BB6_5734 Depth=3
	v_mov_b32_e32 v51, 0
	s_mov_b32 s31, exec_lo
	v_cmpx_ne_u32_e32 0, v57
	s_cbranch_execz .LBB6_6226
; %bb.6221:                             ;   in Loop: Header=BB6_5734 Depth=3
	v_bfe_u32 v51, v57, 23, 8
	s_delay_alu instid0(VALU_DEP_1) | instskip(SKIP_1) | instid1(VALU_DEP_2)
	v_sub_nc_u32_e32 v59, 0x78, v51
	v_cmp_gt_u32_e32 vcc_lo, 0x79, v51
	v_dual_cndmask_b32 v59, 0, v59 :: v_dual_and_b32 v58, 0x7fffff, v57
	s_delay_alu instid0(VALU_DEP_1) | instskip(SKIP_2) | instid1(VALU_DEP_4)
	v_or_b32_e32 v60, 0x800000, v58
	v_cmp_eq_u32_e32 vcc_lo, 0, v51
	v_add_nc_u32_e32 v51, 0xffffff89, v51
	v_cndmask_b32_e64 v59, v59, 0x77, vcc_lo
	s_delay_alu instid0(VALU_DEP_4) | instskip(NEXT) | instid1(VALU_DEP_3)
	v_cndmask_b32_e32 v58, v60, v58, vcc_lo
	v_cndmask_b32_e64 v51, v51, 0xffffff8a, vcc_lo
	s_delay_alu instid0(VALU_DEP_3) | instskip(NEXT) | instid1(VALU_DEP_3)
	v_lshl_add_u32 v60, 0x100000, v59, -1
	v_lshrrev_b32_e32 v61, v59, v58
	v_lshlrev_b32_e64 v63, v59, 0x80000
	s_delay_alu instid0(VALU_DEP_4) | instskip(NEXT) | instid1(VALU_DEP_4)
	v_add_nc_u32_e32 v59, v59, v51
	v_and_b32_e32 v58, v60, v58
	s_delay_alu instid0(VALU_DEP_4) | instskip(NEXT) | instid1(VALU_DEP_2)
	v_bfe_u32 v62, v61, 20, 1
	v_cmp_eq_u32_e64 s13, v58, v63
	s_delay_alu instid0(VALU_DEP_2) | instskip(NEXT) | instid1(VALU_DEP_1)
	v_add_nc_u32_e32 v60, -1, v62
	v_cndmask_b32_e64 v58, 0, v60, s13
	v_lshrrev_b32_e32 v60, 23, v61
	s_mov_b32 s13, exec_lo
	s_delay_alu instid0(VALU_DEP_2) | instskip(NEXT) | instid1(VALU_DEP_2)
	v_add_nc_u32_e32 v58, v58, v61
	v_xor_b32_e32 v60, 1, v60
	s_delay_alu instid0(VALU_DEP_2) | instskip(NEXT) | instid1(VALU_DEP_1)
	v_and_b32_e32 v51, 0xfffff, v58
	v_add_nc_u32_e32 v58, v51, v61
                                        ; implicit-def: $vgpr51
	s_delay_alu instid0(VALU_DEP_3)
	v_cmpx_ne_u32_e64 v59, v60
	s_xor_b32 s13, exec_lo, s13
; %bb.6222:                             ;   in Loop: Header=BB6_5734 Depth=3
	s_delay_alu instid0(VALU_DEP_2) | instskip(SKIP_2) | instid1(VALU_DEP_2)
	v_cmp_lt_u32_e32 vcc_lo, 0xffffff, v58
	v_sub_nc_u32_e32 v51, v59, v60
	v_cndmask_b32_e64 v59, 0, 1, vcc_lo
	v_add_co_ci_u32_e32 v51, vcc_lo, 0, v51, vcc_lo
	s_delay_alu instid0(VALU_DEP_2)
	v_lshrrev_b32_e32 v58, v59, v58
; %bb.6223:                             ;   in Loop: Header=BB6_5734 Depth=3
	s_and_not1_saveexec_b32 s13, s13
; %bb.6224:                             ;   in Loop: Header=BB6_5734 Depth=3
	s_delay_alu instid0(VALU_DEP_1)
	v_bfe_u32 v51, v58, 23, 1
; %bb.6225:                             ;   in Loop: Header=BB6_5734 Depth=3
	s_or_b32 exec_lo, exec_lo, s13
	v_lshrrev_b32_e32 v58, 20, v58
	s_delay_alu instid0(VALU_DEP_2) | instskip(SKIP_2) | instid1(VALU_DEP_2)
	v_cmp_gt_i32_e32 vcc_lo, 16, v51
	v_lshrrev_b32_e32 v57, 24, v57
	v_min_i32_e32 v59, 15, v51
	v_dual_cndmask_b32 v58, 7, v58 :: v_dual_and_b32 v57, 0x80, v57
	s_delay_alu instid0(VALU_DEP_2) | instskip(NEXT) | instid1(VALU_DEP_2)
	v_lshlrev_b32_e32 v59, 3, v59
	v_or_b32_e32 v51, v51, v58
	s_delay_alu instid0(VALU_DEP_1) | instskip(SKIP_1) | instid1(VALU_DEP_1)
	v_cmp_ne_u32_e32 vcc_lo, 0, v51
	v_and_b32_e32 v60, 7, v58
	v_or3_b32 v57, v59, v57, v60
	s_delay_alu instid0(VALU_DEP_1)
	v_cndmask_b32_e32 v51, 0, v57, vcc_lo
.LBB6_6226:                             ;   in Loop: Header=BB6_5734 Depth=3
	s_or_b32 exec_lo, exec_lo, s31
.LBB6_6227:                             ;   in Loop: Header=BB6_5734 Depth=3
	s_delay_alu instid0(SALU_CYCLE_1) | instskip(SKIP_4) | instid1(VALU_DEP_2)
	s_or_b32 exec_lo, exec_lo, s17
	v_lshrrev_b16 v58, 8, v32
	s_waitcnt vmcnt(2)
	v_lshrrev_b16 v57, 8, v24
	s_and_not1_b32 vcc_lo, exec_lo, s16
	v_cmp_lt_i16_e64 s13, 0x7f, v58
	s_cbranch_vccnz .LBB6_6237
; %bb.6228:                             ;   in Loop: Header=BB6_5734 Depth=3
	s_mov_b32 s17, 0
                                        ; implicit-def: $sgpr31
	s_delay_alu instid0(VALU_DEP_1) | instskip(NEXT) | instid1(SALU_CYCLE_1)
	s_and_saveexec_b32 vcc_lo, s13
	s_xor_b32 s13, exec_lo, vcc_lo
	s_cbranch_execnz .LBB6_7860
; %bb.6229:                             ;   in Loop: Header=BB6_5734 Depth=3
	s_or_saveexec_b32 s13, s13
	v_mov_b32_e32 v59, s31
	s_xor_b32 exec_lo, exec_lo, s13
	s_cbranch_execnz .LBB6_7863
.LBB6_6230:                             ;   in Loop: Header=BB6_5734 Depth=3
	s_or_b32 exec_lo, exec_lo, s13
	s_and_saveexec_b32 s13, s17
	s_cbranch_execz .LBB6_6232
.LBB6_6231:                             ;   in Loop: Header=BB6_5734 Depth=3
	v_and_b32_e32 v59, 0xffff, v58
	s_delay_alu instid0(VALU_DEP_1) | instskip(NEXT) | instid1(VALU_DEP_1)
	v_and_b32_e32 v60, 7, v59
	v_clz_i32_u32_e32 v61, v60
	s_delay_alu instid0(VALU_DEP_1) | instskip(NEXT) | instid1(VALU_DEP_1)
	v_min_u32_e32 v61, 32, v61
	v_subrev_nc_u32_e32 v62, 28, v61
	v_sub_nc_u32_e32 v61, 29, v61
	s_delay_alu instid0(VALU_DEP_2) | instskip(SKIP_1) | instid1(VALU_DEP_2)
	v_lshlrev_b32_e32 v62, v62, v59
	v_bfe_u32 v59, v59, 3, 4
	v_and_b32_e32 v62, 7, v62
	s_delay_alu instid0(VALU_DEP_2) | instskip(SKIP_1) | instid1(VALU_DEP_3)
	v_cmp_eq_u32_e32 vcc_lo, 0, v59
	v_cndmask_b32_e32 v59, v59, v61, vcc_lo
	v_dual_cndmask_b32 v60, v60, v62 :: v_dual_lshlrev_b32 v63, 16, v32
	s_delay_alu instid0(VALU_DEP_2) | instskip(NEXT) | instid1(VALU_DEP_2)
	v_lshl_add_u32 v59, v59, 23, 0x3b800000
	v_and_b32_e32 v61, 0x80000000, v63
	s_delay_alu instid0(VALU_DEP_3) | instskip(NEXT) | instid1(VALU_DEP_1)
	v_lshlrev_b32_e32 v60, 20, v60
	v_or3_b32 v59, v61, v59, v60
.LBB6_6232:                             ;   in Loop: Header=BB6_5734 Depth=3
	s_or_b32 exec_lo, exec_lo, s13
	s_mov_b32 s13, 0
	s_mov_b32 s31, exec_lo
                                        ; implicit-def: $sgpr17
	v_cmpx_lt_i16_e32 0x7f, v57
	s_xor_b32 s31, exec_lo, s31
	s_cbranch_execnz .LBB6_7864
; %bb.6233:                             ;   in Loop: Header=BB6_5734 Depth=3
	s_or_saveexec_b32 s31, s31
	v_mov_b32_e32 v60, s17
	s_xor_b32 exec_lo, exec_lo, s31
	s_cbranch_execnz .LBB6_7867
.LBB6_6234:                             ;   in Loop: Header=BB6_5734 Depth=3
	s_or_b32 exec_lo, exec_lo, s31
	s_and_saveexec_b32 s17, s13
	s_cbranch_execz .LBB6_6236
.LBB6_6235:                             ;   in Loop: Header=BB6_5734 Depth=3
	v_and_b32_e32 v60, 0xffff, v57
	v_lshlrev_b32_e32 v72, 16, v24
	s_delay_alu instid0(VALU_DEP_2) | instskip(NEXT) | instid1(VALU_DEP_1)
	v_and_b32_e32 v61, 7, v60
	v_clz_i32_u32_e32 v62, v61
	s_delay_alu instid0(VALU_DEP_1) | instskip(NEXT) | instid1(VALU_DEP_1)
	v_min_u32_e32 v62, 32, v62
	v_subrev_nc_u32_e32 v63, 28, v62
	v_sub_nc_u32_e32 v62, 29, v62
	s_delay_alu instid0(VALU_DEP_2) | instskip(SKIP_1) | instid1(VALU_DEP_2)
	v_lshlrev_b32_e32 v63, v63, v60
	v_bfe_u32 v60, v60, 3, 4
	v_and_b32_e32 v63, 7, v63
	s_delay_alu instid0(VALU_DEP_2) | instskip(NEXT) | instid1(VALU_DEP_2)
	v_cmp_eq_u32_e32 vcc_lo, 0, v60
	v_dual_cndmask_b32 v60, v60, v62 :: v_dual_cndmask_b32 v61, v61, v63
	v_and_b32_e32 v62, 0x80000000, v72
	s_delay_alu instid0(VALU_DEP_2) | instskip(NEXT) | instid1(VALU_DEP_3)
	v_lshl_add_u32 v60, v60, 23, 0x3b800000
	v_lshlrev_b32_e32 v61, 20, v61
	s_delay_alu instid0(VALU_DEP_1)
	v_or3_b32 v60, v62, v60, v61
.LBB6_6236:                             ;   in Loop: Header=BB6_5734 Depth=3
	s_or_b32 exec_lo, exec_lo, s17
	s_delay_alu instid0(VALU_DEP_1) | instskip(SKIP_1) | instid1(VALU_DEP_1)
	v_dual_max_f32 v60, v60, v60 :: v_dual_max_f32 v59, v59, v59
	s_mov_b32 s13, 0
	v_max_f32_e32 v59, v59, v60
	s_branch .LBB6_6238
.LBB6_6237:                             ;   in Loop: Header=BB6_5734 Depth=3
	s_mov_b32 s13, -1
                                        ; implicit-def: $vgpr59
.LBB6_6238:                             ;   in Loop: Header=BB6_5734 Depth=3
	s_delay_alu instid0(SALU_CYCLE_1)
	s_and_b32 vcc_lo, exec_lo, s13
	s_cbranch_vccz .LBB6_6248
; %bb.6239:                             ;   in Loop: Header=BB6_5734 Depth=3
	s_mov_b32 s13, 0
	s_mov_b32 s31, exec_lo
                                        ; implicit-def: $sgpr17
	v_cmpx_lt_i16_e32 0x7f, v58
	s_xor_b32 s31, exec_lo, s31
	s_cbranch_execnz .LBB6_7868
; %bb.6240:                             ;   in Loop: Header=BB6_5734 Depth=3
	s_or_saveexec_b32 s31, s31
	v_mov_b32_e32 v59, s17
	s_xor_b32 exec_lo, exec_lo, s31
	s_cbranch_execnz .LBB6_7871
.LBB6_6241:                             ;   in Loop: Header=BB6_5734 Depth=3
	s_or_b32 exec_lo, exec_lo, s31
	s_and_saveexec_b32 s17, s13
	s_cbranch_execz .LBB6_6243
.LBB6_6242:                             ;   in Loop: Header=BB6_5734 Depth=3
	v_and_b32_e32 v58, 0xffff, v58
	v_lshlrev_b32_e32 v62, 16, v32
	s_delay_alu instid0(VALU_DEP_2) | instskip(NEXT) | instid1(VALU_DEP_1)
	v_and_b32_e32 v59, 7, v58
	v_clz_i32_u32_e32 v60, v59
	s_delay_alu instid0(VALU_DEP_1) | instskip(NEXT) | instid1(VALU_DEP_1)
	v_min_u32_e32 v60, 32, v60
	v_subrev_nc_u32_e32 v61, 28, v60
	v_sub_nc_u32_e32 v60, 29, v60
	s_delay_alu instid0(VALU_DEP_2) | instskip(SKIP_1) | instid1(VALU_DEP_2)
	v_lshlrev_b32_e32 v61, v61, v58
	v_bfe_u32 v58, v58, 3, 4
	v_and_b32_e32 v61, 7, v61
	s_delay_alu instid0(VALU_DEP_2) | instskip(NEXT) | instid1(VALU_DEP_2)
	v_cmp_eq_u32_e32 vcc_lo, 0, v58
	v_dual_cndmask_b32 v58, v58, v60 :: v_dual_cndmask_b32 v59, v59, v61
	v_and_b32_e32 v60, 0x80000000, v62
	s_delay_alu instid0(VALU_DEP_2) | instskip(NEXT) | instid1(VALU_DEP_3)
	v_lshl_add_u32 v58, v58, 23, 0x3b800000
	v_lshlrev_b32_e32 v59, 20, v59
	s_delay_alu instid0(VALU_DEP_1)
	v_or3_b32 v59, v60, v58, v59
.LBB6_6243:                             ;   in Loop: Header=BB6_5734 Depth=3
	s_or_b32 exec_lo, exec_lo, s17
	s_mov_b32 s13, 0
	s_mov_b32 s31, exec_lo
                                        ; implicit-def: $sgpr17
	v_cmpx_lt_i16_e32 0x7f, v57
	s_xor_b32 s31, exec_lo, s31
	s_cbranch_execnz .LBB6_7872
; %bb.6244:                             ;   in Loop: Header=BB6_5734 Depth=3
	s_or_saveexec_b32 s31, s31
	v_mov_b32_e32 v58, s17
	s_xor_b32 exec_lo, exec_lo, s31
	s_cbranch_execnz .LBB6_7875
.LBB6_6245:                             ;   in Loop: Header=BB6_5734 Depth=3
	s_or_b32 exec_lo, exec_lo, s31
	s_and_saveexec_b32 s17, s13
	s_cbranch_execz .LBB6_6247
.LBB6_6246:                             ;   in Loop: Header=BB6_5734 Depth=3
	v_and_b32_e32 v57, 0xffff, v57
	v_lshlrev_b32_e32 v62, 16, v24
	s_delay_alu instid0(VALU_DEP_2) | instskip(NEXT) | instid1(VALU_DEP_1)
	v_and_b32_e32 v58, 7, v57
	v_clz_i32_u32_e32 v60, v58
	s_delay_alu instid0(VALU_DEP_1) | instskip(NEXT) | instid1(VALU_DEP_1)
	v_min_u32_e32 v60, 32, v60
	v_subrev_nc_u32_e32 v61, 28, v60
	v_sub_nc_u32_e32 v60, 29, v60
	s_delay_alu instid0(VALU_DEP_2) | instskip(SKIP_1) | instid1(VALU_DEP_2)
	v_lshlrev_b32_e32 v61, v61, v57
	v_bfe_u32 v57, v57, 3, 4
	v_and_b32_e32 v61, 7, v61
	s_delay_alu instid0(VALU_DEP_2) | instskip(NEXT) | instid1(VALU_DEP_2)
	v_cmp_eq_u32_e32 vcc_lo, 0, v57
	v_dual_cndmask_b32 v57, v57, v60 :: v_dual_cndmask_b32 v58, v58, v61
	v_and_b32_e32 v60, 0x80000000, v62
	s_delay_alu instid0(VALU_DEP_2) | instskip(NEXT) | instid1(VALU_DEP_3)
	v_lshl_add_u32 v57, v57, 23, 0x3b800000
	v_lshlrev_b32_e32 v58, 20, v58
	s_delay_alu instid0(VALU_DEP_1)
	v_or3_b32 v58, v60, v57, v58
.LBB6_6247:                             ;   in Loop: Header=BB6_5734 Depth=3
	s_or_b32 exec_lo, exec_lo, s17
	s_delay_alu instid0(VALU_DEP_1) | instskip(NEXT) | instid1(VALU_DEP_1)
	v_dual_max_f32 v57, v58, v58 :: v_dual_max_f32 v58, v59, v59
	v_min_f32_e32 v59, v58, v57
.LBB6_6248:                             ;   in Loop: Header=BB6_5734 Depth=3
	s_delay_alu instid0(VALU_DEP_1) | instskip(NEXT) | instid1(VALU_DEP_1)
	v_and_b32_e32 v57, 0x7f800000, v59
	v_cmp_ne_u32_e32 vcc_lo, 0x7f800000, v57
	v_mov_b32_e32 v57, 0x80
	s_and_saveexec_b32 s17, vcc_lo
	s_cbranch_execz .LBB6_6256
; %bb.6249:                             ;   in Loop: Header=BB6_5734 Depth=3
	v_mov_b32_e32 v57, 0
	s_mov_b32 s31, exec_lo
	v_cmpx_ne_u32_e32 0, v59
	s_cbranch_execz .LBB6_6255
; %bb.6250:                             ;   in Loop: Header=BB6_5734 Depth=3
	v_bfe_u32 v57, v59, 23, 8
	v_and_b32_e32 v58, 0x7fffff, v59
	s_delay_alu instid0(VALU_DEP_2) | instskip(SKIP_1) | instid1(VALU_DEP_3)
	v_sub_nc_u32_e32 v60, 0x78, v57
	v_cmp_gt_u32_e32 vcc_lo, 0x79, v57
	v_or_b32_e32 v61, 0x800000, v58
	s_delay_alu instid0(VALU_DEP_3) | instskip(SKIP_2) | instid1(VALU_DEP_3)
	v_cndmask_b32_e32 v60, 0, v60, vcc_lo
	v_cmp_eq_u32_e32 vcc_lo, 0, v57
	v_add_nc_u32_e32 v57, 0xffffff89, v57
	v_cndmask_b32_e64 v60, v60, 0x77, vcc_lo
	v_cndmask_b32_e32 v58, v61, v58, vcc_lo
	s_delay_alu instid0(VALU_DEP_3) | instskip(NEXT) | instid1(VALU_DEP_3)
	v_cndmask_b32_e64 v57, v57, 0xffffff8a, vcc_lo
	v_lshl_add_u32 v61, 0x100000, v60, -1
	s_delay_alu instid0(VALU_DEP_3) | instskip(SKIP_1) | instid1(VALU_DEP_4)
	v_lshrrev_b32_e32 v62, v60, v58
	v_lshlrev_b32_e64 v72, v60, 0x80000
	v_add_nc_u32_e32 v60, v60, v57
	s_delay_alu instid0(VALU_DEP_4) | instskip(NEXT) | instid1(VALU_DEP_4)
	v_and_b32_e32 v58, v61, v58
	v_bfe_u32 v63, v62, 20, 1
	s_delay_alu instid0(VALU_DEP_2) | instskip(NEXT) | instid1(VALU_DEP_2)
	v_cmp_eq_u32_e64 s13, v58, v72
	v_add_nc_u32_e32 v61, -1, v63
	s_delay_alu instid0(VALU_DEP_1) | instskip(SKIP_2) | instid1(VALU_DEP_2)
	v_cndmask_b32_e64 v58, 0, v61, s13
	v_lshrrev_b32_e32 v61, 23, v62
	s_mov_b32 s13, exec_lo
	v_add_nc_u32_e32 v58, v58, v62
	s_delay_alu instid0(VALU_DEP_2) | instskip(NEXT) | instid1(VALU_DEP_2)
	v_xor_b32_e32 v61, 1, v61
	v_and_b32_e32 v57, 0xfffff, v58
	s_delay_alu instid0(VALU_DEP_1) | instskip(NEXT) | instid1(VALU_DEP_3)
	v_add_nc_u32_e32 v58, v57, v62
                                        ; implicit-def: $vgpr57
	v_cmpx_ne_u32_e64 v60, v61
	s_xor_b32 s13, exec_lo, s13
; %bb.6251:                             ;   in Loop: Header=BB6_5734 Depth=3
	s_delay_alu instid0(VALU_DEP_2) | instskip(SKIP_2) | instid1(VALU_DEP_2)
	v_cmp_lt_u32_e32 vcc_lo, 0xffffff, v58
	v_sub_nc_u32_e32 v57, v60, v61
	v_cndmask_b32_e64 v60, 0, 1, vcc_lo
	v_add_co_ci_u32_e32 v57, vcc_lo, 0, v57, vcc_lo
	s_delay_alu instid0(VALU_DEP_2)
	v_lshrrev_b32_e32 v58, v60, v58
; %bb.6252:                             ;   in Loop: Header=BB6_5734 Depth=3
	s_and_not1_saveexec_b32 s13, s13
; %bb.6253:                             ;   in Loop: Header=BB6_5734 Depth=3
	s_delay_alu instid0(VALU_DEP_1)
	v_bfe_u32 v57, v58, 23, 1
; %bb.6254:                             ;   in Loop: Header=BB6_5734 Depth=3
	s_or_b32 exec_lo, exec_lo, s13
	v_lshrrev_b32_e32 v58, 20, v58
	s_delay_alu instid0(VALU_DEP_2) | instskip(SKIP_2) | instid1(VALU_DEP_2)
	v_cmp_gt_i32_e32 vcc_lo, 16, v57
	v_lshrrev_b32_e32 v59, 24, v59
	v_min_i32_e32 v60, 15, v57
	v_dual_cndmask_b32 v58, 7, v58 :: v_dual_and_b32 v59, 0x80, v59
	s_delay_alu instid0(VALU_DEP_1) | instskip(SKIP_1) | instid1(VALU_DEP_2)
	v_or_b32_e32 v57, v57, v58
	v_and_b32_e32 v61, 7, v58
	v_cmp_ne_u32_e32 vcc_lo, 0, v57
	v_lshlrev_b32_e32 v60, 3, v60
	s_delay_alu instid0(VALU_DEP_1) | instskip(NEXT) | instid1(VALU_DEP_1)
	v_or3_b32 v58, v60, v59, v61
	v_cndmask_b32_e32 v57, 0, v58, vcc_lo
.LBB6_6255:                             ;   in Loop: Header=BB6_5734 Depth=3
	s_or_b32 exec_lo, exec_lo, s31
.LBB6_6256:                             ;   in Loop: Header=BB6_5734 Depth=3
	s_delay_alu instid0(SALU_CYCLE_1) | instskip(SKIP_3) | instid1(VALU_DEP_2)
	s_or_b32 exec_lo, exec_lo, s17
	v_lshrrev_b32_e32 v59, 16, v32
	v_lshrrev_b32_e32 v58, 16, v24
	s_and_not1_b32 vcc_lo, exec_lo, s16
	v_and_b32_e32 v60, 0xff, v59
	s_delay_alu instid0(VALU_DEP_1)
	v_cmp_lt_i16_e64 s13, 0x7f, v60
	s_cbranch_vccnz .LBB6_6266
; %bb.6257:                             ;   in Loop: Header=BB6_5734 Depth=3
	s_mov_b32 s17, 0
                                        ; implicit-def: $sgpr31
	s_delay_alu instid0(VALU_DEP_1) | instskip(NEXT) | instid1(SALU_CYCLE_1)
	s_and_saveexec_b32 vcc_lo, s13
	s_xor_b32 s13, exec_lo, vcc_lo
	s_cbranch_execnz .LBB6_7876
; %bb.6258:                             ;   in Loop: Header=BB6_5734 Depth=3
	s_or_saveexec_b32 s13, s13
	v_mov_b32_e32 v61, s31
	s_xor_b32 exec_lo, exec_lo, s13
	s_cbranch_execnz .LBB6_7879
.LBB6_6259:                             ;   in Loop: Header=BB6_5734 Depth=3
	s_or_b32 exec_lo, exec_lo, s13
	s_and_saveexec_b32 s13, s17
	s_cbranch_execz .LBB6_6261
.LBB6_6260:                             ;   in Loop: Header=BB6_5734 Depth=3
	v_bfe_u32 v61, v32, 16, 3
	v_bfe_u32 v72, v32, 19, 4
	v_lshlrev_b32_e32 v73, 24, v59
	s_delay_alu instid0(VALU_DEP_3) | instskip(NEXT) | instid1(VALU_DEP_3)
	v_clz_i32_u32_e32 v62, v61
	v_cmp_eq_u32_e32 vcc_lo, 0, v72
	s_delay_alu instid0(VALU_DEP_2) | instskip(NEXT) | instid1(VALU_DEP_1)
	v_min_u32_e32 v62, 32, v62
	v_subrev_nc_u32_e32 v63, 28, v62
	v_sub_nc_u32_e32 v62, 29, v62
	s_delay_alu instid0(VALU_DEP_1) | instskip(NEXT) | instid1(VALU_DEP_1)
	v_dual_cndmask_b32 v62, v72, v62 :: v_dual_lshlrev_b32 v63, v63, v59
	v_and_b32_e32 v63, 7, v63
	s_delay_alu instid0(VALU_DEP_2) | instskip(NEXT) | instid1(VALU_DEP_2)
	v_lshl_add_u32 v62, v62, 23, 0x3b800000
	v_cndmask_b32_e32 v61, v61, v63, vcc_lo
	v_and_b32_e32 v63, 0x80000000, v73
	s_delay_alu instid0(VALU_DEP_2) | instskip(NEXT) | instid1(VALU_DEP_1)
	v_lshlrev_b32_e32 v61, 20, v61
	v_or3_b32 v61, v63, v62, v61
.LBB6_6261:                             ;   in Loop: Header=BB6_5734 Depth=3
	s_or_b32 exec_lo, exec_lo, s13
	v_and_b32_e32 v63, 0xff, v58
	s_mov_b32 s13, 0
	s_mov_b32 s31, exec_lo
                                        ; implicit-def: $sgpr17
	s_delay_alu instid0(VALU_DEP_1)
	v_cmpx_lt_i16_e32 0x7f, v63
	s_xor_b32 s31, exec_lo, s31
	s_cbranch_execnz .LBB6_7880
; %bb.6262:                             ;   in Loop: Header=BB6_5734 Depth=3
	s_or_saveexec_b32 s31, s31
	v_mov_b32_e32 v62, s17
	s_xor_b32 exec_lo, exec_lo, s31
	s_cbranch_execnz .LBB6_7883
.LBB6_6263:                             ;   in Loop: Header=BB6_5734 Depth=3
	s_or_b32 exec_lo, exec_lo, s31
	s_and_saveexec_b32 s17, s13
	s_cbranch_execz .LBB6_6265
.LBB6_6264:                             ;   in Loop: Header=BB6_5734 Depth=3
	v_bfe_u32 v62, v24, 16, 3
	v_bfe_u32 v73, v24, 19, 4
	v_lshlrev_b32_e32 v74, 24, v58
	s_delay_alu instid0(VALU_DEP_3) | instskip(NEXT) | instid1(VALU_DEP_3)
	v_clz_i32_u32_e32 v63, v62
	v_cmp_eq_u32_e32 vcc_lo, 0, v73
	s_delay_alu instid0(VALU_DEP_2) | instskip(NEXT) | instid1(VALU_DEP_1)
	v_min_u32_e32 v63, 32, v63
	v_subrev_nc_u32_e32 v72, 28, v63
	v_sub_nc_u32_e32 v63, 29, v63
	s_delay_alu instid0(VALU_DEP_1) | instskip(NEXT) | instid1(VALU_DEP_1)
	v_dual_cndmask_b32 v63, v73, v63 :: v_dual_lshlrev_b32 v72, v72, v58
	v_and_b32_e32 v72, 7, v72
	s_delay_alu instid0(VALU_DEP_2) | instskip(NEXT) | instid1(VALU_DEP_2)
	v_lshl_add_u32 v63, v63, 23, 0x3b800000
	v_cndmask_b32_e32 v62, v62, v72, vcc_lo
	v_and_b32_e32 v72, 0x80000000, v74
	s_delay_alu instid0(VALU_DEP_2) | instskip(NEXT) | instid1(VALU_DEP_1)
	v_lshlrev_b32_e32 v62, 20, v62
	v_or3_b32 v62, v72, v63, v62
.LBB6_6265:                             ;   in Loop: Header=BB6_5734 Depth=3
	s_or_b32 exec_lo, exec_lo, s17
	s_delay_alu instid0(VALU_DEP_1) | instskip(SKIP_1) | instid1(VALU_DEP_1)
	v_dual_max_f32 v62, v62, v62 :: v_dual_max_f32 v61, v61, v61
	s_mov_b32 s13, 0
	v_max_f32_e32 v61, v61, v62
	s_branch .LBB6_6267
.LBB6_6266:                             ;   in Loop: Header=BB6_5734 Depth=3
	s_mov_b32 s13, -1
                                        ; implicit-def: $vgpr61
.LBB6_6267:                             ;   in Loop: Header=BB6_5734 Depth=3
	s_delay_alu instid0(SALU_CYCLE_1)
	s_and_b32 vcc_lo, exec_lo, s13
	s_cbranch_vccz .LBB6_6277
; %bb.6268:                             ;   in Loop: Header=BB6_5734 Depth=3
	s_mov_b32 s13, 0
	s_mov_b32 s31, exec_lo
                                        ; implicit-def: $sgpr17
	v_cmpx_lt_i16_e32 0x7f, v60
	s_xor_b32 s31, exec_lo, s31
	s_cbranch_execnz .LBB6_7884
; %bb.6269:                             ;   in Loop: Header=BB6_5734 Depth=3
	s_or_saveexec_b32 s31, s31
	v_mov_b32_e32 v61, s17
	s_xor_b32 exec_lo, exec_lo, s31
	s_cbranch_execnz .LBB6_7887
.LBB6_6270:                             ;   in Loop: Header=BB6_5734 Depth=3
	s_or_b32 exec_lo, exec_lo, s31
	s_and_saveexec_b32 s17, s13
	s_cbranch_execz .LBB6_6272
.LBB6_6271:                             ;   in Loop: Header=BB6_5734 Depth=3
	v_bfe_u32 v60, v32, 16, 3
	v_bfe_u32 v63, v32, 19, 4
	s_delay_alu instid0(VALU_DEP_2) | instskip(NEXT) | instid1(VALU_DEP_2)
	v_clz_i32_u32_e32 v61, v60
	v_cmp_eq_u32_e32 vcc_lo, 0, v63
	s_delay_alu instid0(VALU_DEP_2) | instskip(NEXT) | instid1(VALU_DEP_1)
	v_min_u32_e32 v61, 32, v61
	v_subrev_nc_u32_e32 v62, 28, v61
	v_sub_nc_u32_e32 v61, 29, v61
	s_delay_alu instid0(VALU_DEP_1) | instskip(NEXT) | instid1(VALU_DEP_1)
	v_dual_cndmask_b32 v61, v63, v61 :: v_dual_lshlrev_b32 v62, v62, v59
	v_and_b32_e32 v62, 7, v62
	v_lshlrev_b32_e32 v59, 24, v59
	s_delay_alu instid0(VALU_DEP_3) | instskip(NEXT) | instid1(VALU_DEP_2)
	v_lshl_add_u32 v61, v61, 23, 0x3b800000
	v_dual_cndmask_b32 v60, v60, v62 :: v_dual_and_b32 v59, 0x80000000, v59
	s_delay_alu instid0(VALU_DEP_1) | instskip(NEXT) | instid1(VALU_DEP_1)
	v_lshlrev_b32_e32 v60, 20, v60
	v_or3_b32 v61, v59, v61, v60
.LBB6_6272:                             ;   in Loop: Header=BB6_5734 Depth=3
	s_or_b32 exec_lo, exec_lo, s17
	v_and_b32_e32 v60, 0xff, v58
	s_mov_b32 s13, 0
	s_mov_b32 s31, exec_lo
                                        ; implicit-def: $sgpr17
	s_delay_alu instid0(VALU_DEP_1)
	v_cmpx_lt_i16_e32 0x7f, v60
	s_xor_b32 s31, exec_lo, s31
	s_cbranch_execnz .LBB6_7888
; %bb.6273:                             ;   in Loop: Header=BB6_5734 Depth=3
	s_or_saveexec_b32 s31, s31
	v_mov_b32_e32 v59, s17
	s_xor_b32 exec_lo, exec_lo, s31
	s_cbranch_execnz .LBB6_7891
.LBB6_6274:                             ;   in Loop: Header=BB6_5734 Depth=3
	s_or_b32 exec_lo, exec_lo, s31
	s_and_saveexec_b32 s17, s13
	s_cbranch_execz .LBB6_6276
.LBB6_6275:                             ;   in Loop: Header=BB6_5734 Depth=3
	v_bfe_u32 v59, v24, 16, 3
	v_bfe_u32 v63, v24, 19, 4
	s_delay_alu instid0(VALU_DEP_2) | instskip(NEXT) | instid1(VALU_DEP_2)
	v_clz_i32_u32_e32 v60, v59
	v_cmp_eq_u32_e32 vcc_lo, 0, v63
	s_delay_alu instid0(VALU_DEP_2) | instskip(NEXT) | instid1(VALU_DEP_1)
	v_min_u32_e32 v60, 32, v60
	v_subrev_nc_u32_e32 v62, 28, v60
	v_sub_nc_u32_e32 v60, 29, v60
	s_delay_alu instid0(VALU_DEP_2) | instskip(SKIP_1) | instid1(VALU_DEP_2)
	v_lshlrev_b32_e32 v62, v62, v58
	v_lshlrev_b32_e32 v58, 24, v58
	v_and_b32_e32 v62, 7, v62
	s_delay_alu instid0(VALU_DEP_2) | instskip(NEXT) | instid1(VALU_DEP_2)
	v_and_b32_e32 v58, 0x80000000, v58
	v_cndmask_b32_e32 v59, v59, v62, vcc_lo
	s_delay_alu instid0(VALU_DEP_1) | instskip(NEXT) | instid1(VALU_DEP_1)
	v_dual_cndmask_b32 v60, v63, v60 :: v_dual_lshlrev_b32 v59, 20, v59
	v_lshl_add_u32 v60, v60, 23, 0x3b800000
	s_delay_alu instid0(VALU_DEP_1)
	v_or3_b32 v59, v58, v60, v59
.LBB6_6276:                             ;   in Loop: Header=BB6_5734 Depth=3
	s_or_b32 exec_lo, exec_lo, s17
	s_delay_alu instid0(VALU_DEP_1) | instskip(NEXT) | instid1(VALU_DEP_1)
	v_dual_max_f32 v58, v59, v59 :: v_dual_max_f32 v59, v61, v61
	v_min_f32_e32 v61, v59, v58
.LBB6_6277:                             ;   in Loop: Header=BB6_5734 Depth=3
	s_delay_alu instid0(VALU_DEP_1) | instskip(NEXT) | instid1(VALU_DEP_1)
	v_and_b32_e32 v58, 0x7f800000, v61
	v_cmp_ne_u32_e32 vcc_lo, 0x7f800000, v58
	v_mov_b32_e32 v58, 0x80
	s_and_saveexec_b32 s17, vcc_lo
	s_cbranch_execz .LBB6_6285
; %bb.6278:                             ;   in Loop: Header=BB6_5734 Depth=3
	v_mov_b32_e32 v58, 0
	s_mov_b32 s31, exec_lo
	v_cmpx_ne_u32_e32 0, v61
	s_cbranch_execz .LBB6_6284
; %bb.6279:                             ;   in Loop: Header=BB6_5734 Depth=3
	v_bfe_u32 v58, v61, 23, 8
	s_delay_alu instid0(VALU_DEP_1) | instskip(SKIP_1) | instid1(VALU_DEP_2)
	v_sub_nc_u32_e32 v60, 0x78, v58
	v_cmp_gt_u32_e32 vcc_lo, 0x79, v58
	v_dual_cndmask_b32 v60, 0, v60 :: v_dual_and_b32 v59, 0x7fffff, v61
	s_delay_alu instid0(VALU_DEP_1) | instskip(SKIP_2) | instid1(VALU_DEP_4)
	v_or_b32_e32 v62, 0x800000, v59
	v_cmp_eq_u32_e32 vcc_lo, 0, v58
	v_add_nc_u32_e32 v58, 0xffffff89, v58
	v_cndmask_b32_e64 v60, v60, 0x77, vcc_lo
	s_delay_alu instid0(VALU_DEP_4) | instskip(NEXT) | instid1(VALU_DEP_3)
	v_cndmask_b32_e32 v59, v62, v59, vcc_lo
	v_cndmask_b32_e64 v58, v58, 0xffffff8a, vcc_lo
	s_delay_alu instid0(VALU_DEP_3) | instskip(NEXT) | instid1(VALU_DEP_3)
	v_lshl_add_u32 v62, 0x100000, v60, -1
	v_lshrrev_b32_e32 v63, v60, v59
	v_lshlrev_b32_e64 v73, v60, 0x80000
	s_delay_alu instid0(VALU_DEP_4) | instskip(NEXT) | instid1(VALU_DEP_4)
	v_add_nc_u32_e32 v60, v60, v58
	v_and_b32_e32 v59, v62, v59
	s_delay_alu instid0(VALU_DEP_4) | instskip(NEXT) | instid1(VALU_DEP_2)
	v_bfe_u32 v72, v63, 20, 1
	v_cmp_eq_u32_e64 s13, v59, v73
	s_delay_alu instid0(VALU_DEP_2) | instskip(NEXT) | instid1(VALU_DEP_1)
	v_add_nc_u32_e32 v62, -1, v72
	v_cndmask_b32_e64 v59, 0, v62, s13
	v_lshrrev_b32_e32 v62, 23, v63
	s_mov_b32 s13, exec_lo
	s_delay_alu instid0(VALU_DEP_2) | instskip(NEXT) | instid1(VALU_DEP_2)
	v_add_nc_u32_e32 v59, v59, v63
	v_xor_b32_e32 v62, 1, v62
	s_delay_alu instid0(VALU_DEP_2) | instskip(NEXT) | instid1(VALU_DEP_1)
	v_and_b32_e32 v58, 0xfffff, v59
	v_add_nc_u32_e32 v59, v58, v63
                                        ; implicit-def: $vgpr58
	s_delay_alu instid0(VALU_DEP_3)
	v_cmpx_ne_u32_e64 v60, v62
	s_xor_b32 s13, exec_lo, s13
; %bb.6280:                             ;   in Loop: Header=BB6_5734 Depth=3
	s_delay_alu instid0(VALU_DEP_2) | instskip(SKIP_2) | instid1(VALU_DEP_2)
	v_cmp_lt_u32_e32 vcc_lo, 0xffffff, v59
	v_sub_nc_u32_e32 v58, v60, v62
	v_cndmask_b32_e64 v60, 0, 1, vcc_lo
	v_add_co_ci_u32_e32 v58, vcc_lo, 0, v58, vcc_lo
	s_delay_alu instid0(VALU_DEP_2)
	v_lshrrev_b32_e32 v59, v60, v59
; %bb.6281:                             ;   in Loop: Header=BB6_5734 Depth=3
	s_and_not1_saveexec_b32 s13, s13
; %bb.6282:                             ;   in Loop: Header=BB6_5734 Depth=3
	s_delay_alu instid0(VALU_DEP_1)
	v_bfe_u32 v58, v59, 23, 1
; %bb.6283:                             ;   in Loop: Header=BB6_5734 Depth=3
	s_or_b32 exec_lo, exec_lo, s13
	v_lshrrev_b32_e32 v59, 20, v59
	s_delay_alu instid0(VALU_DEP_2) | instskip(SKIP_2) | instid1(VALU_DEP_2)
	v_cmp_gt_i32_e32 vcc_lo, 16, v58
	v_lshrrev_b32_e32 v60, 24, v61
	v_min_i32_e32 v61, 15, v58
	v_dual_cndmask_b32 v59, 7, v59 :: v_dual_and_b32 v60, 0x80, v60
	s_delay_alu instid0(VALU_DEP_1) | instskip(SKIP_1) | instid1(VALU_DEP_2)
	v_or_b32_e32 v58, v58, v59
	v_and_b32_e32 v62, 7, v59
	v_cmp_ne_u32_e32 vcc_lo, 0, v58
	v_lshlrev_b32_e32 v61, 3, v61
	s_delay_alu instid0(VALU_DEP_1) | instskip(NEXT) | instid1(VALU_DEP_1)
	v_or3_b32 v59, v61, v60, v62
	v_cndmask_b32_e32 v58, 0, v59, vcc_lo
.LBB6_6284:                             ;   in Loop: Header=BB6_5734 Depth=3
	s_or_b32 exec_lo, exec_lo, s31
.LBB6_6285:                             ;   in Loop: Header=BB6_5734 Depth=3
	s_delay_alu instid0(SALU_CYCLE_1) | instskip(SKIP_3) | instid1(VALU_DEP_2)
	s_or_b32 exec_lo, exec_lo, s17
	v_lshrrev_b32_e32 v60, 24, v32
	v_lshrrev_b32_e32 v59, 24, v24
	s_and_not1_b32 vcc_lo, exec_lo, s16
	v_cmp_lt_i16_e64 s13, 0x7f, v60
	s_cbranch_vccnz .LBB6_6295
; %bb.6286:                             ;   in Loop: Header=BB6_5734 Depth=3
	s_mov_b32 s17, 0
                                        ; implicit-def: $sgpr31
	s_delay_alu instid0(VALU_DEP_1) | instskip(NEXT) | instid1(SALU_CYCLE_1)
	s_and_saveexec_b32 vcc_lo, s13
	s_xor_b32 s13, exec_lo, vcc_lo
	s_cbranch_execnz .LBB6_7892
; %bb.6287:                             ;   in Loop: Header=BB6_5734 Depth=3
	s_or_saveexec_b32 s13, s13
	v_mov_b32_e32 v61, s31
	s_xor_b32 exec_lo, exec_lo, s13
	s_cbranch_execnz .LBB6_7895
.LBB6_6288:                             ;   in Loop: Header=BB6_5734 Depth=3
	s_or_b32 exec_lo, exec_lo, s13
	s_and_saveexec_b32 s13, s17
	s_cbranch_execz .LBB6_6290
.LBB6_6289:                             ;   in Loop: Header=BB6_5734 Depth=3
	v_bfe_u32 v61, v32, 24, 3
	v_bfe_u32 v72, v32, 27, 4
	s_delay_alu instid0(VALU_DEP_2) | instskip(NEXT) | instid1(VALU_DEP_2)
	v_clz_i32_u32_e32 v62, v61
	v_cmp_eq_u32_e32 vcc_lo, 0, v72
	s_delay_alu instid0(VALU_DEP_2) | instskip(NEXT) | instid1(VALU_DEP_1)
	v_min_u32_e32 v62, 32, v62
	v_subrev_nc_u32_e32 v63, 28, v62
	v_sub_nc_u32_e32 v62, 29, v62
	s_delay_alu instid0(VALU_DEP_1) | instskip(NEXT) | instid1(VALU_DEP_1)
	v_dual_cndmask_b32 v62, v72, v62 :: v_dual_lshlrev_b32 v63, v63, v60
	v_and_b32_e32 v63, 7, v63
	s_delay_alu instid0(VALU_DEP_2) | instskip(NEXT) | instid1(VALU_DEP_2)
	v_lshl_add_u32 v62, v62, 23, 0x3b800000
	v_cndmask_b32_e32 v61, v61, v63, vcc_lo
	v_and_b32_e32 v63, 0x80000000, v32
	s_delay_alu instid0(VALU_DEP_2) | instskip(NEXT) | instid1(VALU_DEP_1)
	v_lshlrev_b32_e32 v61, 20, v61
	v_or3_b32 v61, v63, v62, v61
.LBB6_6290:                             ;   in Loop: Header=BB6_5734 Depth=3
	s_or_b32 exec_lo, exec_lo, s13
	s_mov_b32 s13, 0
	s_mov_b32 s31, exec_lo
                                        ; implicit-def: $sgpr17
	v_cmpx_lt_i16_e32 0x7f, v59
	s_xor_b32 s31, exec_lo, s31
	s_cbranch_execnz .LBB6_7896
; %bb.6291:                             ;   in Loop: Header=BB6_5734 Depth=3
	s_or_saveexec_b32 s31, s31
	v_mov_b32_e32 v62, s17
	s_xor_b32 exec_lo, exec_lo, s31
	s_cbranch_execnz .LBB6_7899
.LBB6_6292:                             ;   in Loop: Header=BB6_5734 Depth=3
	s_or_b32 exec_lo, exec_lo, s31
	s_and_saveexec_b32 s17, s13
	s_cbranch_execz .LBB6_6294
.LBB6_6293:                             ;   in Loop: Header=BB6_5734 Depth=3
	v_bfe_u32 v62, v24, 24, 3
	v_bfe_u32 v73, v24, 27, 4
	s_delay_alu instid0(VALU_DEP_2) | instskip(NEXT) | instid1(VALU_DEP_2)
	v_clz_i32_u32_e32 v63, v62
	v_cmp_eq_u32_e32 vcc_lo, 0, v73
	s_delay_alu instid0(VALU_DEP_2) | instskip(NEXT) | instid1(VALU_DEP_1)
	v_min_u32_e32 v63, 32, v63
	v_subrev_nc_u32_e32 v72, 28, v63
	v_sub_nc_u32_e32 v63, 29, v63
	s_delay_alu instid0(VALU_DEP_2) | instskip(NEXT) | instid1(VALU_DEP_1)
	v_lshlrev_b32_e32 v72, v72, v59
	v_dual_cndmask_b32 v63, v73, v63 :: v_dual_and_b32 v72, 7, v72
	s_delay_alu instid0(VALU_DEP_1) | instskip(NEXT) | instid1(VALU_DEP_2)
	v_lshl_add_u32 v63, v63, 23, 0x3b800000
	v_cndmask_b32_e32 v62, v62, v72, vcc_lo
	v_and_b32_e32 v72, 0x80000000, v24
	s_delay_alu instid0(VALU_DEP_2) | instskip(NEXT) | instid1(VALU_DEP_1)
	v_lshlrev_b32_e32 v62, 20, v62
	v_or3_b32 v62, v72, v63, v62
.LBB6_6294:                             ;   in Loop: Header=BB6_5734 Depth=3
	s_or_b32 exec_lo, exec_lo, s17
	s_delay_alu instid0(VALU_DEP_1) | instskip(SKIP_1) | instid1(VALU_DEP_1)
	v_dual_max_f32 v62, v62, v62 :: v_dual_max_f32 v61, v61, v61
	s_mov_b32 s13, 0
	v_max_f32_e32 v61, v61, v62
	s_branch .LBB6_6296
.LBB6_6295:                             ;   in Loop: Header=BB6_5734 Depth=3
	s_mov_b32 s13, -1
                                        ; implicit-def: $vgpr61
.LBB6_6296:                             ;   in Loop: Header=BB6_5734 Depth=3
	s_delay_alu instid0(SALU_CYCLE_1)
	s_and_b32 vcc_lo, exec_lo, s13
	s_cbranch_vccz .LBB6_6306
; %bb.6297:                             ;   in Loop: Header=BB6_5734 Depth=3
	s_mov_b32 s13, 0
	s_mov_b32 s31, exec_lo
                                        ; implicit-def: $sgpr17
	v_cmpx_lt_i16_e32 0x7f, v60
	s_xor_b32 s31, exec_lo, s31
	s_cbranch_execnz .LBB6_7900
; %bb.6298:                             ;   in Loop: Header=BB6_5734 Depth=3
	s_or_saveexec_b32 s31, s31
	v_mov_b32_e32 v61, s17
	s_xor_b32 exec_lo, exec_lo, s31
	s_cbranch_execnz .LBB6_7903
.LBB6_6299:                             ;   in Loop: Header=BB6_5734 Depth=3
	s_or_b32 exec_lo, exec_lo, s31
	s_and_saveexec_b32 s17, s13
	s_cbranch_execz .LBB6_6301
.LBB6_6300:                             ;   in Loop: Header=BB6_5734 Depth=3
	v_bfe_u32 v61, v32, 24, 3
	s_delay_alu instid0(VALU_DEP_1) | instskip(NEXT) | instid1(VALU_DEP_1)
	v_clz_i32_u32_e32 v62, v61
	v_min_u32_e32 v62, 32, v62
	s_delay_alu instid0(VALU_DEP_1) | instskip(SKIP_1) | instid1(VALU_DEP_2)
	v_subrev_nc_u32_e32 v63, 28, v62
	v_sub_nc_u32_e32 v62, 29, v62
	v_lshlrev_b32_e32 v60, v63, v60
	v_bfe_u32 v63, v32, 27, 4
	v_and_b32_e32 v32, 0x80000000, v32
	s_delay_alu instid0(VALU_DEP_3) | instskip(NEXT) | instid1(VALU_DEP_3)
	v_and_b32_e32 v60, 7, v60
	v_cmp_eq_u32_e32 vcc_lo, 0, v63
	v_cndmask_b32_e32 v62, v63, v62, vcc_lo
	s_delay_alu instid0(VALU_DEP_3) | instskip(NEXT) | instid1(VALU_DEP_2)
	v_cndmask_b32_e32 v60, v61, v60, vcc_lo
	v_lshl_add_u32 v61, v62, 23, 0x3b800000
	s_delay_alu instid0(VALU_DEP_2) | instskip(NEXT) | instid1(VALU_DEP_1)
	v_lshlrev_b32_e32 v60, 20, v60
	v_or3_b32 v61, v32, v61, v60
.LBB6_6301:                             ;   in Loop: Header=BB6_5734 Depth=3
	s_or_b32 exec_lo, exec_lo, s17
	s_mov_b32 s13, 0
	s_mov_b32 s31, exec_lo
                                        ; implicit-def: $sgpr17
	v_cmpx_lt_i16_e32 0x7f, v59
	s_xor_b32 s31, exec_lo, s31
	s_cbranch_execnz .LBB6_7904
; %bb.6302:                             ;   in Loop: Header=BB6_5734 Depth=3
	s_or_saveexec_b32 s31, s31
	v_mov_b32_e32 v32, s17
	s_xor_b32 exec_lo, exec_lo, s31
	s_cbranch_execnz .LBB6_7907
.LBB6_6303:                             ;   in Loop: Header=BB6_5734 Depth=3
	s_or_b32 exec_lo, exec_lo, s31
	s_and_saveexec_b32 s17, s13
	s_cbranch_execz .LBB6_6305
.LBB6_6304:                             ;   in Loop: Header=BB6_5734 Depth=3
	v_bfe_u32 v32, v24, 24, 3
	s_delay_alu instid0(VALU_DEP_1) | instskip(NEXT) | instid1(VALU_DEP_1)
	v_clz_i32_u32_e32 v60, v32
	v_min_u32_e32 v60, 32, v60
	s_delay_alu instid0(VALU_DEP_1) | instskip(SKIP_1) | instid1(VALU_DEP_2)
	v_subrev_nc_u32_e32 v62, 28, v60
	v_sub_nc_u32_e32 v60, 29, v60
	v_lshlrev_b32_e32 v59, v62, v59
	v_bfe_u32 v62, v24, 27, 4
	v_and_b32_e32 v24, 0x80000000, v24
	s_delay_alu instid0(VALU_DEP_2) | instskip(NEXT) | instid1(VALU_DEP_4)
	v_cmp_eq_u32_e32 vcc_lo, 0, v62
	v_dual_cndmask_b32 v60, v62, v60 :: v_dual_and_b32 v59, 7, v59
	s_delay_alu instid0(VALU_DEP_1) | instskip(NEXT) | instid1(VALU_DEP_2)
	v_cndmask_b32_e32 v32, v32, v59, vcc_lo
	v_lshl_add_u32 v59, v60, 23, 0x3b800000
	s_delay_alu instid0(VALU_DEP_2) | instskip(NEXT) | instid1(VALU_DEP_1)
	v_lshlrev_b32_e32 v32, 20, v32
	v_or3_b32 v32, v24, v59, v32
.LBB6_6305:                             ;   in Loop: Header=BB6_5734 Depth=3
	s_or_b32 exec_lo, exec_lo, s17
	s_delay_alu instid0(VALU_DEP_1) | instskip(SKIP_1) | instid1(VALU_DEP_1)
	v_max_f32_e32 v24, v32, v32
	v_max_f32_e32 v32, v61, v61
	v_min_f32_e32 v61, v32, v24
.LBB6_6306:                             ;   in Loop: Header=BB6_5734 Depth=3
	s_delay_alu instid0(VALU_DEP_1) | instskip(NEXT) | instid1(VALU_DEP_1)
	v_and_b32_e32 v24, 0x7f800000, v61
	v_cmp_ne_u32_e32 vcc_lo, 0x7f800000, v24
	v_mov_b32_e32 v24, 0x80
	s_and_saveexec_b32 s17, vcc_lo
	s_cbranch_execz .LBB6_6314
; %bb.6307:                             ;   in Loop: Header=BB6_5734 Depth=3
	v_mov_b32_e32 v24, 0
	s_mov_b32 s31, exec_lo
	v_cmpx_ne_u32_e32 0, v61
	s_cbranch_execz .LBB6_6313
; %bb.6308:                             ;   in Loop: Header=BB6_5734 Depth=3
	v_bfe_u32 v24, v61, 23, 8
	s_delay_alu instid0(VALU_DEP_1) | instskip(SKIP_1) | instid1(VALU_DEP_2)
	v_sub_nc_u32_e32 v59, 0x78, v24
	v_cmp_gt_u32_e32 vcc_lo, 0x79, v24
	v_dual_cndmask_b32 v59, 0, v59 :: v_dual_and_b32 v32, 0x7fffff, v61
	s_delay_alu instid0(VALU_DEP_1) | instskip(SKIP_2) | instid1(VALU_DEP_4)
	v_or_b32_e32 v60, 0x800000, v32
	v_cmp_eq_u32_e32 vcc_lo, 0, v24
	v_add_nc_u32_e32 v24, 0xffffff89, v24
	v_cndmask_b32_e64 v59, v59, 0x77, vcc_lo
	s_delay_alu instid0(VALU_DEP_4) | instskip(NEXT) | instid1(VALU_DEP_3)
	v_cndmask_b32_e32 v32, v60, v32, vcc_lo
	v_cndmask_b32_e64 v24, v24, 0xffffff8a, vcc_lo
	s_delay_alu instid0(VALU_DEP_3) | instskip(NEXT) | instid1(VALU_DEP_3)
	v_lshl_add_u32 v60, 0x100000, v59, -1
	v_lshrrev_b32_e32 v62, v59, v32
	v_lshlrev_b32_e64 v72, v59, 0x80000
	s_delay_alu instid0(VALU_DEP_4) | instskip(NEXT) | instid1(VALU_DEP_4)
	v_add_nc_u32_e32 v59, v59, v24
	v_and_b32_e32 v32, v60, v32
	s_delay_alu instid0(VALU_DEP_4) | instskip(NEXT) | instid1(VALU_DEP_2)
	v_bfe_u32 v63, v62, 20, 1
	v_cmp_eq_u32_e64 s13, v32, v72
	s_delay_alu instid0(VALU_DEP_2) | instskip(NEXT) | instid1(VALU_DEP_1)
	v_add_nc_u32_e32 v60, -1, v63
	v_cndmask_b32_e64 v32, 0, v60, s13
	v_lshrrev_b32_e32 v60, 23, v62
	s_mov_b32 s13, exec_lo
	s_delay_alu instid0(VALU_DEP_2) | instskip(NEXT) | instid1(VALU_DEP_2)
	v_add_nc_u32_e32 v32, v32, v62
	v_xor_b32_e32 v60, 1, v60
	s_delay_alu instid0(VALU_DEP_2) | instskip(NEXT) | instid1(VALU_DEP_1)
	v_and_b32_e32 v24, 0xfffff, v32
	v_add_nc_u32_e32 v32, v24, v62
                                        ; implicit-def: $vgpr24
	s_delay_alu instid0(VALU_DEP_3)
	v_cmpx_ne_u32_e64 v59, v60
	s_xor_b32 s13, exec_lo, s13
; %bb.6309:                             ;   in Loop: Header=BB6_5734 Depth=3
	s_delay_alu instid0(VALU_DEP_2) | instskip(SKIP_2) | instid1(VALU_DEP_2)
	v_cmp_lt_u32_e32 vcc_lo, 0xffffff, v32
	v_sub_nc_u32_e32 v24, v59, v60
	v_cndmask_b32_e64 v59, 0, 1, vcc_lo
	v_add_co_ci_u32_e32 v24, vcc_lo, 0, v24, vcc_lo
	s_delay_alu instid0(VALU_DEP_2)
	v_lshrrev_b32_e32 v32, v59, v32
; %bb.6310:                             ;   in Loop: Header=BB6_5734 Depth=3
	s_and_not1_saveexec_b32 s13, s13
; %bb.6311:                             ;   in Loop: Header=BB6_5734 Depth=3
	s_delay_alu instid0(VALU_DEP_1)
	v_bfe_u32 v24, v32, 23, 1
; %bb.6312:                             ;   in Loop: Header=BB6_5734 Depth=3
	s_or_b32 exec_lo, exec_lo, s13
	v_lshrrev_b32_e32 v32, 20, v32
	s_delay_alu instid0(VALU_DEP_2) | instskip(SKIP_2) | instid1(VALU_DEP_2)
	v_cmp_gt_i32_e32 vcc_lo, 16, v24
	v_lshrrev_b32_e32 v59, 24, v61
	v_min_i32_e32 v60, 15, v24
	v_dual_cndmask_b32 v32, 7, v32 :: v_dual_and_b32 v59, 0x80, v59
	s_delay_alu instid0(VALU_DEP_2) | instskip(NEXT) | instid1(VALU_DEP_2)
	v_lshlrev_b32_e32 v60, 3, v60
	v_and_b32_e32 v61, 7, v32
	v_or_b32_e32 v24, v24, v32
	s_delay_alu instid0(VALU_DEP_2) | instskip(NEXT) | instid1(VALU_DEP_2)
	v_or3_b32 v32, v60, v59, v61
	v_cmp_ne_u32_e32 vcc_lo, 0, v24
	s_delay_alu instid0(VALU_DEP_2)
	v_cndmask_b32_e32 v24, 0, v32, vcc_lo
.LBB6_6313:                             ;   in Loop: Header=BB6_5734 Depth=3
	s_or_b32 exec_lo, exec_lo, s31
.LBB6_6314:                             ;   in Loop: Header=BB6_5734 Depth=3
	s_delay_alu instid0(SALU_CYCLE_1) | instskip(SKIP_2) | instid1(VALU_DEP_1)
	s_or_b32 exec_lo, exec_lo, s17
	v_and_b32_e32 v32, 0xff, v33
	s_and_not1_b32 vcc_lo, exec_lo, s16
	v_cmp_lt_i16_e64 s13, 0x7f, v32
	s_cbranch_vccnz .LBB6_6324
; %bb.6315:                             ;   in Loop: Header=BB6_5734 Depth=3
	s_mov_b32 s17, 0
                                        ; implicit-def: $sgpr31
	s_delay_alu instid0(VALU_DEP_1) | instskip(NEXT) | instid1(SALU_CYCLE_1)
	s_and_saveexec_b32 vcc_lo, s13
	s_xor_b32 s13, exec_lo, vcc_lo
	s_cbranch_execnz .LBB6_7908
; %bb.6316:                             ;   in Loop: Header=BB6_5734 Depth=3
	s_or_saveexec_b32 s13, s13
	v_mov_b32_e32 v59, s31
	s_xor_b32 exec_lo, exec_lo, s13
	s_cbranch_execnz .LBB6_7911
.LBB6_6317:                             ;   in Loop: Header=BB6_5734 Depth=3
	s_or_b32 exec_lo, exec_lo, s13
	s_and_saveexec_b32 s13, s17
	s_cbranch_execz .LBB6_6319
.LBB6_6318:                             ;   in Loop: Header=BB6_5734 Depth=3
	v_bfe_u32 v62, v33, 3, 4
	v_lshlrev_b32_e32 v63, 24, v33
	s_delay_alu instid0(VALU_DEP_2) | instskip(SKIP_1) | instid1(VALU_DEP_1)
	v_cmp_eq_u32_e32 vcc_lo, 0, v62
	v_and_b32_e32 v59, 7, v33
	v_clz_i32_u32_e32 v60, v59
	s_delay_alu instid0(VALU_DEP_1) | instskip(NEXT) | instid1(VALU_DEP_1)
	v_min_u32_e32 v60, 32, v60
	v_subrev_nc_u32_e32 v61, 28, v60
	v_sub_nc_u32_e32 v60, 29, v60
	s_delay_alu instid0(VALU_DEP_1) | instskip(NEXT) | instid1(VALU_DEP_1)
	v_dual_cndmask_b32 v60, v62, v60 :: v_dual_lshlrev_b32 v61, v61, v33
	v_and_b32_e32 v61, 7, v61
	s_delay_alu instid0(VALU_DEP_2) | instskip(NEXT) | instid1(VALU_DEP_2)
	v_lshl_add_u32 v60, v60, 23, 0x3b800000
	v_cndmask_b32_e32 v59, v59, v61, vcc_lo
	v_and_b32_e32 v61, 0x80000000, v63
	s_delay_alu instid0(VALU_DEP_2) | instskip(NEXT) | instid1(VALU_DEP_1)
	v_lshlrev_b32_e32 v59, 20, v59
	v_or3_b32 v59, v61, v60, v59
.LBB6_6319:                             ;   in Loop: Header=BB6_5734 Depth=3
	s_or_b32 exec_lo, exec_lo, s13
	v_and_b32_e32 v61, 0xff, v25
	s_mov_b32 s13, 0
	s_mov_b32 s31, exec_lo
                                        ; implicit-def: $sgpr17
	s_delay_alu instid0(VALU_DEP_1)
	v_cmpx_lt_i16_e32 0x7f, v61
	s_xor_b32 s31, exec_lo, s31
	s_cbranch_execnz .LBB6_7912
; %bb.6320:                             ;   in Loop: Header=BB6_5734 Depth=3
	s_or_saveexec_b32 s31, s31
	v_mov_b32_e32 v60, s17
	s_xor_b32 exec_lo, exec_lo, s31
	s_cbranch_execnz .LBB6_7915
.LBB6_6321:                             ;   in Loop: Header=BB6_5734 Depth=3
	s_or_b32 exec_lo, exec_lo, s31
	s_and_saveexec_b32 s17, s13
	s_cbranch_execz .LBB6_6323
.LBB6_6322:                             ;   in Loop: Header=BB6_5734 Depth=3
	v_and_b32_e32 v60, 7, v25
	v_bfe_u32 v63, v25, 3, 4
	v_lshlrev_b32_e32 v72, 24, v25
	s_delay_alu instid0(VALU_DEP_3) | instskip(NEXT) | instid1(VALU_DEP_3)
	v_clz_i32_u32_e32 v61, v60
	v_cmp_eq_u32_e32 vcc_lo, 0, v63
	s_delay_alu instid0(VALU_DEP_2) | instskip(NEXT) | instid1(VALU_DEP_1)
	v_min_u32_e32 v61, 32, v61
	v_subrev_nc_u32_e32 v62, 28, v61
	v_sub_nc_u32_e32 v61, 29, v61
	s_delay_alu instid0(VALU_DEP_2) | instskip(NEXT) | instid1(VALU_DEP_1)
	v_lshlrev_b32_e32 v62, v62, v25
	v_dual_cndmask_b32 v61, v63, v61 :: v_dual_and_b32 v62, 7, v62
	s_delay_alu instid0(VALU_DEP_1) | instskip(NEXT) | instid1(VALU_DEP_2)
	v_lshl_add_u32 v61, v61, 23, 0x3b800000
	v_cndmask_b32_e32 v60, v60, v62, vcc_lo
	v_and_b32_e32 v62, 0x80000000, v72
	s_delay_alu instid0(VALU_DEP_2) | instskip(NEXT) | instid1(VALU_DEP_1)
	v_lshlrev_b32_e32 v60, 20, v60
	v_or3_b32 v60, v62, v61, v60
.LBB6_6323:                             ;   in Loop: Header=BB6_5734 Depth=3
	s_or_b32 exec_lo, exec_lo, s17
	s_delay_alu instid0(VALU_DEP_1) | instskip(SKIP_1) | instid1(VALU_DEP_1)
	v_dual_max_f32 v60, v60, v60 :: v_dual_max_f32 v59, v59, v59
	s_mov_b32 s13, 0
	v_max_f32_e32 v59, v59, v60
	s_branch .LBB6_6325
.LBB6_6324:                             ;   in Loop: Header=BB6_5734 Depth=3
	s_mov_b32 s13, -1
                                        ; implicit-def: $vgpr59
.LBB6_6325:                             ;   in Loop: Header=BB6_5734 Depth=3
	s_delay_alu instid0(SALU_CYCLE_1)
	s_and_b32 vcc_lo, exec_lo, s13
	s_cbranch_vccz .LBB6_6335
; %bb.6326:                             ;   in Loop: Header=BB6_5734 Depth=3
	s_mov_b32 s13, 0
	s_mov_b32 s31, exec_lo
                                        ; implicit-def: $sgpr17
	v_cmpx_lt_i16_e32 0x7f, v32
	s_xor_b32 s31, exec_lo, s31
	s_cbranch_execnz .LBB6_7916
; %bb.6327:                             ;   in Loop: Header=BB6_5734 Depth=3
	s_or_saveexec_b32 s31, s31
	v_mov_b32_e32 v59, s17
	s_xor_b32 exec_lo, exec_lo, s31
	s_cbranch_execnz .LBB6_7919
.LBB6_6328:                             ;   in Loop: Header=BB6_5734 Depth=3
	s_or_b32 exec_lo, exec_lo, s31
	s_and_saveexec_b32 s17, s13
	s_cbranch_execz .LBB6_6330
.LBB6_6329:                             ;   in Loop: Header=BB6_5734 Depth=3
	v_bfe_u32 v61, v33, 3, 4
	v_lshlrev_b32_e32 v62, 24, v33
	s_delay_alu instid0(VALU_DEP_2) | instskip(SKIP_1) | instid1(VALU_DEP_1)
	v_cmp_eq_u32_e32 vcc_lo, 0, v61
	v_and_b32_e32 v32, 7, v33
	v_clz_i32_u32_e32 v59, v32
	s_delay_alu instid0(VALU_DEP_1) | instskip(NEXT) | instid1(VALU_DEP_1)
	v_min_u32_e32 v59, 32, v59
	v_subrev_nc_u32_e32 v60, 28, v59
	v_sub_nc_u32_e32 v59, 29, v59
	s_delay_alu instid0(VALU_DEP_1) | instskip(NEXT) | instid1(VALU_DEP_1)
	v_dual_cndmask_b32 v59, v61, v59 :: v_dual_lshlrev_b32 v60, v60, v33
	v_and_b32_e32 v60, 7, v60
	s_delay_alu instid0(VALU_DEP_2) | instskip(NEXT) | instid1(VALU_DEP_2)
	v_lshl_add_u32 v59, v59, 23, 0x3b800000
	v_cndmask_b32_e32 v32, v32, v60, vcc_lo
	v_and_b32_e32 v60, 0x80000000, v62
	s_delay_alu instid0(VALU_DEP_2) | instskip(NEXT) | instid1(VALU_DEP_1)
	v_lshlrev_b32_e32 v32, 20, v32
	v_or3_b32 v59, v60, v59, v32
.LBB6_6330:                             ;   in Loop: Header=BB6_5734 Depth=3
	s_or_b32 exec_lo, exec_lo, s17
	v_and_b32_e32 v60, 0xff, v25
	s_mov_b32 s13, 0
	s_mov_b32 s31, exec_lo
                                        ; implicit-def: $sgpr17
	s_delay_alu instid0(VALU_DEP_1)
	v_cmpx_lt_i16_e32 0x7f, v60
	s_xor_b32 s31, exec_lo, s31
	s_cbranch_execnz .LBB6_7920
; %bb.6331:                             ;   in Loop: Header=BB6_5734 Depth=3
	s_or_saveexec_b32 s31, s31
	v_mov_b32_e32 v32, s17
	s_xor_b32 exec_lo, exec_lo, s31
	s_cbranch_execnz .LBB6_7923
.LBB6_6332:                             ;   in Loop: Header=BB6_5734 Depth=3
	s_or_b32 exec_lo, exec_lo, s31
	s_and_saveexec_b32 s17, s13
	s_cbranch_execz .LBB6_6334
.LBB6_6333:                             ;   in Loop: Header=BB6_5734 Depth=3
	v_and_b32_e32 v32, 7, v25
	v_bfe_u32 v62, v25, 3, 4
	v_lshlrev_b32_e32 v63, 24, v25
	s_delay_alu instid0(VALU_DEP_3) | instskip(NEXT) | instid1(VALU_DEP_3)
	v_clz_i32_u32_e32 v60, v32
	v_cmp_eq_u32_e32 vcc_lo, 0, v62
	s_delay_alu instid0(VALU_DEP_2) | instskip(NEXT) | instid1(VALU_DEP_1)
	v_min_u32_e32 v60, 32, v60
	v_subrev_nc_u32_e32 v61, 28, v60
	v_sub_nc_u32_e32 v60, 29, v60
	s_delay_alu instid0(VALU_DEP_1) | instskip(NEXT) | instid1(VALU_DEP_1)
	v_dual_cndmask_b32 v60, v62, v60 :: v_dual_lshlrev_b32 v61, v61, v25
	v_and_b32_e32 v61, 7, v61
	s_delay_alu instid0(VALU_DEP_2) | instskip(NEXT) | instid1(VALU_DEP_2)
	v_lshl_add_u32 v60, v60, 23, 0x3b800000
	v_dual_cndmask_b32 v32, v32, v61 :: v_dual_and_b32 v61, 0x80000000, v63
	s_delay_alu instid0(VALU_DEP_1) | instskip(NEXT) | instid1(VALU_DEP_1)
	v_lshlrev_b32_e32 v32, 20, v32
	v_or3_b32 v32, v61, v60, v32
.LBB6_6334:                             ;   in Loop: Header=BB6_5734 Depth=3
	s_or_b32 exec_lo, exec_lo, s17
	s_delay_alu instid0(VALU_DEP_1) | instskip(NEXT) | instid1(VALU_DEP_1)
	v_dual_max_f32 v32, v32, v32 :: v_dual_max_f32 v59, v59, v59
	v_min_f32_e32 v59, v59, v32
.LBB6_6335:                             ;   in Loop: Header=BB6_5734 Depth=3
	s_delay_alu instid0(VALU_DEP_1) | instskip(NEXT) | instid1(VALU_DEP_1)
	v_and_b32_e32 v32, 0x7f800000, v59
	v_cmp_ne_u32_e32 vcc_lo, 0x7f800000, v32
	v_mov_b32_e32 v32, 0x80
	s_and_saveexec_b32 s17, vcc_lo
	s_cbranch_execz .LBB6_6343
; %bb.6336:                             ;   in Loop: Header=BB6_5734 Depth=3
	v_mov_b32_e32 v32, 0
	s_mov_b32 s31, exec_lo
	v_cmpx_ne_u32_e32 0, v59
	s_cbranch_execz .LBB6_6342
; %bb.6337:                             ;   in Loop: Header=BB6_5734 Depth=3
	v_bfe_u32 v32, v59, 23, 8
	s_delay_alu instid0(VALU_DEP_1) | instskip(SKIP_1) | instid1(VALU_DEP_2)
	v_sub_nc_u32_e32 v61, 0x78, v32
	v_cmp_gt_u32_e32 vcc_lo, 0x79, v32
	v_dual_cndmask_b32 v61, 0, v61 :: v_dual_and_b32 v60, 0x7fffff, v59
	s_delay_alu instid0(VALU_DEP_1) | instskip(SKIP_2) | instid1(VALU_DEP_4)
	v_or_b32_e32 v62, 0x800000, v60
	v_cmp_eq_u32_e32 vcc_lo, 0, v32
	v_add_nc_u32_e32 v32, 0xffffff89, v32
	v_cndmask_b32_e64 v61, v61, 0x77, vcc_lo
	s_delay_alu instid0(VALU_DEP_4) | instskip(NEXT) | instid1(VALU_DEP_3)
	v_cndmask_b32_e32 v60, v62, v60, vcc_lo
	v_cndmask_b32_e64 v32, v32, 0xffffff8a, vcc_lo
	s_delay_alu instid0(VALU_DEP_3) | instskip(NEXT) | instid1(VALU_DEP_3)
	v_lshl_add_u32 v62, 0x100000, v61, -1
	v_lshrrev_b32_e32 v63, v61, v60
	v_lshlrev_b32_e64 v73, v61, 0x80000
	s_delay_alu instid0(VALU_DEP_4) | instskip(NEXT) | instid1(VALU_DEP_4)
	v_add_nc_u32_e32 v61, v61, v32
	v_and_b32_e32 v60, v62, v60
	s_delay_alu instid0(VALU_DEP_4) | instskip(NEXT) | instid1(VALU_DEP_2)
	v_bfe_u32 v72, v63, 20, 1
	v_cmp_eq_u32_e64 s13, v60, v73
	s_delay_alu instid0(VALU_DEP_2) | instskip(NEXT) | instid1(VALU_DEP_1)
	v_add_nc_u32_e32 v62, -1, v72
	v_cndmask_b32_e64 v60, 0, v62, s13
	v_lshrrev_b32_e32 v62, 23, v63
	s_mov_b32 s13, exec_lo
	s_delay_alu instid0(VALU_DEP_2) | instskip(NEXT) | instid1(VALU_DEP_2)
	v_add_nc_u32_e32 v60, v60, v63
	v_xor_b32_e32 v62, 1, v62
	s_delay_alu instid0(VALU_DEP_2) | instskip(NEXT) | instid1(VALU_DEP_1)
	v_and_b32_e32 v32, 0xfffff, v60
	v_add_nc_u32_e32 v60, v32, v63
                                        ; implicit-def: $vgpr32
	s_delay_alu instid0(VALU_DEP_3)
	v_cmpx_ne_u32_e64 v61, v62
	s_xor_b32 s13, exec_lo, s13
; %bb.6338:                             ;   in Loop: Header=BB6_5734 Depth=3
	s_delay_alu instid0(VALU_DEP_2) | instskip(SKIP_2) | instid1(VALU_DEP_2)
	v_cmp_lt_u32_e32 vcc_lo, 0xffffff, v60
	v_sub_nc_u32_e32 v32, v61, v62
	v_cndmask_b32_e64 v61, 0, 1, vcc_lo
	v_add_co_ci_u32_e32 v32, vcc_lo, 0, v32, vcc_lo
	s_delay_alu instid0(VALU_DEP_2)
	v_lshrrev_b32_e32 v60, v61, v60
; %bb.6339:                             ;   in Loop: Header=BB6_5734 Depth=3
	s_and_not1_saveexec_b32 s13, s13
; %bb.6340:                             ;   in Loop: Header=BB6_5734 Depth=3
	s_delay_alu instid0(VALU_DEP_1)
	v_bfe_u32 v32, v60, 23, 1
; %bb.6341:                             ;   in Loop: Header=BB6_5734 Depth=3
	s_or_b32 exec_lo, exec_lo, s13
	v_lshrrev_b32_e32 v60, 20, v60
	s_delay_alu instid0(VALU_DEP_2) | instskip(SKIP_2) | instid1(VALU_DEP_2)
	v_cmp_gt_i32_e32 vcc_lo, 16, v32
	v_lshrrev_b32_e32 v59, 24, v59
	v_min_i32_e32 v61, 15, v32
	v_dual_cndmask_b32 v60, 7, v60 :: v_dual_and_b32 v59, 0x80, v59
	s_delay_alu instid0(VALU_DEP_1) | instskip(SKIP_1) | instid1(VALU_DEP_2)
	v_or_b32_e32 v32, v32, v60
	v_and_b32_e32 v62, 7, v60
	v_cmp_ne_u32_e32 vcc_lo, 0, v32
	v_lshlrev_b32_e32 v61, 3, v61
	s_delay_alu instid0(VALU_DEP_1) | instskip(NEXT) | instid1(VALU_DEP_1)
	v_or3_b32 v59, v61, v59, v62
	v_cndmask_b32_e32 v32, 0, v59, vcc_lo
.LBB6_6342:                             ;   in Loop: Header=BB6_5734 Depth=3
	s_or_b32 exec_lo, exec_lo, s31
.LBB6_6343:                             ;   in Loop: Header=BB6_5734 Depth=3
	s_delay_alu instid0(SALU_CYCLE_1) | instskip(SKIP_3) | instid1(VALU_DEP_2)
	s_or_b32 exec_lo, exec_lo, s17
	v_lshrrev_b16 v60, 8, v33
	v_lshrrev_b16 v59, 8, v25
	s_and_not1_b32 vcc_lo, exec_lo, s16
	v_cmp_lt_i16_e64 s13, 0x7f, v60
	s_cbranch_vccnz .LBB6_6353
; %bb.6344:                             ;   in Loop: Header=BB6_5734 Depth=3
	s_mov_b32 s17, 0
                                        ; implicit-def: $sgpr31
	s_delay_alu instid0(VALU_DEP_1) | instskip(NEXT) | instid1(SALU_CYCLE_1)
	s_and_saveexec_b32 vcc_lo, s13
	s_xor_b32 s13, exec_lo, vcc_lo
	s_cbranch_execnz .LBB6_7924
; %bb.6345:                             ;   in Loop: Header=BB6_5734 Depth=3
	s_or_saveexec_b32 s13, s13
	v_mov_b32_e32 v61, s31
	s_xor_b32 exec_lo, exec_lo, s13
	s_cbranch_execnz .LBB6_7927
.LBB6_6346:                             ;   in Loop: Header=BB6_5734 Depth=3
	s_or_b32 exec_lo, exec_lo, s13
	s_and_saveexec_b32 s13, s17
	s_cbranch_execz .LBB6_6348
.LBB6_6347:                             ;   in Loop: Header=BB6_5734 Depth=3
	v_and_b32_e32 v61, 0xffff, v60
	s_delay_alu instid0(VALU_DEP_1) | instskip(NEXT) | instid1(VALU_DEP_1)
	v_and_b32_e32 v62, 7, v61
	v_clz_i32_u32_e32 v63, v62
	s_delay_alu instid0(VALU_DEP_1) | instskip(NEXT) | instid1(VALU_DEP_1)
	v_min_u32_e32 v63, 32, v63
	v_subrev_nc_u32_e32 v72, 28, v63
	v_sub_nc_u32_e32 v63, 29, v63
	s_delay_alu instid0(VALU_DEP_2) | instskip(SKIP_1) | instid1(VALU_DEP_2)
	v_lshlrev_b32_e32 v72, v72, v61
	v_bfe_u32 v61, v61, 3, 4
	v_and_b32_e32 v72, 7, v72
	s_delay_alu instid0(VALU_DEP_2) | instskip(SKIP_1) | instid1(VALU_DEP_3)
	v_cmp_eq_u32_e32 vcc_lo, 0, v61
	v_cndmask_b32_e32 v61, v61, v63, vcc_lo
	v_dual_cndmask_b32 v62, v62, v72 :: v_dual_lshlrev_b32 v73, 16, v33
	s_delay_alu instid0(VALU_DEP_2) | instskip(NEXT) | instid1(VALU_DEP_2)
	v_lshl_add_u32 v61, v61, 23, 0x3b800000
	v_and_b32_e32 v63, 0x80000000, v73
	s_delay_alu instid0(VALU_DEP_3) | instskip(NEXT) | instid1(VALU_DEP_1)
	v_lshlrev_b32_e32 v62, 20, v62
	v_or3_b32 v61, v63, v61, v62
.LBB6_6348:                             ;   in Loop: Header=BB6_5734 Depth=3
	s_or_b32 exec_lo, exec_lo, s13
	s_mov_b32 s13, 0
	s_mov_b32 s31, exec_lo
                                        ; implicit-def: $sgpr17
	v_cmpx_lt_i16_e32 0x7f, v59
	s_xor_b32 s31, exec_lo, s31
	s_cbranch_execnz .LBB6_7928
; %bb.6349:                             ;   in Loop: Header=BB6_5734 Depth=3
	s_or_saveexec_b32 s31, s31
	v_mov_b32_e32 v62, s17
	s_xor_b32 exec_lo, exec_lo, s31
	s_cbranch_execnz .LBB6_7931
.LBB6_6350:                             ;   in Loop: Header=BB6_5734 Depth=3
	s_or_b32 exec_lo, exec_lo, s31
	s_and_saveexec_b32 s17, s13
	s_cbranch_execz .LBB6_6352
.LBB6_6351:                             ;   in Loop: Header=BB6_5734 Depth=3
	v_and_b32_e32 v62, 0xffff, v59
	v_lshlrev_b32_e32 v74, 16, v25
	s_delay_alu instid0(VALU_DEP_2) | instskip(NEXT) | instid1(VALU_DEP_1)
	v_and_b32_e32 v63, 7, v62
	v_clz_i32_u32_e32 v72, v63
	s_delay_alu instid0(VALU_DEP_1) | instskip(NEXT) | instid1(VALU_DEP_1)
	v_min_u32_e32 v72, 32, v72
	v_subrev_nc_u32_e32 v73, 28, v72
	v_sub_nc_u32_e32 v72, 29, v72
	s_delay_alu instid0(VALU_DEP_2) | instskip(SKIP_1) | instid1(VALU_DEP_2)
	v_lshlrev_b32_e32 v73, v73, v62
	v_bfe_u32 v62, v62, 3, 4
	v_and_b32_e32 v73, 7, v73
	s_delay_alu instid0(VALU_DEP_2) | instskip(NEXT) | instid1(VALU_DEP_2)
	v_cmp_eq_u32_e32 vcc_lo, 0, v62
	v_dual_cndmask_b32 v62, v62, v72 :: v_dual_cndmask_b32 v63, v63, v73
	v_and_b32_e32 v72, 0x80000000, v74
	s_delay_alu instid0(VALU_DEP_2) | instskip(NEXT) | instid1(VALU_DEP_3)
	v_lshl_add_u32 v62, v62, 23, 0x3b800000
	v_lshlrev_b32_e32 v63, 20, v63
	s_delay_alu instid0(VALU_DEP_1)
	v_or3_b32 v62, v72, v62, v63
.LBB6_6352:                             ;   in Loop: Header=BB6_5734 Depth=3
	s_or_b32 exec_lo, exec_lo, s17
	s_delay_alu instid0(VALU_DEP_1) | instskip(SKIP_1) | instid1(VALU_DEP_1)
	v_dual_max_f32 v62, v62, v62 :: v_dual_max_f32 v61, v61, v61
	s_mov_b32 s13, 0
	v_max_f32_e32 v61, v61, v62
	s_branch .LBB6_6354
.LBB6_6353:                             ;   in Loop: Header=BB6_5734 Depth=3
	s_mov_b32 s13, -1
                                        ; implicit-def: $vgpr61
.LBB6_6354:                             ;   in Loop: Header=BB6_5734 Depth=3
	s_delay_alu instid0(SALU_CYCLE_1)
	s_and_b32 vcc_lo, exec_lo, s13
	s_cbranch_vccz .LBB6_6364
; %bb.6355:                             ;   in Loop: Header=BB6_5734 Depth=3
	s_mov_b32 s13, 0
	s_mov_b32 s31, exec_lo
                                        ; implicit-def: $sgpr17
	v_cmpx_lt_i16_e32 0x7f, v60
	s_xor_b32 s31, exec_lo, s31
	s_cbranch_execnz .LBB6_7932
; %bb.6356:                             ;   in Loop: Header=BB6_5734 Depth=3
	s_or_saveexec_b32 s31, s31
	v_mov_b32_e32 v61, s17
	s_xor_b32 exec_lo, exec_lo, s31
	s_cbranch_execnz .LBB6_7935
.LBB6_6357:                             ;   in Loop: Header=BB6_5734 Depth=3
	s_or_b32 exec_lo, exec_lo, s31
	s_and_saveexec_b32 s17, s13
	s_cbranch_execz .LBB6_6359
.LBB6_6358:                             ;   in Loop: Header=BB6_5734 Depth=3
	v_and_b32_e32 v60, 0xffff, v60
	v_lshlrev_b32_e32 v72, 16, v33
	s_delay_alu instid0(VALU_DEP_2) | instskip(NEXT) | instid1(VALU_DEP_1)
	v_and_b32_e32 v61, 7, v60
	v_clz_i32_u32_e32 v62, v61
	s_delay_alu instid0(VALU_DEP_1) | instskip(NEXT) | instid1(VALU_DEP_1)
	v_min_u32_e32 v62, 32, v62
	v_subrev_nc_u32_e32 v63, 28, v62
	v_sub_nc_u32_e32 v62, 29, v62
	s_delay_alu instid0(VALU_DEP_2) | instskip(SKIP_1) | instid1(VALU_DEP_2)
	v_lshlrev_b32_e32 v63, v63, v60
	v_bfe_u32 v60, v60, 3, 4
	v_and_b32_e32 v63, 7, v63
	s_delay_alu instid0(VALU_DEP_2) | instskip(NEXT) | instid1(VALU_DEP_2)
	v_cmp_eq_u32_e32 vcc_lo, 0, v60
	v_dual_cndmask_b32 v60, v60, v62 :: v_dual_cndmask_b32 v61, v61, v63
	v_and_b32_e32 v62, 0x80000000, v72
	s_delay_alu instid0(VALU_DEP_2) | instskip(NEXT) | instid1(VALU_DEP_3)
	v_lshl_add_u32 v60, v60, 23, 0x3b800000
	v_lshlrev_b32_e32 v61, 20, v61
	s_delay_alu instid0(VALU_DEP_1)
	v_or3_b32 v61, v62, v60, v61
.LBB6_6359:                             ;   in Loop: Header=BB6_5734 Depth=3
	s_or_b32 exec_lo, exec_lo, s17
	s_mov_b32 s13, 0
	s_mov_b32 s31, exec_lo
                                        ; implicit-def: $sgpr17
	v_cmpx_lt_i16_e32 0x7f, v59
	s_xor_b32 s31, exec_lo, s31
	s_cbranch_execnz .LBB6_7936
; %bb.6360:                             ;   in Loop: Header=BB6_5734 Depth=3
	s_or_saveexec_b32 s31, s31
	v_mov_b32_e32 v60, s17
	s_xor_b32 exec_lo, exec_lo, s31
	s_cbranch_execnz .LBB6_7939
.LBB6_6361:                             ;   in Loop: Header=BB6_5734 Depth=3
	s_or_b32 exec_lo, exec_lo, s31
	s_and_saveexec_b32 s17, s13
	s_cbranch_execz .LBB6_6363
.LBB6_6362:                             ;   in Loop: Header=BB6_5734 Depth=3
	v_and_b32_e32 v59, 0xffff, v59
	v_lshlrev_b32_e32 v72, 16, v25
	s_delay_alu instid0(VALU_DEP_2) | instskip(NEXT) | instid1(VALU_DEP_1)
	v_and_b32_e32 v60, 7, v59
	v_clz_i32_u32_e32 v62, v60
	s_delay_alu instid0(VALU_DEP_1) | instskip(NEXT) | instid1(VALU_DEP_1)
	v_min_u32_e32 v62, 32, v62
	v_subrev_nc_u32_e32 v63, 28, v62
	v_sub_nc_u32_e32 v62, 29, v62
	s_delay_alu instid0(VALU_DEP_2) | instskip(SKIP_1) | instid1(VALU_DEP_2)
	v_lshlrev_b32_e32 v63, v63, v59
	v_bfe_u32 v59, v59, 3, 4
	v_and_b32_e32 v63, 7, v63
	s_delay_alu instid0(VALU_DEP_2) | instskip(NEXT) | instid1(VALU_DEP_2)
	v_cmp_eq_u32_e32 vcc_lo, 0, v59
	v_dual_cndmask_b32 v59, v59, v62 :: v_dual_cndmask_b32 v60, v60, v63
	v_and_b32_e32 v62, 0x80000000, v72
	s_delay_alu instid0(VALU_DEP_2) | instskip(NEXT) | instid1(VALU_DEP_3)
	v_lshl_add_u32 v59, v59, 23, 0x3b800000
	v_lshlrev_b32_e32 v60, 20, v60
	s_delay_alu instid0(VALU_DEP_1)
	v_or3_b32 v60, v62, v59, v60
.LBB6_6363:                             ;   in Loop: Header=BB6_5734 Depth=3
	s_or_b32 exec_lo, exec_lo, s17
	s_delay_alu instid0(VALU_DEP_1) | instskip(NEXT) | instid1(VALU_DEP_1)
	v_dual_max_f32 v59, v60, v60 :: v_dual_max_f32 v60, v61, v61
	v_min_f32_e32 v61, v60, v59
.LBB6_6364:                             ;   in Loop: Header=BB6_5734 Depth=3
	s_delay_alu instid0(VALU_DEP_1) | instskip(NEXT) | instid1(VALU_DEP_1)
	v_and_b32_e32 v59, 0x7f800000, v61
	v_cmp_ne_u32_e32 vcc_lo, 0x7f800000, v59
	v_mov_b32_e32 v59, 0x80
	s_and_saveexec_b32 s17, vcc_lo
	s_cbranch_execz .LBB6_6372
; %bb.6365:                             ;   in Loop: Header=BB6_5734 Depth=3
	v_mov_b32_e32 v59, 0
	s_mov_b32 s31, exec_lo
	v_cmpx_ne_u32_e32 0, v61
	s_cbranch_execz .LBB6_6371
; %bb.6366:                             ;   in Loop: Header=BB6_5734 Depth=3
	v_bfe_u32 v59, v61, 23, 8
	v_and_b32_e32 v60, 0x7fffff, v61
	s_delay_alu instid0(VALU_DEP_2) | instskip(SKIP_1) | instid1(VALU_DEP_3)
	v_sub_nc_u32_e32 v62, 0x78, v59
	v_cmp_gt_u32_e32 vcc_lo, 0x79, v59
	v_or_b32_e32 v63, 0x800000, v60
	s_delay_alu instid0(VALU_DEP_3) | instskip(SKIP_2) | instid1(VALU_DEP_3)
	v_cndmask_b32_e32 v62, 0, v62, vcc_lo
	v_cmp_eq_u32_e32 vcc_lo, 0, v59
	v_add_nc_u32_e32 v59, 0xffffff89, v59
	v_cndmask_b32_e64 v62, v62, 0x77, vcc_lo
	v_cndmask_b32_e32 v60, v63, v60, vcc_lo
	s_delay_alu instid0(VALU_DEP_3) | instskip(NEXT) | instid1(VALU_DEP_3)
	v_cndmask_b32_e64 v59, v59, 0xffffff8a, vcc_lo
	v_lshl_add_u32 v63, 0x100000, v62, -1
	s_delay_alu instid0(VALU_DEP_3) | instskip(SKIP_1) | instid1(VALU_DEP_4)
	v_lshrrev_b32_e32 v72, v62, v60
	v_lshlrev_b32_e64 v74, v62, 0x80000
	v_add_nc_u32_e32 v62, v62, v59
	s_delay_alu instid0(VALU_DEP_4) | instskip(NEXT) | instid1(VALU_DEP_4)
	v_and_b32_e32 v60, v63, v60
	v_bfe_u32 v73, v72, 20, 1
	s_delay_alu instid0(VALU_DEP_2) | instskip(NEXT) | instid1(VALU_DEP_2)
	v_cmp_eq_u32_e64 s13, v60, v74
	v_add_nc_u32_e32 v63, -1, v73
	s_delay_alu instid0(VALU_DEP_1) | instskip(SKIP_2) | instid1(VALU_DEP_2)
	v_cndmask_b32_e64 v60, 0, v63, s13
	v_lshrrev_b32_e32 v63, 23, v72
	s_mov_b32 s13, exec_lo
	v_add_nc_u32_e32 v60, v60, v72
	s_delay_alu instid0(VALU_DEP_2) | instskip(NEXT) | instid1(VALU_DEP_2)
	v_xor_b32_e32 v63, 1, v63
	v_and_b32_e32 v59, 0xfffff, v60
	s_delay_alu instid0(VALU_DEP_1) | instskip(NEXT) | instid1(VALU_DEP_3)
	v_add_nc_u32_e32 v60, v59, v72
                                        ; implicit-def: $vgpr59
	v_cmpx_ne_u32_e64 v62, v63
	s_xor_b32 s13, exec_lo, s13
; %bb.6367:                             ;   in Loop: Header=BB6_5734 Depth=3
	s_delay_alu instid0(VALU_DEP_2) | instskip(SKIP_2) | instid1(VALU_DEP_2)
	v_cmp_lt_u32_e32 vcc_lo, 0xffffff, v60
	v_sub_nc_u32_e32 v59, v62, v63
	v_cndmask_b32_e64 v62, 0, 1, vcc_lo
	v_add_co_ci_u32_e32 v59, vcc_lo, 0, v59, vcc_lo
	s_delay_alu instid0(VALU_DEP_2)
	v_lshrrev_b32_e32 v60, v62, v60
; %bb.6368:                             ;   in Loop: Header=BB6_5734 Depth=3
	s_and_not1_saveexec_b32 s13, s13
; %bb.6369:                             ;   in Loop: Header=BB6_5734 Depth=3
	s_delay_alu instid0(VALU_DEP_1)
	v_bfe_u32 v59, v60, 23, 1
; %bb.6370:                             ;   in Loop: Header=BB6_5734 Depth=3
	s_or_b32 exec_lo, exec_lo, s13
	v_lshrrev_b32_e32 v60, 20, v60
	s_delay_alu instid0(VALU_DEP_2) | instskip(SKIP_2) | instid1(VALU_DEP_2)
	v_cmp_gt_i32_e32 vcc_lo, 16, v59
	v_lshrrev_b32_e32 v61, 24, v61
	v_min_i32_e32 v62, 15, v59
	v_dual_cndmask_b32 v60, 7, v60 :: v_dual_and_b32 v61, 0x80, v61
	s_delay_alu instid0(VALU_DEP_1) | instskip(SKIP_1) | instid1(VALU_DEP_2)
	v_or_b32_e32 v59, v59, v60
	v_and_b32_e32 v63, 7, v60
	v_cmp_ne_u32_e32 vcc_lo, 0, v59
	v_lshlrev_b32_e32 v62, 3, v62
	s_delay_alu instid0(VALU_DEP_1) | instskip(NEXT) | instid1(VALU_DEP_1)
	v_or3_b32 v60, v62, v61, v63
	v_cndmask_b32_e32 v59, 0, v60, vcc_lo
.LBB6_6371:                             ;   in Loop: Header=BB6_5734 Depth=3
	s_or_b32 exec_lo, exec_lo, s31
.LBB6_6372:                             ;   in Loop: Header=BB6_5734 Depth=3
	s_delay_alu instid0(SALU_CYCLE_1) | instskip(SKIP_3) | instid1(VALU_DEP_2)
	s_or_b32 exec_lo, exec_lo, s17
	v_lshrrev_b32_e32 v61, 16, v33
	v_lshrrev_b32_e32 v60, 16, v25
	s_and_not1_b32 vcc_lo, exec_lo, s16
	v_and_b32_e32 v62, 0xff, v61
	s_delay_alu instid0(VALU_DEP_1)
	v_cmp_lt_i16_e64 s13, 0x7f, v62
	s_cbranch_vccnz .LBB6_6382
; %bb.6373:                             ;   in Loop: Header=BB6_5734 Depth=3
	s_mov_b32 s17, 0
                                        ; implicit-def: $sgpr31
	s_delay_alu instid0(VALU_DEP_1) | instskip(NEXT) | instid1(SALU_CYCLE_1)
	s_and_saveexec_b32 vcc_lo, s13
	s_xor_b32 s13, exec_lo, vcc_lo
	s_cbranch_execnz .LBB6_7940
; %bb.6374:                             ;   in Loop: Header=BB6_5734 Depth=3
	s_or_saveexec_b32 s13, s13
	v_mov_b32_e32 v63, s31
	s_xor_b32 exec_lo, exec_lo, s13
	s_cbranch_execnz .LBB6_7943
.LBB6_6375:                             ;   in Loop: Header=BB6_5734 Depth=3
	s_or_b32 exec_lo, exec_lo, s13
	s_and_saveexec_b32 s13, s17
	s_cbranch_execz .LBB6_6377
.LBB6_6376:                             ;   in Loop: Header=BB6_5734 Depth=3
	v_bfe_u32 v63, v33, 16, 3
	v_bfe_u32 v74, v33, 19, 4
	v_lshlrev_b32_e32 v75, 24, v61
	s_delay_alu instid0(VALU_DEP_3) | instskip(NEXT) | instid1(VALU_DEP_3)
	v_clz_i32_u32_e32 v72, v63
	v_cmp_eq_u32_e32 vcc_lo, 0, v74
	s_delay_alu instid0(VALU_DEP_2) | instskip(NEXT) | instid1(VALU_DEP_1)
	v_min_u32_e32 v72, 32, v72
	v_subrev_nc_u32_e32 v73, 28, v72
	v_sub_nc_u32_e32 v72, 29, v72
	s_delay_alu instid0(VALU_DEP_1) | instskip(NEXT) | instid1(VALU_DEP_1)
	v_dual_cndmask_b32 v72, v74, v72 :: v_dual_lshlrev_b32 v73, v73, v61
	v_and_b32_e32 v73, 7, v73
	s_delay_alu instid0(VALU_DEP_2) | instskip(NEXT) | instid1(VALU_DEP_2)
	v_lshl_add_u32 v72, v72, 23, 0x3b800000
	v_cndmask_b32_e32 v63, v63, v73, vcc_lo
	v_and_b32_e32 v73, 0x80000000, v75
	s_delay_alu instid0(VALU_DEP_2) | instskip(NEXT) | instid1(VALU_DEP_1)
	v_lshlrev_b32_e32 v63, 20, v63
	v_or3_b32 v63, v73, v72, v63
.LBB6_6377:                             ;   in Loop: Header=BB6_5734 Depth=3
	s_or_b32 exec_lo, exec_lo, s13
	v_and_b32_e32 v73, 0xff, v60
	s_mov_b32 s13, 0
	s_mov_b32 s31, exec_lo
                                        ; implicit-def: $sgpr17
	s_delay_alu instid0(VALU_DEP_1)
	v_cmpx_lt_i16_e32 0x7f, v73
	s_xor_b32 s31, exec_lo, s31
	s_cbranch_execnz .LBB6_7944
; %bb.6378:                             ;   in Loop: Header=BB6_5734 Depth=3
	s_or_saveexec_b32 s31, s31
	v_mov_b32_e32 v72, s17
	s_xor_b32 exec_lo, exec_lo, s31
	s_cbranch_execnz .LBB6_7947
.LBB6_6379:                             ;   in Loop: Header=BB6_5734 Depth=3
	s_or_b32 exec_lo, exec_lo, s31
	s_and_saveexec_b32 s17, s13
	s_cbranch_execz .LBB6_6381
.LBB6_6380:                             ;   in Loop: Header=BB6_5734 Depth=3
	v_bfe_u32 v72, v25, 16, 3
	v_bfe_u32 v75, v25, 19, 4
	v_lshlrev_b32_e32 v76, 24, v60
	s_delay_alu instid0(VALU_DEP_3) | instskip(NEXT) | instid1(VALU_DEP_3)
	v_clz_i32_u32_e32 v73, v72
	v_cmp_eq_u32_e32 vcc_lo, 0, v75
	s_delay_alu instid0(VALU_DEP_2) | instskip(NEXT) | instid1(VALU_DEP_1)
	v_min_u32_e32 v73, 32, v73
	v_subrev_nc_u32_e32 v74, 28, v73
	v_sub_nc_u32_e32 v73, 29, v73
	s_delay_alu instid0(VALU_DEP_1) | instskip(NEXT) | instid1(VALU_DEP_1)
	v_dual_cndmask_b32 v73, v75, v73 :: v_dual_lshlrev_b32 v74, v74, v60
	v_and_b32_e32 v74, 7, v74
	s_delay_alu instid0(VALU_DEP_2) | instskip(NEXT) | instid1(VALU_DEP_2)
	v_lshl_add_u32 v73, v73, 23, 0x3b800000
	v_cndmask_b32_e32 v72, v72, v74, vcc_lo
	v_and_b32_e32 v74, 0x80000000, v76
	s_delay_alu instid0(VALU_DEP_2) | instskip(NEXT) | instid1(VALU_DEP_1)
	v_lshlrev_b32_e32 v72, 20, v72
	v_or3_b32 v72, v74, v73, v72
.LBB6_6381:                             ;   in Loop: Header=BB6_5734 Depth=3
	s_or_b32 exec_lo, exec_lo, s17
	s_delay_alu instid0(VALU_DEP_1) | instskip(SKIP_1) | instid1(VALU_DEP_1)
	v_dual_max_f32 v72, v72, v72 :: v_dual_max_f32 v63, v63, v63
	s_mov_b32 s13, 0
	v_max_f32_e32 v63, v63, v72
	s_branch .LBB6_6383
.LBB6_6382:                             ;   in Loop: Header=BB6_5734 Depth=3
	s_mov_b32 s13, -1
                                        ; implicit-def: $vgpr63
.LBB6_6383:                             ;   in Loop: Header=BB6_5734 Depth=3
	s_delay_alu instid0(SALU_CYCLE_1)
	s_and_b32 vcc_lo, exec_lo, s13
	s_cbranch_vccz .LBB6_6393
; %bb.6384:                             ;   in Loop: Header=BB6_5734 Depth=3
	s_mov_b32 s13, 0
	s_mov_b32 s31, exec_lo
                                        ; implicit-def: $sgpr17
	v_cmpx_lt_i16_e32 0x7f, v62
	s_xor_b32 s31, exec_lo, s31
	s_cbranch_execnz .LBB6_7948
; %bb.6385:                             ;   in Loop: Header=BB6_5734 Depth=3
	s_or_saveexec_b32 s31, s31
	v_mov_b32_e32 v63, s17
	s_xor_b32 exec_lo, exec_lo, s31
	s_cbranch_execnz .LBB6_7951
.LBB6_6386:                             ;   in Loop: Header=BB6_5734 Depth=3
	s_or_b32 exec_lo, exec_lo, s31
	s_and_saveexec_b32 s17, s13
	s_cbranch_execz .LBB6_6388
.LBB6_6387:                             ;   in Loop: Header=BB6_5734 Depth=3
	v_bfe_u32 v62, v33, 16, 3
	v_bfe_u32 v73, v33, 19, 4
	s_delay_alu instid0(VALU_DEP_2) | instskip(NEXT) | instid1(VALU_DEP_2)
	v_clz_i32_u32_e32 v63, v62
	v_cmp_eq_u32_e32 vcc_lo, 0, v73
	s_delay_alu instid0(VALU_DEP_2) | instskip(NEXT) | instid1(VALU_DEP_1)
	v_min_u32_e32 v63, 32, v63
	v_subrev_nc_u32_e32 v72, 28, v63
	v_sub_nc_u32_e32 v63, 29, v63
	s_delay_alu instid0(VALU_DEP_1) | instskip(NEXT) | instid1(VALU_DEP_1)
	v_dual_cndmask_b32 v63, v73, v63 :: v_dual_lshlrev_b32 v72, v72, v61
	v_and_b32_e32 v72, 7, v72
	v_lshlrev_b32_e32 v61, 24, v61
	s_delay_alu instid0(VALU_DEP_3) | instskip(NEXT) | instid1(VALU_DEP_2)
	v_lshl_add_u32 v63, v63, 23, 0x3b800000
	v_dual_cndmask_b32 v62, v62, v72 :: v_dual_and_b32 v61, 0x80000000, v61
	s_delay_alu instid0(VALU_DEP_1) | instskip(NEXT) | instid1(VALU_DEP_1)
	v_lshlrev_b32_e32 v62, 20, v62
	v_or3_b32 v63, v61, v63, v62
.LBB6_6388:                             ;   in Loop: Header=BB6_5734 Depth=3
	s_or_b32 exec_lo, exec_lo, s17
	v_and_b32_e32 v62, 0xff, v60
	s_mov_b32 s13, 0
	s_mov_b32 s31, exec_lo
                                        ; implicit-def: $sgpr17
	s_delay_alu instid0(VALU_DEP_1)
	v_cmpx_lt_i16_e32 0x7f, v62
	s_xor_b32 s31, exec_lo, s31
	s_cbranch_execnz .LBB6_7952
; %bb.6389:                             ;   in Loop: Header=BB6_5734 Depth=3
	s_or_saveexec_b32 s31, s31
	v_mov_b32_e32 v61, s17
	s_xor_b32 exec_lo, exec_lo, s31
	s_cbranch_execnz .LBB6_7955
.LBB6_6390:                             ;   in Loop: Header=BB6_5734 Depth=3
	s_or_b32 exec_lo, exec_lo, s31
	s_and_saveexec_b32 s17, s13
	s_cbranch_execz .LBB6_6392
.LBB6_6391:                             ;   in Loop: Header=BB6_5734 Depth=3
	v_bfe_u32 v61, v25, 16, 3
	v_bfe_u32 v73, v25, 19, 4
	s_delay_alu instid0(VALU_DEP_2) | instskip(NEXT) | instid1(VALU_DEP_2)
	v_clz_i32_u32_e32 v62, v61
	v_cmp_eq_u32_e32 vcc_lo, 0, v73
	s_delay_alu instid0(VALU_DEP_2) | instskip(NEXT) | instid1(VALU_DEP_1)
	v_min_u32_e32 v62, 32, v62
	v_subrev_nc_u32_e32 v72, 28, v62
	v_sub_nc_u32_e32 v62, 29, v62
	s_delay_alu instid0(VALU_DEP_2) | instskip(SKIP_1) | instid1(VALU_DEP_2)
	v_lshlrev_b32_e32 v72, v72, v60
	v_lshlrev_b32_e32 v60, 24, v60
	v_and_b32_e32 v72, 7, v72
	s_delay_alu instid0(VALU_DEP_2) | instskip(NEXT) | instid1(VALU_DEP_2)
	v_and_b32_e32 v60, 0x80000000, v60
	v_cndmask_b32_e32 v61, v61, v72, vcc_lo
	s_delay_alu instid0(VALU_DEP_1) | instskip(NEXT) | instid1(VALU_DEP_1)
	v_dual_cndmask_b32 v62, v73, v62 :: v_dual_lshlrev_b32 v61, 20, v61
	v_lshl_add_u32 v62, v62, 23, 0x3b800000
	s_delay_alu instid0(VALU_DEP_1)
	v_or3_b32 v61, v60, v62, v61
.LBB6_6392:                             ;   in Loop: Header=BB6_5734 Depth=3
	s_or_b32 exec_lo, exec_lo, s17
	s_delay_alu instid0(VALU_DEP_1) | instskip(NEXT) | instid1(VALU_DEP_1)
	v_dual_max_f32 v60, v61, v61 :: v_dual_max_f32 v61, v63, v63
	v_min_f32_e32 v63, v61, v60
.LBB6_6393:                             ;   in Loop: Header=BB6_5734 Depth=3
	s_delay_alu instid0(VALU_DEP_1) | instskip(NEXT) | instid1(VALU_DEP_1)
	v_and_b32_e32 v60, 0x7f800000, v63
	v_cmp_ne_u32_e32 vcc_lo, 0x7f800000, v60
	v_mov_b32_e32 v60, 0x80
	s_and_saveexec_b32 s17, vcc_lo
	s_cbranch_execz .LBB6_6401
; %bb.6394:                             ;   in Loop: Header=BB6_5734 Depth=3
	v_mov_b32_e32 v60, 0
	s_mov_b32 s31, exec_lo
	v_cmpx_ne_u32_e32 0, v63
	s_cbranch_execz .LBB6_6400
; %bb.6395:                             ;   in Loop: Header=BB6_5734 Depth=3
	v_bfe_u32 v60, v63, 23, 8
	s_delay_alu instid0(VALU_DEP_1) | instskip(SKIP_1) | instid1(VALU_DEP_2)
	v_sub_nc_u32_e32 v62, 0x78, v60
	v_cmp_gt_u32_e32 vcc_lo, 0x79, v60
	v_dual_cndmask_b32 v62, 0, v62 :: v_dual_and_b32 v61, 0x7fffff, v63
	s_delay_alu instid0(VALU_DEP_1) | instskip(SKIP_2) | instid1(VALU_DEP_4)
	v_or_b32_e32 v72, 0x800000, v61
	v_cmp_eq_u32_e32 vcc_lo, 0, v60
	v_add_nc_u32_e32 v60, 0xffffff89, v60
	v_cndmask_b32_e64 v62, v62, 0x77, vcc_lo
	s_delay_alu instid0(VALU_DEP_4) | instskip(NEXT) | instid1(VALU_DEP_3)
	v_cndmask_b32_e32 v61, v72, v61, vcc_lo
	v_cndmask_b32_e64 v60, v60, 0xffffff8a, vcc_lo
	s_delay_alu instid0(VALU_DEP_3) | instskip(NEXT) | instid1(VALU_DEP_3)
	v_lshl_add_u32 v72, 0x100000, v62, -1
	v_lshrrev_b32_e32 v73, v62, v61
	v_lshlrev_b32_e64 v75, v62, 0x80000
	s_delay_alu instid0(VALU_DEP_4) | instskip(NEXT) | instid1(VALU_DEP_4)
	v_add_nc_u32_e32 v62, v62, v60
	v_and_b32_e32 v61, v72, v61
	s_delay_alu instid0(VALU_DEP_4) | instskip(NEXT) | instid1(VALU_DEP_2)
	v_bfe_u32 v74, v73, 20, 1
	v_cmp_eq_u32_e64 s13, v61, v75
	s_delay_alu instid0(VALU_DEP_2) | instskip(NEXT) | instid1(VALU_DEP_1)
	v_add_nc_u32_e32 v72, -1, v74
	v_cndmask_b32_e64 v61, 0, v72, s13
	v_lshrrev_b32_e32 v72, 23, v73
	s_mov_b32 s13, exec_lo
	s_delay_alu instid0(VALU_DEP_2) | instskip(NEXT) | instid1(VALU_DEP_2)
	v_add_nc_u32_e32 v61, v61, v73
	v_xor_b32_e32 v72, 1, v72
	s_delay_alu instid0(VALU_DEP_2) | instskip(NEXT) | instid1(VALU_DEP_1)
	v_and_b32_e32 v60, 0xfffff, v61
	v_add_nc_u32_e32 v61, v60, v73
                                        ; implicit-def: $vgpr60
	s_delay_alu instid0(VALU_DEP_3)
	v_cmpx_ne_u32_e64 v62, v72
	s_xor_b32 s13, exec_lo, s13
; %bb.6396:                             ;   in Loop: Header=BB6_5734 Depth=3
	s_delay_alu instid0(VALU_DEP_2) | instskip(SKIP_2) | instid1(VALU_DEP_2)
	v_cmp_lt_u32_e32 vcc_lo, 0xffffff, v61
	v_sub_nc_u32_e32 v60, v62, v72
	v_cndmask_b32_e64 v62, 0, 1, vcc_lo
	v_add_co_ci_u32_e32 v60, vcc_lo, 0, v60, vcc_lo
	s_delay_alu instid0(VALU_DEP_2)
	v_lshrrev_b32_e32 v61, v62, v61
; %bb.6397:                             ;   in Loop: Header=BB6_5734 Depth=3
	s_and_not1_saveexec_b32 s13, s13
; %bb.6398:                             ;   in Loop: Header=BB6_5734 Depth=3
	s_delay_alu instid0(VALU_DEP_1)
	v_bfe_u32 v60, v61, 23, 1
; %bb.6399:                             ;   in Loop: Header=BB6_5734 Depth=3
	s_or_b32 exec_lo, exec_lo, s13
	v_lshrrev_b32_e32 v61, 20, v61
	s_delay_alu instid0(VALU_DEP_2) | instskip(SKIP_2) | instid1(VALU_DEP_2)
	v_cmp_gt_i32_e32 vcc_lo, 16, v60
	v_min_i32_e32 v62, 15, v60
	v_lshrrev_b32_e32 v63, 24, v63
	v_dual_cndmask_b32 v61, 7, v61 :: v_dual_lshlrev_b32 v62, 3, v62
	s_delay_alu instid0(VALU_DEP_1) | instskip(SKIP_1) | instid1(VALU_DEP_3)
	v_or_b32_e32 v60, v60, v61
	v_and_b32_e32 v72, 7, v61
	v_and_b32_e32 v62, 0xf8, v62
	s_delay_alu instid0(VALU_DEP_3) | instskip(SKIP_1) | instid1(VALU_DEP_1)
	v_cmp_ne_u32_e32 vcc_lo, 0, v60
	v_and_b32_e32 v63, 0x80, v63
	v_or3_b32 v61, v62, v63, v72
	s_delay_alu instid0(VALU_DEP_1)
	v_cndmask_b32_e32 v60, 0, v61, vcc_lo
.LBB6_6400:                             ;   in Loop: Header=BB6_5734 Depth=3
	s_or_b32 exec_lo, exec_lo, s31
.LBB6_6401:                             ;   in Loop: Header=BB6_5734 Depth=3
	s_delay_alu instid0(SALU_CYCLE_1) | instskip(SKIP_3) | instid1(VALU_DEP_2)
	s_or_b32 exec_lo, exec_lo, s17
	v_lshrrev_b32_e32 v62, 24, v33
	v_lshrrev_b32_e32 v61, 24, v25
	s_and_not1_b32 vcc_lo, exec_lo, s16
	v_cmp_lt_i16_e64 s13, 0x7f, v62
	s_cbranch_vccnz .LBB6_6411
; %bb.6402:                             ;   in Loop: Header=BB6_5734 Depth=3
	s_mov_b32 s17, 0
                                        ; implicit-def: $sgpr31
	s_delay_alu instid0(VALU_DEP_1) | instskip(NEXT) | instid1(SALU_CYCLE_1)
	s_and_saveexec_b32 vcc_lo, s13
	s_xor_b32 s13, exec_lo, vcc_lo
	s_cbranch_execnz .LBB6_7956
; %bb.6403:                             ;   in Loop: Header=BB6_5734 Depth=3
	s_or_saveexec_b32 s13, s13
	v_mov_b32_e32 v63, s31
	s_xor_b32 exec_lo, exec_lo, s13
	s_cbranch_execnz .LBB6_7959
.LBB6_6404:                             ;   in Loop: Header=BB6_5734 Depth=3
	s_or_b32 exec_lo, exec_lo, s13
	s_and_saveexec_b32 s13, s17
	s_cbranch_execz .LBB6_6406
.LBB6_6405:                             ;   in Loop: Header=BB6_5734 Depth=3
	v_bfe_u32 v63, v33, 24, 3
	v_bfe_u32 v74, v33, 27, 4
	s_delay_alu instid0(VALU_DEP_2) | instskip(NEXT) | instid1(VALU_DEP_2)
	v_clz_i32_u32_e32 v72, v63
	v_cmp_eq_u32_e32 vcc_lo, 0, v74
	s_delay_alu instid0(VALU_DEP_2) | instskip(NEXT) | instid1(VALU_DEP_1)
	v_min_u32_e32 v72, 32, v72
	v_subrev_nc_u32_e32 v73, 28, v72
	v_sub_nc_u32_e32 v72, 29, v72
	s_delay_alu instid0(VALU_DEP_1) | instskip(NEXT) | instid1(VALU_DEP_1)
	v_dual_cndmask_b32 v72, v74, v72 :: v_dual_lshlrev_b32 v73, v73, v62
	v_and_b32_e32 v73, 7, v73
	s_delay_alu instid0(VALU_DEP_2) | instskip(NEXT) | instid1(VALU_DEP_2)
	v_lshl_add_u32 v72, v72, 23, 0x3b800000
	v_cndmask_b32_e32 v63, v63, v73, vcc_lo
	v_and_b32_e32 v73, 0x80000000, v33
	s_delay_alu instid0(VALU_DEP_2) | instskip(NEXT) | instid1(VALU_DEP_1)
	v_lshlrev_b32_e32 v63, 20, v63
	v_or3_b32 v63, v73, v72, v63
.LBB6_6406:                             ;   in Loop: Header=BB6_5734 Depth=3
	s_or_b32 exec_lo, exec_lo, s13
	s_mov_b32 s13, 0
	s_mov_b32 s31, exec_lo
                                        ; implicit-def: $sgpr17
	v_cmpx_lt_i16_e32 0x7f, v61
	s_xor_b32 s31, exec_lo, s31
	s_cbranch_execnz .LBB6_7960
; %bb.6407:                             ;   in Loop: Header=BB6_5734 Depth=3
	s_or_saveexec_b32 s31, s31
	v_mov_b32_e32 v72, s17
	s_xor_b32 exec_lo, exec_lo, s31
	s_cbranch_execnz .LBB6_7963
.LBB6_6408:                             ;   in Loop: Header=BB6_5734 Depth=3
	s_or_b32 exec_lo, exec_lo, s31
	s_and_saveexec_b32 s17, s13
	s_cbranch_execz .LBB6_6410
.LBB6_6409:                             ;   in Loop: Header=BB6_5734 Depth=3
	v_bfe_u32 v72, v25, 24, 3
	v_bfe_u32 v75, v25, 27, 4
	s_delay_alu instid0(VALU_DEP_2) | instskip(NEXT) | instid1(VALU_DEP_2)
	v_clz_i32_u32_e32 v73, v72
	v_cmp_eq_u32_e32 vcc_lo, 0, v75
	s_delay_alu instid0(VALU_DEP_2) | instskip(NEXT) | instid1(VALU_DEP_1)
	v_min_u32_e32 v73, 32, v73
	v_subrev_nc_u32_e32 v74, 28, v73
	v_sub_nc_u32_e32 v73, 29, v73
	s_delay_alu instid0(VALU_DEP_2) | instskip(NEXT) | instid1(VALU_DEP_1)
	v_lshlrev_b32_e32 v74, v74, v61
	v_dual_cndmask_b32 v73, v75, v73 :: v_dual_and_b32 v74, 7, v74
	s_delay_alu instid0(VALU_DEP_1) | instskip(NEXT) | instid1(VALU_DEP_2)
	v_lshl_add_u32 v73, v73, 23, 0x3b800000
	v_cndmask_b32_e32 v72, v72, v74, vcc_lo
	v_and_b32_e32 v74, 0x80000000, v25
	s_delay_alu instid0(VALU_DEP_2) | instskip(NEXT) | instid1(VALU_DEP_1)
	v_lshlrev_b32_e32 v72, 20, v72
	v_or3_b32 v72, v74, v73, v72
.LBB6_6410:                             ;   in Loop: Header=BB6_5734 Depth=3
	s_or_b32 exec_lo, exec_lo, s17
	s_delay_alu instid0(VALU_DEP_1) | instskip(SKIP_1) | instid1(VALU_DEP_1)
	v_dual_max_f32 v72, v72, v72 :: v_dual_max_f32 v63, v63, v63
	s_mov_b32 s13, 0
	v_max_f32_e32 v63, v63, v72
	s_branch .LBB6_6412
.LBB6_6411:                             ;   in Loop: Header=BB6_5734 Depth=3
	s_mov_b32 s13, -1
                                        ; implicit-def: $vgpr63
.LBB6_6412:                             ;   in Loop: Header=BB6_5734 Depth=3
	s_delay_alu instid0(SALU_CYCLE_1)
	s_and_b32 vcc_lo, exec_lo, s13
	s_cbranch_vccz .LBB6_6422
; %bb.6413:                             ;   in Loop: Header=BB6_5734 Depth=3
	s_mov_b32 s13, 0
	s_mov_b32 s31, exec_lo
                                        ; implicit-def: $sgpr17
	v_cmpx_lt_i16_e32 0x7f, v62
	s_xor_b32 s31, exec_lo, s31
	s_cbranch_execnz .LBB6_7964
; %bb.6414:                             ;   in Loop: Header=BB6_5734 Depth=3
	s_or_saveexec_b32 s31, s31
	v_mov_b32_e32 v63, s17
	s_xor_b32 exec_lo, exec_lo, s31
	s_cbranch_execnz .LBB6_7967
.LBB6_6415:                             ;   in Loop: Header=BB6_5734 Depth=3
	s_or_b32 exec_lo, exec_lo, s31
	s_and_saveexec_b32 s17, s13
	s_cbranch_execz .LBB6_6417
.LBB6_6416:                             ;   in Loop: Header=BB6_5734 Depth=3
	v_bfe_u32 v63, v33, 24, 3
	s_delay_alu instid0(VALU_DEP_1) | instskip(NEXT) | instid1(VALU_DEP_1)
	v_clz_i32_u32_e32 v72, v63
	v_min_u32_e32 v72, 32, v72
	s_delay_alu instid0(VALU_DEP_1) | instskip(SKIP_1) | instid1(VALU_DEP_2)
	v_subrev_nc_u32_e32 v73, 28, v72
	v_sub_nc_u32_e32 v72, 29, v72
	v_lshlrev_b32_e32 v62, v73, v62
	v_bfe_u32 v73, v33, 27, 4
	v_and_b32_e32 v33, 0x80000000, v33
	s_delay_alu instid0(VALU_DEP_3) | instskip(NEXT) | instid1(VALU_DEP_3)
	v_and_b32_e32 v62, 7, v62
	v_cmp_eq_u32_e32 vcc_lo, 0, v73
	v_cndmask_b32_e32 v72, v73, v72, vcc_lo
	s_delay_alu instid0(VALU_DEP_3) | instskip(NEXT) | instid1(VALU_DEP_2)
	v_cndmask_b32_e32 v62, v63, v62, vcc_lo
	v_lshl_add_u32 v63, v72, 23, 0x3b800000
	s_delay_alu instid0(VALU_DEP_2) | instskip(NEXT) | instid1(VALU_DEP_1)
	v_lshlrev_b32_e32 v62, 20, v62
	v_or3_b32 v63, v33, v63, v62
.LBB6_6417:                             ;   in Loop: Header=BB6_5734 Depth=3
	s_or_b32 exec_lo, exec_lo, s17
	s_mov_b32 s13, 0
	s_mov_b32 s31, exec_lo
                                        ; implicit-def: $sgpr17
	v_cmpx_lt_i16_e32 0x7f, v61
	s_xor_b32 s31, exec_lo, s31
	s_cbranch_execnz .LBB6_7968
; %bb.6418:                             ;   in Loop: Header=BB6_5734 Depth=3
	s_or_saveexec_b32 s31, s31
	v_mov_b32_e32 v33, s17
	s_xor_b32 exec_lo, exec_lo, s31
	s_cbranch_execnz .LBB6_7971
.LBB6_6419:                             ;   in Loop: Header=BB6_5734 Depth=3
	s_or_b32 exec_lo, exec_lo, s31
	s_and_saveexec_b32 s17, s13
	s_cbranch_execz .LBB6_6421
.LBB6_6420:                             ;   in Loop: Header=BB6_5734 Depth=3
	v_bfe_u32 v33, v25, 24, 3
	s_delay_alu instid0(VALU_DEP_1) | instskip(NEXT) | instid1(VALU_DEP_1)
	v_clz_i32_u32_e32 v62, v33
	v_min_u32_e32 v62, 32, v62
	s_delay_alu instid0(VALU_DEP_1) | instskip(SKIP_1) | instid1(VALU_DEP_2)
	v_subrev_nc_u32_e32 v72, 28, v62
	v_sub_nc_u32_e32 v62, 29, v62
	v_lshlrev_b32_e32 v61, v72, v61
	v_bfe_u32 v72, v25, 27, 4
	v_and_b32_e32 v25, 0x80000000, v25
	s_delay_alu instid0(VALU_DEP_2) | instskip(NEXT) | instid1(VALU_DEP_4)
	v_cmp_eq_u32_e32 vcc_lo, 0, v72
	v_dual_cndmask_b32 v62, v72, v62 :: v_dual_and_b32 v61, 7, v61
	s_delay_alu instid0(VALU_DEP_1) | instskip(NEXT) | instid1(VALU_DEP_2)
	v_cndmask_b32_e32 v33, v33, v61, vcc_lo
	v_lshl_add_u32 v61, v62, 23, 0x3b800000
	s_delay_alu instid0(VALU_DEP_2) | instskip(NEXT) | instid1(VALU_DEP_1)
	v_lshlrev_b32_e32 v33, 20, v33
	v_or3_b32 v33, v25, v61, v33
.LBB6_6421:                             ;   in Loop: Header=BB6_5734 Depth=3
	s_or_b32 exec_lo, exec_lo, s17
	s_delay_alu instid0(VALU_DEP_1) | instskip(SKIP_1) | instid1(VALU_DEP_1)
	v_max_f32_e32 v25, v33, v33
	v_max_f32_e32 v33, v63, v63
	v_min_f32_e32 v63, v33, v25
.LBB6_6422:                             ;   in Loop: Header=BB6_5734 Depth=3
	s_delay_alu instid0(VALU_DEP_1) | instskip(NEXT) | instid1(VALU_DEP_1)
	v_and_b32_e32 v25, 0x7f800000, v63
	v_cmp_ne_u32_e32 vcc_lo, 0x7f800000, v25
	v_mov_b32_e32 v25, 0x8000
	s_and_saveexec_b32 s17, vcc_lo
	s_cbranch_execz .LBB6_6430
; %bb.6423:                             ;   in Loop: Header=BB6_5734 Depth=3
	v_mov_b32_e32 v25, 0
	s_mov_b32 s31, exec_lo
	v_cmpx_ne_u32_e32 0, v63
	s_cbranch_execz .LBB6_6429
; %bb.6424:                             ;   in Loop: Header=BB6_5734 Depth=3
	v_bfe_u32 v25, v63, 23, 8
	v_and_b32_e32 v33, 0x7fffff, v63
	s_delay_alu instid0(VALU_DEP_2) | instskip(SKIP_1) | instid1(VALU_DEP_3)
	v_sub_nc_u32_e32 v61, 0x78, v25
	v_cmp_gt_u32_e32 vcc_lo, 0x79, v25
	v_or_b32_e32 v62, 0x800000, v33
	s_delay_alu instid0(VALU_DEP_3) | instskip(SKIP_2) | instid1(VALU_DEP_3)
	v_cndmask_b32_e32 v61, 0, v61, vcc_lo
	v_cmp_eq_u32_e32 vcc_lo, 0, v25
	v_add_nc_u32_e32 v25, 0xffffff89, v25
	v_cndmask_b32_e64 v61, v61, 0x77, vcc_lo
	v_cndmask_b32_e32 v33, v62, v33, vcc_lo
	s_delay_alu instid0(VALU_DEP_3) | instskip(NEXT) | instid1(VALU_DEP_3)
	v_cndmask_b32_e64 v25, v25, 0xffffff8a, vcc_lo
	v_lshl_add_u32 v62, 0x100000, v61, -1
	s_delay_alu instid0(VALU_DEP_3) | instskip(SKIP_1) | instid1(VALU_DEP_4)
	v_lshrrev_b32_e32 v72, v61, v33
	v_lshlrev_b32_e64 v74, v61, 0x80000
	v_add_nc_u32_e32 v61, v61, v25
	s_delay_alu instid0(VALU_DEP_4) | instskip(NEXT) | instid1(VALU_DEP_4)
	v_and_b32_e32 v33, v62, v33
	v_bfe_u32 v73, v72, 20, 1
	s_delay_alu instid0(VALU_DEP_2) | instskip(NEXT) | instid1(VALU_DEP_2)
	v_cmp_eq_u32_e64 s13, v33, v74
	v_add_nc_u32_e32 v62, -1, v73
	s_delay_alu instid0(VALU_DEP_1) | instskip(SKIP_2) | instid1(VALU_DEP_2)
	v_cndmask_b32_e64 v33, 0, v62, s13
	v_lshrrev_b32_e32 v62, 23, v72
	s_mov_b32 s13, exec_lo
	v_add_nc_u32_e32 v33, v33, v72
	s_delay_alu instid0(VALU_DEP_2) | instskip(NEXT) | instid1(VALU_DEP_2)
	v_xor_b32_e32 v62, 1, v62
	v_and_b32_e32 v25, 0xfffff, v33
	s_delay_alu instid0(VALU_DEP_1) | instskip(NEXT) | instid1(VALU_DEP_3)
	v_add_nc_u32_e32 v33, v25, v72
                                        ; implicit-def: $vgpr25
	v_cmpx_ne_u32_e64 v61, v62
	s_xor_b32 s13, exec_lo, s13
; %bb.6425:                             ;   in Loop: Header=BB6_5734 Depth=3
	s_delay_alu instid0(VALU_DEP_2) | instskip(SKIP_2) | instid1(VALU_DEP_2)
	v_cmp_lt_u32_e32 vcc_lo, 0xffffff, v33
	v_sub_nc_u32_e32 v25, v61, v62
	v_cndmask_b32_e64 v61, 0, 1, vcc_lo
	v_add_co_ci_u32_e32 v25, vcc_lo, 0, v25, vcc_lo
	s_delay_alu instid0(VALU_DEP_2)
	v_lshrrev_b32_e32 v33, v61, v33
; %bb.6426:                             ;   in Loop: Header=BB6_5734 Depth=3
	s_and_not1_saveexec_b32 s13, s13
; %bb.6427:                             ;   in Loop: Header=BB6_5734 Depth=3
	s_delay_alu instid0(VALU_DEP_1)
	v_bfe_u32 v25, v33, 23, 1
; %bb.6428:                             ;   in Loop: Header=BB6_5734 Depth=3
	s_or_b32 exec_lo, exec_lo, s13
	v_lshrrev_b32_e32 v33, 20, v33
	s_delay_alu instid0(VALU_DEP_2) | instskip(SKIP_2) | instid1(VALU_DEP_3)
	v_min_i32_e32 v61, 15, v25
	v_cmp_gt_i32_e32 vcc_lo, 16, v25
	v_lshrrev_b32_e32 v62, 24, v63
	v_lshlrev_b32_e32 v61, 3, v61
	s_delay_alu instid0(VALU_DEP_2) | instskip(NEXT) | instid1(VALU_DEP_2)
	v_dual_cndmask_b32 v33, 7, v33 :: v_dual_and_b32 v62, 0x80, v62
	v_and_b32_e32 v61, 0xf8, v61
	s_delay_alu instid0(VALU_DEP_2) | instskip(SKIP_1) | instid1(VALU_DEP_2)
	v_and_b32_e32 v63, 7, v33
	v_or_b32_e32 v25, v25, v33
	v_or3_b32 v61, v62, v61, v63
	s_delay_alu instid0(VALU_DEP_2) | instskip(NEXT) | instid1(VALU_DEP_2)
	v_cmp_ne_u32_e32 vcc_lo, 0, v25
	v_lshlrev_b32_e32 v33, 8, v61
	s_delay_alu instid0(VALU_DEP_1)
	v_cndmask_b32_e32 v25, 0, v33, vcc_lo
.LBB6_6429:                             ;   in Loop: Header=BB6_5734 Depth=3
	s_or_b32 exec_lo, exec_lo, s31
.LBB6_6430:                             ;   in Loop: Header=BB6_5734 Depth=3
	s_delay_alu instid0(SALU_CYCLE_1) | instskip(SKIP_2) | instid1(VALU_DEP_1)
	s_or_b32 exec_lo, exec_lo, s17
	v_and_b32_e32 v33, 0xff, v34
	s_and_not1_b32 vcc_lo, exec_lo, s16
	v_cmp_lt_i16_e64 s13, 0x7f, v33
	s_cbranch_vccnz .LBB6_6440
; %bb.6431:                             ;   in Loop: Header=BB6_5734 Depth=3
	s_mov_b32 s17, 0
                                        ; implicit-def: $sgpr31
	s_delay_alu instid0(VALU_DEP_1) | instskip(NEXT) | instid1(SALU_CYCLE_1)
	s_and_saveexec_b32 vcc_lo, s13
	s_xor_b32 s13, exec_lo, vcc_lo
	s_cbranch_execnz .LBB6_7972
; %bb.6432:                             ;   in Loop: Header=BB6_5734 Depth=3
	s_or_saveexec_b32 s13, s13
	v_mov_b32_e32 v61, s31
	s_xor_b32 exec_lo, exec_lo, s13
	s_cbranch_execnz .LBB6_7975
.LBB6_6433:                             ;   in Loop: Header=BB6_5734 Depth=3
	s_or_b32 exec_lo, exec_lo, s13
	s_and_saveexec_b32 s13, s17
	s_cbranch_execz .LBB6_6435
.LBB6_6434:                             ;   in Loop: Header=BB6_5734 Depth=3
	v_and_b32_e32 v61, 7, v34
	v_bfe_u32 v72, v34, 3, 4
	v_lshlrev_b32_e32 v73, 24, v34
	s_delay_alu instid0(VALU_DEP_3) | instskip(NEXT) | instid1(VALU_DEP_3)
	v_clz_i32_u32_e32 v62, v61
	v_cmp_eq_u32_e32 vcc_lo, 0, v72
	s_delay_alu instid0(VALU_DEP_2) | instskip(NEXT) | instid1(VALU_DEP_1)
	v_min_u32_e32 v62, 32, v62
	v_subrev_nc_u32_e32 v63, 28, v62
	v_sub_nc_u32_e32 v62, 29, v62
	s_delay_alu instid0(VALU_DEP_2) | instskip(NEXT) | instid1(VALU_DEP_1)
	v_lshlrev_b32_e32 v63, v63, v34
	v_dual_cndmask_b32 v62, v72, v62 :: v_dual_and_b32 v63, 7, v63
	s_delay_alu instid0(VALU_DEP_1) | instskip(NEXT) | instid1(VALU_DEP_2)
	v_lshl_add_u32 v62, v62, 23, 0x3b800000
	v_cndmask_b32_e32 v61, v61, v63, vcc_lo
	v_and_b32_e32 v63, 0x80000000, v73
	s_delay_alu instid0(VALU_DEP_2) | instskip(NEXT) | instid1(VALU_DEP_1)
	v_lshlrev_b32_e32 v61, 20, v61
	v_or3_b32 v61, v63, v62, v61
.LBB6_6435:                             ;   in Loop: Header=BB6_5734 Depth=3
	s_or_b32 exec_lo, exec_lo, s13
	v_and_b32_e32 v63, 0xff, v26
	s_mov_b32 s13, 0
	s_mov_b32 s31, exec_lo
                                        ; implicit-def: $sgpr17
	s_delay_alu instid0(VALU_DEP_1)
	v_cmpx_lt_i16_e32 0x7f, v63
	s_xor_b32 s31, exec_lo, s31
	s_cbranch_execnz .LBB6_7976
; %bb.6436:                             ;   in Loop: Header=BB6_5734 Depth=3
	s_or_saveexec_b32 s31, s31
	v_mov_b32_e32 v62, s17
	s_xor_b32 exec_lo, exec_lo, s31
	s_cbranch_execnz .LBB6_7979
.LBB6_6437:                             ;   in Loop: Header=BB6_5734 Depth=3
	s_or_b32 exec_lo, exec_lo, s31
	s_and_saveexec_b32 s17, s13
	s_cbranch_execz .LBB6_6439
.LBB6_6438:                             ;   in Loop: Header=BB6_5734 Depth=3
	v_bfe_u32 v73, v26, 3, 4
	v_lshlrev_b32_e32 v74, 24, v26
	s_delay_alu instid0(VALU_DEP_2) | instskip(SKIP_1) | instid1(VALU_DEP_1)
	v_cmp_eq_u32_e32 vcc_lo, 0, v73
	v_and_b32_e32 v62, 7, v26
	v_clz_i32_u32_e32 v63, v62
	s_delay_alu instid0(VALU_DEP_1) | instskip(NEXT) | instid1(VALU_DEP_1)
	v_min_u32_e32 v63, 32, v63
	v_subrev_nc_u32_e32 v72, 28, v63
	v_sub_nc_u32_e32 v63, 29, v63
	s_delay_alu instid0(VALU_DEP_1) | instskip(NEXT) | instid1(VALU_DEP_1)
	v_dual_cndmask_b32 v63, v73, v63 :: v_dual_lshlrev_b32 v72, v72, v26
	v_and_b32_e32 v72, 7, v72
	s_delay_alu instid0(VALU_DEP_2) | instskip(NEXT) | instid1(VALU_DEP_2)
	v_lshl_add_u32 v63, v63, 23, 0x3b800000
	v_cndmask_b32_e32 v62, v62, v72, vcc_lo
	v_and_b32_e32 v72, 0x80000000, v74
	s_delay_alu instid0(VALU_DEP_2) | instskip(NEXT) | instid1(VALU_DEP_1)
	v_lshlrev_b32_e32 v62, 20, v62
	v_or3_b32 v62, v72, v63, v62
.LBB6_6439:                             ;   in Loop: Header=BB6_5734 Depth=3
	s_or_b32 exec_lo, exec_lo, s17
	s_delay_alu instid0(VALU_DEP_1) | instskip(SKIP_1) | instid1(VALU_DEP_1)
	v_dual_max_f32 v62, v62, v62 :: v_dual_max_f32 v61, v61, v61
	s_mov_b32 s13, 0
	v_max_f32_e32 v61, v61, v62
	s_branch .LBB6_6441
.LBB6_6440:                             ;   in Loop: Header=BB6_5734 Depth=3
	s_mov_b32 s13, -1
                                        ; implicit-def: $vgpr61
.LBB6_6441:                             ;   in Loop: Header=BB6_5734 Depth=3
	s_delay_alu instid0(SALU_CYCLE_1)
	s_and_b32 vcc_lo, exec_lo, s13
	s_cbranch_vccz .LBB6_6451
; %bb.6442:                             ;   in Loop: Header=BB6_5734 Depth=3
	s_mov_b32 s13, 0
	s_mov_b32 s31, exec_lo
                                        ; implicit-def: $sgpr17
	v_cmpx_lt_i16_e32 0x7f, v33
	s_xor_b32 s31, exec_lo, s31
	s_cbranch_execnz .LBB6_7980
; %bb.6443:                             ;   in Loop: Header=BB6_5734 Depth=3
	s_or_saveexec_b32 s31, s31
	v_mov_b32_e32 v61, s17
	s_xor_b32 exec_lo, exec_lo, s31
	s_cbranch_execnz .LBB6_7983
.LBB6_6444:                             ;   in Loop: Header=BB6_5734 Depth=3
	s_or_b32 exec_lo, exec_lo, s31
	s_and_saveexec_b32 s17, s13
	s_cbranch_execz .LBB6_6446
.LBB6_6445:                             ;   in Loop: Header=BB6_5734 Depth=3
	v_and_b32_e32 v33, 7, v34
	v_bfe_u32 v63, v34, 3, 4
	v_lshlrev_b32_e32 v72, 24, v34
	s_delay_alu instid0(VALU_DEP_3) | instskip(NEXT) | instid1(VALU_DEP_3)
	v_clz_i32_u32_e32 v61, v33
	v_cmp_eq_u32_e32 vcc_lo, 0, v63
	s_delay_alu instid0(VALU_DEP_2) | instskip(NEXT) | instid1(VALU_DEP_1)
	v_min_u32_e32 v61, 32, v61
	v_subrev_nc_u32_e32 v62, 28, v61
	v_sub_nc_u32_e32 v61, 29, v61
	s_delay_alu instid0(VALU_DEP_1) | instskip(NEXT) | instid1(VALU_DEP_1)
	v_dual_cndmask_b32 v61, v63, v61 :: v_dual_lshlrev_b32 v62, v62, v34
	v_and_b32_e32 v62, 7, v62
	s_delay_alu instid0(VALU_DEP_2) | instskip(NEXT) | instid1(VALU_DEP_2)
	v_lshl_add_u32 v61, v61, 23, 0x3b800000
	v_dual_cndmask_b32 v33, v33, v62 :: v_dual_and_b32 v62, 0x80000000, v72
	s_delay_alu instid0(VALU_DEP_1) | instskip(NEXT) | instid1(VALU_DEP_1)
	v_lshlrev_b32_e32 v33, 20, v33
	v_or3_b32 v61, v62, v61, v33
.LBB6_6446:                             ;   in Loop: Header=BB6_5734 Depth=3
	s_or_b32 exec_lo, exec_lo, s17
	v_and_b32_e32 v62, 0xff, v26
	s_mov_b32 s13, 0
	s_mov_b32 s31, exec_lo
                                        ; implicit-def: $sgpr17
	s_delay_alu instid0(VALU_DEP_1)
	v_cmpx_lt_i16_e32 0x7f, v62
	s_xor_b32 s31, exec_lo, s31
	s_cbranch_execnz .LBB6_7984
; %bb.6447:                             ;   in Loop: Header=BB6_5734 Depth=3
	s_or_saveexec_b32 s31, s31
	v_mov_b32_e32 v33, s17
	s_xor_b32 exec_lo, exec_lo, s31
	s_cbranch_execnz .LBB6_7987
.LBB6_6448:                             ;   in Loop: Header=BB6_5734 Depth=3
	s_or_b32 exec_lo, exec_lo, s31
	s_and_saveexec_b32 s17, s13
	s_cbranch_execz .LBB6_6450
.LBB6_6449:                             ;   in Loop: Header=BB6_5734 Depth=3
	v_and_b32_e32 v33, 7, v26
	v_bfe_u32 v72, v26, 3, 4
	v_lshlrev_b32_e32 v73, 24, v26
	s_delay_alu instid0(VALU_DEP_3) | instskip(NEXT) | instid1(VALU_DEP_3)
	v_clz_i32_u32_e32 v62, v33
	v_cmp_eq_u32_e32 vcc_lo, 0, v72
	s_delay_alu instid0(VALU_DEP_2) | instskip(NEXT) | instid1(VALU_DEP_1)
	v_min_u32_e32 v62, 32, v62
	v_subrev_nc_u32_e32 v63, 28, v62
	v_sub_nc_u32_e32 v62, 29, v62
	s_delay_alu instid0(VALU_DEP_2) | instskip(NEXT) | instid1(VALU_DEP_1)
	v_lshlrev_b32_e32 v63, v63, v26
	v_dual_cndmask_b32 v62, v72, v62 :: v_dual_and_b32 v63, 7, v63
	s_delay_alu instid0(VALU_DEP_1) | instskip(NEXT) | instid1(VALU_DEP_2)
	v_lshl_add_u32 v62, v62, 23, 0x3b800000
	v_cndmask_b32_e32 v33, v33, v63, vcc_lo
	v_and_b32_e32 v63, 0x80000000, v73
	s_delay_alu instid0(VALU_DEP_2) | instskip(NEXT) | instid1(VALU_DEP_1)
	v_lshlrev_b32_e32 v33, 20, v33
	v_or3_b32 v33, v63, v62, v33
.LBB6_6450:                             ;   in Loop: Header=BB6_5734 Depth=3
	s_or_b32 exec_lo, exec_lo, s17
	s_delay_alu instid0(VALU_DEP_1) | instskip(SKIP_1) | instid1(VALU_DEP_1)
	v_max_f32_e32 v33, v33, v33
	v_max_f32_e32 v61, v61, v61
	v_min_f32_e32 v61, v61, v33
.LBB6_6451:                             ;   in Loop: Header=BB6_5734 Depth=3
	s_delay_alu instid0(VALU_DEP_1) | instskip(NEXT) | instid1(VALU_DEP_1)
	v_and_b32_e32 v33, 0x7f800000, v61
	v_cmp_ne_u32_e32 vcc_lo, 0x7f800000, v33
	v_mov_b32_e32 v33, 0x80
	s_and_saveexec_b32 s17, vcc_lo
	s_cbranch_execz .LBB6_6459
; %bb.6452:                             ;   in Loop: Header=BB6_5734 Depth=3
	v_mov_b32_e32 v33, 0
	s_mov_b32 s31, exec_lo
	v_cmpx_ne_u32_e32 0, v61
	s_cbranch_execz .LBB6_6458
; %bb.6453:                             ;   in Loop: Header=BB6_5734 Depth=3
	v_bfe_u32 v33, v61, 23, 8
	s_delay_alu instid0(VALU_DEP_1) | instskip(SKIP_1) | instid1(VALU_DEP_2)
	v_sub_nc_u32_e32 v63, 0x78, v33
	v_cmp_gt_u32_e32 vcc_lo, 0x79, v33
	v_dual_cndmask_b32 v63, 0, v63 :: v_dual_and_b32 v62, 0x7fffff, v61
	s_delay_alu instid0(VALU_DEP_1) | instskip(SKIP_2) | instid1(VALU_DEP_4)
	v_or_b32_e32 v72, 0x800000, v62
	v_cmp_eq_u32_e32 vcc_lo, 0, v33
	v_add_nc_u32_e32 v33, 0xffffff89, v33
	v_cndmask_b32_e64 v63, v63, 0x77, vcc_lo
	s_delay_alu instid0(VALU_DEP_4) | instskip(NEXT) | instid1(VALU_DEP_3)
	v_cndmask_b32_e32 v62, v72, v62, vcc_lo
	v_cndmask_b32_e64 v33, v33, 0xffffff8a, vcc_lo
	s_delay_alu instid0(VALU_DEP_3) | instskip(NEXT) | instid1(VALU_DEP_3)
	v_lshl_add_u32 v72, 0x100000, v63, -1
	v_lshrrev_b32_e32 v73, v63, v62
	v_lshlrev_b32_e64 v75, v63, 0x80000
	s_delay_alu instid0(VALU_DEP_4) | instskip(NEXT) | instid1(VALU_DEP_4)
	v_add_nc_u32_e32 v63, v63, v33
	v_and_b32_e32 v62, v72, v62
	s_delay_alu instid0(VALU_DEP_4) | instskip(NEXT) | instid1(VALU_DEP_2)
	v_bfe_u32 v74, v73, 20, 1
	v_cmp_eq_u32_e64 s13, v62, v75
	s_delay_alu instid0(VALU_DEP_2) | instskip(NEXT) | instid1(VALU_DEP_1)
	v_add_nc_u32_e32 v72, -1, v74
	v_cndmask_b32_e64 v62, 0, v72, s13
	v_lshrrev_b32_e32 v72, 23, v73
	s_mov_b32 s13, exec_lo
	s_delay_alu instid0(VALU_DEP_2) | instskip(NEXT) | instid1(VALU_DEP_2)
	v_add_nc_u32_e32 v62, v62, v73
	v_xor_b32_e32 v72, 1, v72
	s_delay_alu instid0(VALU_DEP_2) | instskip(NEXT) | instid1(VALU_DEP_1)
	v_and_b32_e32 v33, 0xfffff, v62
	v_add_nc_u32_e32 v62, v33, v73
                                        ; implicit-def: $vgpr33
	s_delay_alu instid0(VALU_DEP_3)
	v_cmpx_ne_u32_e64 v63, v72
	s_xor_b32 s13, exec_lo, s13
; %bb.6454:                             ;   in Loop: Header=BB6_5734 Depth=3
	s_delay_alu instid0(VALU_DEP_2) | instskip(SKIP_2) | instid1(VALU_DEP_2)
	v_cmp_lt_u32_e32 vcc_lo, 0xffffff, v62
	v_sub_nc_u32_e32 v33, v63, v72
	v_cndmask_b32_e64 v63, 0, 1, vcc_lo
	v_add_co_ci_u32_e32 v33, vcc_lo, 0, v33, vcc_lo
	s_delay_alu instid0(VALU_DEP_2)
	v_lshrrev_b32_e32 v62, v63, v62
; %bb.6455:                             ;   in Loop: Header=BB6_5734 Depth=3
	s_and_not1_saveexec_b32 s13, s13
; %bb.6456:                             ;   in Loop: Header=BB6_5734 Depth=3
	s_delay_alu instid0(VALU_DEP_1)
	v_bfe_u32 v33, v62, 23, 1
; %bb.6457:                             ;   in Loop: Header=BB6_5734 Depth=3
	s_or_b32 exec_lo, exec_lo, s13
	v_lshrrev_b32_e32 v62, 20, v62
	s_delay_alu instid0(VALU_DEP_2) | instskip(SKIP_2) | instid1(VALU_DEP_2)
	v_cmp_gt_i32_e32 vcc_lo, 16, v33
	v_lshrrev_b32_e32 v61, 24, v61
	v_min_i32_e32 v63, 15, v33
	v_dual_cndmask_b32 v62, 7, v62 :: v_dual_and_b32 v61, 0x80, v61
	s_delay_alu instid0(VALU_DEP_2) | instskip(NEXT) | instid1(VALU_DEP_2)
	v_lshlrev_b32_e32 v63, 3, v63
	v_or_b32_e32 v33, v33, v62
	s_delay_alu instid0(VALU_DEP_1) | instskip(SKIP_1) | instid1(VALU_DEP_1)
	v_cmp_ne_u32_e32 vcc_lo, 0, v33
	v_and_b32_e32 v72, 7, v62
	v_or3_b32 v61, v63, v61, v72
	s_delay_alu instid0(VALU_DEP_1)
	v_cndmask_b32_e32 v33, 0, v61, vcc_lo
.LBB6_6458:                             ;   in Loop: Header=BB6_5734 Depth=3
	s_or_b32 exec_lo, exec_lo, s31
.LBB6_6459:                             ;   in Loop: Header=BB6_5734 Depth=3
	s_delay_alu instid0(SALU_CYCLE_1) | instskip(SKIP_3) | instid1(VALU_DEP_2)
	s_or_b32 exec_lo, exec_lo, s17
	v_lshrrev_b16 v62, 8, v34
	v_lshrrev_b16 v61, 8, v26
	s_and_not1_b32 vcc_lo, exec_lo, s16
	v_cmp_lt_i16_e64 s13, 0x7f, v62
	s_cbranch_vccnz .LBB6_6469
; %bb.6460:                             ;   in Loop: Header=BB6_5734 Depth=3
	s_mov_b32 s17, 0
                                        ; implicit-def: $sgpr31
	s_delay_alu instid0(VALU_DEP_1) | instskip(NEXT) | instid1(SALU_CYCLE_1)
	s_and_saveexec_b32 vcc_lo, s13
	s_xor_b32 s13, exec_lo, vcc_lo
	s_cbranch_execnz .LBB6_7988
; %bb.6461:                             ;   in Loop: Header=BB6_5734 Depth=3
	s_or_saveexec_b32 s13, s13
	v_mov_b32_e32 v63, s31
	s_xor_b32 exec_lo, exec_lo, s13
	s_cbranch_execnz .LBB6_7991
.LBB6_6462:                             ;   in Loop: Header=BB6_5734 Depth=3
	s_or_b32 exec_lo, exec_lo, s13
	s_and_saveexec_b32 s13, s17
	s_cbranch_execz .LBB6_6464
.LBB6_6463:                             ;   in Loop: Header=BB6_5734 Depth=3
	v_and_b32_e32 v63, 0xffff, v62
	v_lshlrev_b32_e32 v75, 16, v34
	s_delay_alu instid0(VALU_DEP_2) | instskip(NEXT) | instid1(VALU_DEP_1)
	v_and_b32_e32 v72, 7, v63
	v_clz_i32_u32_e32 v73, v72
	s_delay_alu instid0(VALU_DEP_1) | instskip(NEXT) | instid1(VALU_DEP_1)
	v_min_u32_e32 v73, 32, v73
	v_subrev_nc_u32_e32 v74, 28, v73
	v_sub_nc_u32_e32 v73, 29, v73
	s_delay_alu instid0(VALU_DEP_2) | instskip(SKIP_1) | instid1(VALU_DEP_2)
	v_lshlrev_b32_e32 v74, v74, v63
	v_bfe_u32 v63, v63, 3, 4
	v_and_b32_e32 v74, 7, v74
	s_delay_alu instid0(VALU_DEP_2) | instskip(NEXT) | instid1(VALU_DEP_2)
	v_cmp_eq_u32_e32 vcc_lo, 0, v63
	v_dual_cndmask_b32 v63, v63, v73 :: v_dual_cndmask_b32 v72, v72, v74
	v_and_b32_e32 v73, 0x80000000, v75
	s_delay_alu instid0(VALU_DEP_2) | instskip(NEXT) | instid1(VALU_DEP_3)
	v_lshl_add_u32 v63, v63, 23, 0x3b800000
	v_lshlrev_b32_e32 v72, 20, v72
	s_delay_alu instid0(VALU_DEP_1)
	v_or3_b32 v63, v73, v63, v72
.LBB6_6464:                             ;   in Loop: Header=BB6_5734 Depth=3
	s_or_b32 exec_lo, exec_lo, s13
	s_mov_b32 s13, 0
	s_mov_b32 s31, exec_lo
                                        ; implicit-def: $sgpr17
	v_cmpx_lt_i16_e32 0x7f, v61
	s_xor_b32 s31, exec_lo, s31
	s_cbranch_execnz .LBB6_7992
; %bb.6465:                             ;   in Loop: Header=BB6_5734 Depth=3
	s_or_saveexec_b32 s31, s31
	v_mov_b32_e32 v72, s17
	s_xor_b32 exec_lo, exec_lo, s31
	s_cbranch_execnz .LBB6_7995
.LBB6_6466:                             ;   in Loop: Header=BB6_5734 Depth=3
	s_or_b32 exec_lo, exec_lo, s31
	s_and_saveexec_b32 s17, s13
	s_cbranch_execz .LBB6_6468
.LBB6_6467:                             ;   in Loop: Header=BB6_5734 Depth=3
	v_and_b32_e32 v72, 0xffff, v61
	v_lshlrev_b32_e32 v76, 16, v26
	s_delay_alu instid0(VALU_DEP_2) | instskip(NEXT) | instid1(VALU_DEP_1)
	v_and_b32_e32 v73, 7, v72
	v_clz_i32_u32_e32 v74, v73
	s_delay_alu instid0(VALU_DEP_1) | instskip(NEXT) | instid1(VALU_DEP_1)
	v_min_u32_e32 v74, 32, v74
	v_subrev_nc_u32_e32 v75, 28, v74
	v_sub_nc_u32_e32 v74, 29, v74
	s_delay_alu instid0(VALU_DEP_2) | instskip(SKIP_1) | instid1(VALU_DEP_2)
	v_lshlrev_b32_e32 v75, v75, v72
	v_bfe_u32 v72, v72, 3, 4
	v_and_b32_e32 v75, 7, v75
	s_delay_alu instid0(VALU_DEP_2) | instskip(NEXT) | instid1(VALU_DEP_2)
	v_cmp_eq_u32_e32 vcc_lo, 0, v72
	v_dual_cndmask_b32 v72, v72, v74 :: v_dual_cndmask_b32 v73, v73, v75
	v_and_b32_e32 v74, 0x80000000, v76
	s_delay_alu instid0(VALU_DEP_2) | instskip(NEXT) | instid1(VALU_DEP_3)
	v_lshl_add_u32 v72, v72, 23, 0x3b800000
	v_lshlrev_b32_e32 v73, 20, v73
	s_delay_alu instid0(VALU_DEP_1)
	v_or3_b32 v72, v74, v72, v73
.LBB6_6468:                             ;   in Loop: Header=BB6_5734 Depth=3
	s_or_b32 exec_lo, exec_lo, s17
	s_delay_alu instid0(VALU_DEP_1) | instskip(SKIP_1) | instid1(VALU_DEP_1)
	v_dual_max_f32 v72, v72, v72 :: v_dual_max_f32 v63, v63, v63
	s_mov_b32 s13, 0
	v_max_f32_e32 v63, v63, v72
	s_branch .LBB6_6470
.LBB6_6469:                             ;   in Loop: Header=BB6_5734 Depth=3
	s_mov_b32 s13, -1
                                        ; implicit-def: $vgpr63
.LBB6_6470:                             ;   in Loop: Header=BB6_5734 Depth=3
	s_delay_alu instid0(SALU_CYCLE_1)
	s_and_b32 vcc_lo, exec_lo, s13
	s_cbranch_vccz .LBB6_6480
; %bb.6471:                             ;   in Loop: Header=BB6_5734 Depth=3
	s_mov_b32 s13, 0
	s_mov_b32 s31, exec_lo
                                        ; implicit-def: $sgpr17
	v_cmpx_lt_i16_e32 0x7f, v62
	s_xor_b32 s31, exec_lo, s31
	s_cbranch_execnz .LBB6_7996
; %bb.6472:                             ;   in Loop: Header=BB6_5734 Depth=3
	s_or_saveexec_b32 s31, s31
	v_mov_b32_e32 v63, s17
	s_xor_b32 exec_lo, exec_lo, s31
	s_cbranch_execnz .LBB6_7999
.LBB6_6473:                             ;   in Loop: Header=BB6_5734 Depth=3
	s_or_b32 exec_lo, exec_lo, s31
	s_and_saveexec_b32 s17, s13
	s_cbranch_execz .LBB6_6475
.LBB6_6474:                             ;   in Loop: Header=BB6_5734 Depth=3
	v_and_b32_e32 v62, 0xffff, v62
	v_lshlrev_b32_e32 v74, 16, v34
	s_delay_alu instid0(VALU_DEP_2) | instskip(NEXT) | instid1(VALU_DEP_1)
	v_and_b32_e32 v63, 7, v62
	v_clz_i32_u32_e32 v72, v63
	s_delay_alu instid0(VALU_DEP_1) | instskip(NEXT) | instid1(VALU_DEP_1)
	v_min_u32_e32 v72, 32, v72
	v_subrev_nc_u32_e32 v73, 28, v72
	v_sub_nc_u32_e32 v72, 29, v72
	s_delay_alu instid0(VALU_DEP_2) | instskip(SKIP_1) | instid1(VALU_DEP_2)
	v_lshlrev_b32_e32 v73, v73, v62
	v_bfe_u32 v62, v62, 3, 4
	v_and_b32_e32 v73, 7, v73
	s_delay_alu instid0(VALU_DEP_2) | instskip(NEXT) | instid1(VALU_DEP_2)
	v_cmp_eq_u32_e32 vcc_lo, 0, v62
	v_dual_cndmask_b32 v62, v62, v72 :: v_dual_cndmask_b32 v63, v63, v73
	v_and_b32_e32 v72, 0x80000000, v74
	s_delay_alu instid0(VALU_DEP_2) | instskip(NEXT) | instid1(VALU_DEP_3)
	v_lshl_add_u32 v62, v62, 23, 0x3b800000
	v_lshlrev_b32_e32 v63, 20, v63
	s_delay_alu instid0(VALU_DEP_1)
	v_or3_b32 v63, v72, v62, v63
.LBB6_6475:                             ;   in Loop: Header=BB6_5734 Depth=3
	s_or_b32 exec_lo, exec_lo, s17
	s_mov_b32 s13, 0
	s_mov_b32 s31, exec_lo
                                        ; implicit-def: $sgpr17
	v_cmpx_lt_i16_e32 0x7f, v61
	s_xor_b32 s31, exec_lo, s31
	s_cbranch_execnz .LBB6_8000
; %bb.6476:                             ;   in Loop: Header=BB6_5734 Depth=3
	s_or_saveexec_b32 s31, s31
	v_mov_b32_e32 v62, s17
	s_xor_b32 exec_lo, exec_lo, s31
	s_cbranch_execnz .LBB6_8003
.LBB6_6477:                             ;   in Loop: Header=BB6_5734 Depth=3
	s_or_b32 exec_lo, exec_lo, s31
	s_and_saveexec_b32 s17, s13
	s_cbranch_execz .LBB6_6479
.LBB6_6478:                             ;   in Loop: Header=BB6_5734 Depth=3
	v_and_b32_e32 v61, 0xffff, v61
	v_lshlrev_b32_e32 v74, 16, v26
	s_delay_alu instid0(VALU_DEP_2) | instskip(NEXT) | instid1(VALU_DEP_1)
	v_and_b32_e32 v62, 7, v61
	v_clz_i32_u32_e32 v72, v62
	s_delay_alu instid0(VALU_DEP_1) | instskip(NEXT) | instid1(VALU_DEP_1)
	v_min_u32_e32 v72, 32, v72
	v_subrev_nc_u32_e32 v73, 28, v72
	v_sub_nc_u32_e32 v72, 29, v72
	s_delay_alu instid0(VALU_DEP_2) | instskip(SKIP_1) | instid1(VALU_DEP_2)
	v_lshlrev_b32_e32 v73, v73, v61
	v_bfe_u32 v61, v61, 3, 4
	v_and_b32_e32 v73, 7, v73
	s_delay_alu instid0(VALU_DEP_2) | instskip(NEXT) | instid1(VALU_DEP_2)
	v_cmp_eq_u32_e32 vcc_lo, 0, v61
	v_dual_cndmask_b32 v61, v61, v72 :: v_dual_cndmask_b32 v62, v62, v73
	v_and_b32_e32 v72, 0x80000000, v74
	s_delay_alu instid0(VALU_DEP_2) | instskip(NEXT) | instid1(VALU_DEP_3)
	v_lshl_add_u32 v61, v61, 23, 0x3b800000
	v_lshlrev_b32_e32 v62, 20, v62
	s_delay_alu instid0(VALU_DEP_1)
	v_or3_b32 v62, v72, v61, v62
.LBB6_6479:                             ;   in Loop: Header=BB6_5734 Depth=3
	s_or_b32 exec_lo, exec_lo, s17
	s_delay_alu instid0(VALU_DEP_1) | instskip(NEXT) | instid1(VALU_DEP_1)
	v_dual_max_f32 v61, v62, v62 :: v_dual_max_f32 v62, v63, v63
	v_min_f32_e32 v63, v62, v61
.LBB6_6480:                             ;   in Loop: Header=BB6_5734 Depth=3
	s_delay_alu instid0(VALU_DEP_1) | instskip(NEXT) | instid1(VALU_DEP_1)
	v_and_b32_e32 v61, 0x7f800000, v63
	v_cmp_ne_u32_e32 vcc_lo, 0x7f800000, v61
	v_mov_b32_e32 v61, 0x80
	s_and_saveexec_b32 s17, vcc_lo
	s_cbranch_execz .LBB6_6488
; %bb.6481:                             ;   in Loop: Header=BB6_5734 Depth=3
	v_mov_b32_e32 v61, 0
	s_mov_b32 s31, exec_lo
	v_cmpx_ne_u32_e32 0, v63
	s_cbranch_execz .LBB6_6487
; %bb.6482:                             ;   in Loop: Header=BB6_5734 Depth=3
	v_bfe_u32 v61, v63, 23, 8
	v_and_b32_e32 v62, 0x7fffff, v63
	s_delay_alu instid0(VALU_DEP_2) | instskip(SKIP_1) | instid1(VALU_DEP_3)
	v_sub_nc_u32_e32 v72, 0x78, v61
	v_cmp_gt_u32_e32 vcc_lo, 0x79, v61
	v_or_b32_e32 v73, 0x800000, v62
	s_delay_alu instid0(VALU_DEP_3) | instskip(SKIP_2) | instid1(VALU_DEP_3)
	v_cndmask_b32_e32 v72, 0, v72, vcc_lo
	v_cmp_eq_u32_e32 vcc_lo, 0, v61
	v_add_nc_u32_e32 v61, 0xffffff89, v61
	v_cndmask_b32_e64 v72, v72, 0x77, vcc_lo
	v_cndmask_b32_e32 v62, v73, v62, vcc_lo
	s_delay_alu instid0(VALU_DEP_3) | instskip(NEXT) | instid1(VALU_DEP_3)
	v_cndmask_b32_e64 v61, v61, 0xffffff8a, vcc_lo
	v_lshl_add_u32 v73, 0x100000, v72, -1
	s_delay_alu instid0(VALU_DEP_3) | instskip(SKIP_1) | instid1(VALU_DEP_4)
	v_lshrrev_b32_e32 v74, v72, v62
	v_lshlrev_b32_e64 v76, v72, 0x80000
	v_add_nc_u32_e32 v72, v72, v61
	s_delay_alu instid0(VALU_DEP_4) | instskip(NEXT) | instid1(VALU_DEP_4)
	v_and_b32_e32 v62, v73, v62
	v_bfe_u32 v75, v74, 20, 1
	s_delay_alu instid0(VALU_DEP_2) | instskip(NEXT) | instid1(VALU_DEP_2)
	v_cmp_eq_u32_e64 s13, v62, v76
	v_add_nc_u32_e32 v73, -1, v75
	s_delay_alu instid0(VALU_DEP_1) | instskip(SKIP_2) | instid1(VALU_DEP_2)
	v_cndmask_b32_e64 v62, 0, v73, s13
	v_lshrrev_b32_e32 v73, 23, v74
	s_mov_b32 s13, exec_lo
	v_add_nc_u32_e32 v62, v62, v74
	s_delay_alu instid0(VALU_DEP_2) | instskip(NEXT) | instid1(VALU_DEP_2)
	v_xor_b32_e32 v73, 1, v73
	v_and_b32_e32 v61, 0xfffff, v62
	s_delay_alu instid0(VALU_DEP_1) | instskip(NEXT) | instid1(VALU_DEP_3)
	v_add_nc_u32_e32 v62, v61, v74
                                        ; implicit-def: $vgpr61
	v_cmpx_ne_u32_e64 v72, v73
	s_xor_b32 s13, exec_lo, s13
; %bb.6483:                             ;   in Loop: Header=BB6_5734 Depth=3
	s_delay_alu instid0(VALU_DEP_2) | instskip(SKIP_2) | instid1(VALU_DEP_2)
	v_cmp_lt_u32_e32 vcc_lo, 0xffffff, v62
	v_sub_nc_u32_e32 v61, v72, v73
	v_cndmask_b32_e64 v72, 0, 1, vcc_lo
	v_add_co_ci_u32_e32 v61, vcc_lo, 0, v61, vcc_lo
	s_delay_alu instid0(VALU_DEP_2)
	v_lshrrev_b32_e32 v62, v72, v62
; %bb.6484:                             ;   in Loop: Header=BB6_5734 Depth=3
	s_and_not1_saveexec_b32 s13, s13
; %bb.6485:                             ;   in Loop: Header=BB6_5734 Depth=3
	s_delay_alu instid0(VALU_DEP_1)
	v_bfe_u32 v61, v62, 23, 1
; %bb.6486:                             ;   in Loop: Header=BB6_5734 Depth=3
	s_or_b32 exec_lo, exec_lo, s13
	v_lshrrev_b32_e32 v62, 20, v62
	s_delay_alu instid0(VALU_DEP_2) | instskip(SKIP_2) | instid1(VALU_DEP_2)
	v_cmp_gt_i32_e32 vcc_lo, 16, v61
	v_lshrrev_b32_e32 v63, 24, v63
	v_min_i32_e32 v72, 15, v61
	v_dual_cndmask_b32 v62, 7, v62 :: v_dual_and_b32 v63, 0x80, v63
	s_delay_alu instid0(VALU_DEP_1) | instskip(SKIP_1) | instid1(VALU_DEP_2)
	v_or_b32_e32 v61, v61, v62
	v_and_b32_e32 v73, 7, v62
	v_cmp_ne_u32_e32 vcc_lo, 0, v61
	v_lshlrev_b32_e32 v72, 3, v72
	s_delay_alu instid0(VALU_DEP_1) | instskip(NEXT) | instid1(VALU_DEP_1)
	v_or3_b32 v62, v72, v63, v73
	v_cndmask_b32_e32 v61, 0, v62, vcc_lo
.LBB6_6487:                             ;   in Loop: Header=BB6_5734 Depth=3
	s_or_b32 exec_lo, exec_lo, s31
.LBB6_6488:                             ;   in Loop: Header=BB6_5734 Depth=3
	s_delay_alu instid0(SALU_CYCLE_1) | instskip(SKIP_3) | instid1(VALU_DEP_2)
	s_or_b32 exec_lo, exec_lo, s17
	v_lshrrev_b32_e32 v63, 16, v34
	v_lshrrev_b32_e32 v62, 16, v26
	s_and_not1_b32 vcc_lo, exec_lo, s16
	v_and_b32_e32 v72, 0xff, v63
	s_delay_alu instid0(VALU_DEP_1)
	v_cmp_lt_i16_e64 s13, 0x7f, v72
	s_cbranch_vccnz .LBB6_6498
; %bb.6489:                             ;   in Loop: Header=BB6_5734 Depth=3
	s_mov_b32 s17, 0
                                        ; implicit-def: $sgpr31
	s_delay_alu instid0(VALU_DEP_1) | instskip(NEXT) | instid1(SALU_CYCLE_1)
	s_and_saveexec_b32 vcc_lo, s13
	s_xor_b32 s13, exec_lo, vcc_lo
	s_cbranch_execnz .LBB6_8004
; %bb.6490:                             ;   in Loop: Header=BB6_5734 Depth=3
	s_or_saveexec_b32 s13, s13
	v_mov_b32_e32 v73, s31
	s_xor_b32 exec_lo, exec_lo, s13
	s_cbranch_execnz .LBB6_8007
.LBB6_6491:                             ;   in Loop: Header=BB6_5734 Depth=3
	s_or_b32 exec_lo, exec_lo, s13
	s_and_saveexec_b32 s13, s17
	s_cbranch_execz .LBB6_6493
.LBB6_6492:                             ;   in Loop: Header=BB6_5734 Depth=3
	v_bfe_u32 v73, v34, 16, 3
	v_bfe_u32 v76, v34, 19, 4
	v_lshlrev_b32_e32 v77, 24, v63
	s_delay_alu instid0(VALU_DEP_3) | instskip(NEXT) | instid1(VALU_DEP_3)
	v_clz_i32_u32_e32 v74, v73
	v_cmp_eq_u32_e32 vcc_lo, 0, v76
	s_delay_alu instid0(VALU_DEP_2) | instskip(NEXT) | instid1(VALU_DEP_1)
	v_min_u32_e32 v74, 32, v74
	v_subrev_nc_u32_e32 v75, 28, v74
	v_sub_nc_u32_e32 v74, 29, v74
	s_delay_alu instid0(VALU_DEP_1) | instskip(NEXT) | instid1(VALU_DEP_1)
	v_dual_cndmask_b32 v74, v76, v74 :: v_dual_lshlrev_b32 v75, v75, v63
	v_and_b32_e32 v75, 7, v75
	s_delay_alu instid0(VALU_DEP_2) | instskip(NEXT) | instid1(VALU_DEP_2)
	v_lshl_add_u32 v74, v74, 23, 0x3b800000
	v_cndmask_b32_e32 v73, v73, v75, vcc_lo
	v_and_b32_e32 v75, 0x80000000, v77
	s_delay_alu instid0(VALU_DEP_2) | instskip(NEXT) | instid1(VALU_DEP_1)
	v_lshlrev_b32_e32 v73, 20, v73
	v_or3_b32 v73, v75, v74, v73
.LBB6_6493:                             ;   in Loop: Header=BB6_5734 Depth=3
	s_or_b32 exec_lo, exec_lo, s13
	v_and_b32_e32 v75, 0xff, v62
	s_mov_b32 s13, 0
	s_mov_b32 s31, exec_lo
                                        ; implicit-def: $sgpr17
	s_delay_alu instid0(VALU_DEP_1)
	v_cmpx_lt_i16_e32 0x7f, v75
	s_xor_b32 s31, exec_lo, s31
	s_cbranch_execnz .LBB6_8008
; %bb.6494:                             ;   in Loop: Header=BB6_5734 Depth=3
	s_or_saveexec_b32 s31, s31
	v_mov_b32_e32 v74, s17
	s_xor_b32 exec_lo, exec_lo, s31
	s_cbranch_execnz .LBB6_8011
.LBB6_6495:                             ;   in Loop: Header=BB6_5734 Depth=3
	s_or_b32 exec_lo, exec_lo, s31
	s_and_saveexec_b32 s17, s13
	s_cbranch_execz .LBB6_6497
.LBB6_6496:                             ;   in Loop: Header=BB6_5734 Depth=3
	v_bfe_u32 v74, v26, 16, 3
	v_bfe_u32 v77, v26, 19, 4
	v_lshlrev_b32_e32 v78, 24, v62
	s_delay_alu instid0(VALU_DEP_3) | instskip(NEXT) | instid1(VALU_DEP_3)
	v_clz_i32_u32_e32 v75, v74
	v_cmp_eq_u32_e32 vcc_lo, 0, v77
	s_delay_alu instid0(VALU_DEP_2) | instskip(NEXT) | instid1(VALU_DEP_1)
	v_min_u32_e32 v75, 32, v75
	v_subrev_nc_u32_e32 v76, 28, v75
	v_sub_nc_u32_e32 v75, 29, v75
	s_delay_alu instid0(VALU_DEP_1) | instskip(NEXT) | instid1(VALU_DEP_1)
	v_dual_cndmask_b32 v75, v77, v75 :: v_dual_lshlrev_b32 v76, v76, v62
	v_and_b32_e32 v76, 7, v76
	s_delay_alu instid0(VALU_DEP_2) | instskip(NEXT) | instid1(VALU_DEP_2)
	v_lshl_add_u32 v75, v75, 23, 0x3b800000
	v_cndmask_b32_e32 v74, v74, v76, vcc_lo
	v_and_b32_e32 v76, 0x80000000, v78
	s_delay_alu instid0(VALU_DEP_2) | instskip(NEXT) | instid1(VALU_DEP_1)
	v_lshlrev_b32_e32 v74, 20, v74
	v_or3_b32 v74, v76, v75, v74
.LBB6_6497:                             ;   in Loop: Header=BB6_5734 Depth=3
	s_or_b32 exec_lo, exec_lo, s17
	s_delay_alu instid0(VALU_DEP_1) | instskip(SKIP_1) | instid1(VALU_DEP_1)
	v_dual_max_f32 v74, v74, v74 :: v_dual_max_f32 v73, v73, v73
	s_mov_b32 s13, 0
	v_max_f32_e32 v73, v73, v74
	s_branch .LBB6_6499
.LBB6_6498:                             ;   in Loop: Header=BB6_5734 Depth=3
	s_mov_b32 s13, -1
                                        ; implicit-def: $vgpr73
.LBB6_6499:                             ;   in Loop: Header=BB6_5734 Depth=3
	s_delay_alu instid0(SALU_CYCLE_1)
	s_and_b32 vcc_lo, exec_lo, s13
	s_cbranch_vccz .LBB6_6509
; %bb.6500:                             ;   in Loop: Header=BB6_5734 Depth=3
	s_mov_b32 s13, 0
	s_mov_b32 s31, exec_lo
                                        ; implicit-def: $sgpr17
	v_cmpx_lt_i16_e32 0x7f, v72
	s_xor_b32 s31, exec_lo, s31
	s_cbranch_execnz .LBB6_8012
; %bb.6501:                             ;   in Loop: Header=BB6_5734 Depth=3
	s_or_saveexec_b32 s31, s31
	v_mov_b32_e32 v73, s17
	s_xor_b32 exec_lo, exec_lo, s31
	s_cbranch_execnz .LBB6_8015
.LBB6_6502:                             ;   in Loop: Header=BB6_5734 Depth=3
	s_or_b32 exec_lo, exec_lo, s31
	s_and_saveexec_b32 s17, s13
	s_cbranch_execz .LBB6_6504
.LBB6_6503:                             ;   in Loop: Header=BB6_5734 Depth=3
	v_bfe_u32 v72, v34, 16, 3
	v_bfe_u32 v75, v34, 19, 4
	s_delay_alu instid0(VALU_DEP_2) | instskip(NEXT) | instid1(VALU_DEP_2)
	v_clz_i32_u32_e32 v73, v72
	v_cmp_eq_u32_e32 vcc_lo, 0, v75
	s_delay_alu instid0(VALU_DEP_2) | instskip(NEXT) | instid1(VALU_DEP_1)
	v_min_u32_e32 v73, 32, v73
	v_subrev_nc_u32_e32 v74, 28, v73
	v_sub_nc_u32_e32 v73, 29, v73
	s_delay_alu instid0(VALU_DEP_1) | instskip(NEXT) | instid1(VALU_DEP_1)
	v_dual_cndmask_b32 v73, v75, v73 :: v_dual_lshlrev_b32 v74, v74, v63
	v_and_b32_e32 v74, 7, v74
	v_lshlrev_b32_e32 v63, 24, v63
	s_delay_alu instid0(VALU_DEP_3) | instskip(NEXT) | instid1(VALU_DEP_2)
	v_lshl_add_u32 v73, v73, 23, 0x3b800000
	v_dual_cndmask_b32 v72, v72, v74 :: v_dual_and_b32 v63, 0x80000000, v63
	s_delay_alu instid0(VALU_DEP_1) | instskip(NEXT) | instid1(VALU_DEP_1)
	v_lshlrev_b32_e32 v72, 20, v72
	v_or3_b32 v73, v63, v73, v72
.LBB6_6504:                             ;   in Loop: Header=BB6_5734 Depth=3
	s_or_b32 exec_lo, exec_lo, s17
	v_and_b32_e32 v72, 0xff, v62
	s_mov_b32 s13, 0
	s_mov_b32 s31, exec_lo
                                        ; implicit-def: $sgpr17
	s_delay_alu instid0(VALU_DEP_1)
	v_cmpx_lt_i16_e32 0x7f, v72
	s_xor_b32 s31, exec_lo, s31
	s_cbranch_execnz .LBB6_8016
; %bb.6505:                             ;   in Loop: Header=BB6_5734 Depth=3
	s_or_saveexec_b32 s31, s31
	v_mov_b32_e32 v63, s17
	s_xor_b32 exec_lo, exec_lo, s31
	s_cbranch_execnz .LBB6_8019
.LBB6_6506:                             ;   in Loop: Header=BB6_5734 Depth=3
	s_or_b32 exec_lo, exec_lo, s31
	s_and_saveexec_b32 s17, s13
	s_cbranch_execz .LBB6_6508
.LBB6_6507:                             ;   in Loop: Header=BB6_5734 Depth=3
	v_bfe_u32 v63, v26, 16, 3
	v_bfe_u32 v75, v26, 19, 4
	s_delay_alu instid0(VALU_DEP_2) | instskip(NEXT) | instid1(VALU_DEP_2)
	v_clz_i32_u32_e32 v72, v63
	v_cmp_eq_u32_e32 vcc_lo, 0, v75
	s_delay_alu instid0(VALU_DEP_2) | instskip(NEXT) | instid1(VALU_DEP_1)
	v_min_u32_e32 v72, 32, v72
	v_subrev_nc_u32_e32 v74, 28, v72
	v_sub_nc_u32_e32 v72, 29, v72
	s_delay_alu instid0(VALU_DEP_2) | instskip(SKIP_1) | instid1(VALU_DEP_2)
	v_lshlrev_b32_e32 v74, v74, v62
	v_lshlrev_b32_e32 v62, 24, v62
	v_and_b32_e32 v74, 7, v74
	s_delay_alu instid0(VALU_DEP_2) | instskip(NEXT) | instid1(VALU_DEP_2)
	v_and_b32_e32 v62, 0x80000000, v62
	v_cndmask_b32_e32 v63, v63, v74, vcc_lo
	s_delay_alu instid0(VALU_DEP_1) | instskip(NEXT) | instid1(VALU_DEP_1)
	v_dual_cndmask_b32 v72, v75, v72 :: v_dual_lshlrev_b32 v63, 20, v63
	v_lshl_add_u32 v72, v72, 23, 0x3b800000
	s_delay_alu instid0(VALU_DEP_1)
	v_or3_b32 v63, v62, v72, v63
.LBB6_6508:                             ;   in Loop: Header=BB6_5734 Depth=3
	s_or_b32 exec_lo, exec_lo, s17
	s_delay_alu instid0(VALU_DEP_1) | instskip(NEXT) | instid1(VALU_DEP_1)
	v_dual_max_f32 v62, v63, v63 :: v_dual_max_f32 v63, v73, v73
	v_min_f32_e32 v73, v63, v62
.LBB6_6509:                             ;   in Loop: Header=BB6_5734 Depth=3
	s_delay_alu instid0(VALU_DEP_1) | instskip(NEXT) | instid1(VALU_DEP_1)
	v_and_b32_e32 v62, 0x7f800000, v73
	v_cmp_ne_u32_e32 vcc_lo, 0x7f800000, v62
	v_mov_b32_e32 v62, 0x80
	s_and_saveexec_b32 s17, vcc_lo
	s_cbranch_execz .LBB6_6517
; %bb.6510:                             ;   in Loop: Header=BB6_5734 Depth=3
	v_mov_b32_e32 v62, 0
	s_mov_b32 s31, exec_lo
	v_cmpx_ne_u32_e32 0, v73
	s_cbranch_execz .LBB6_6516
; %bb.6511:                             ;   in Loop: Header=BB6_5734 Depth=3
	v_bfe_u32 v62, v73, 23, 8
	s_delay_alu instid0(VALU_DEP_1) | instskip(SKIP_1) | instid1(VALU_DEP_2)
	v_sub_nc_u32_e32 v72, 0x78, v62
	v_cmp_gt_u32_e32 vcc_lo, 0x79, v62
	v_dual_cndmask_b32 v72, 0, v72 :: v_dual_and_b32 v63, 0x7fffff, v73
	s_delay_alu instid0(VALU_DEP_1) | instskip(SKIP_2) | instid1(VALU_DEP_4)
	v_or_b32_e32 v74, 0x800000, v63
	v_cmp_eq_u32_e32 vcc_lo, 0, v62
	v_add_nc_u32_e32 v62, 0xffffff89, v62
	v_cndmask_b32_e64 v72, v72, 0x77, vcc_lo
	s_delay_alu instid0(VALU_DEP_4) | instskip(NEXT) | instid1(VALU_DEP_3)
	v_cndmask_b32_e32 v63, v74, v63, vcc_lo
	v_cndmask_b32_e64 v62, v62, 0xffffff8a, vcc_lo
	s_delay_alu instid0(VALU_DEP_3) | instskip(NEXT) | instid1(VALU_DEP_3)
	v_lshl_add_u32 v74, 0x100000, v72, -1
	v_lshrrev_b32_e32 v75, v72, v63
	v_lshlrev_b32_e64 v77, v72, 0x80000
	s_delay_alu instid0(VALU_DEP_4) | instskip(NEXT) | instid1(VALU_DEP_4)
	v_add_nc_u32_e32 v72, v72, v62
	v_and_b32_e32 v63, v74, v63
	s_delay_alu instid0(VALU_DEP_4) | instskip(NEXT) | instid1(VALU_DEP_2)
	v_bfe_u32 v76, v75, 20, 1
	v_cmp_eq_u32_e64 s13, v63, v77
	s_delay_alu instid0(VALU_DEP_2) | instskip(NEXT) | instid1(VALU_DEP_1)
	v_add_nc_u32_e32 v74, -1, v76
	v_cndmask_b32_e64 v63, 0, v74, s13
	v_lshrrev_b32_e32 v74, 23, v75
	s_mov_b32 s13, exec_lo
	s_delay_alu instid0(VALU_DEP_2) | instskip(NEXT) | instid1(VALU_DEP_2)
	v_add_nc_u32_e32 v63, v63, v75
	v_xor_b32_e32 v74, 1, v74
	s_delay_alu instid0(VALU_DEP_2) | instskip(NEXT) | instid1(VALU_DEP_1)
	v_and_b32_e32 v62, 0xfffff, v63
	v_add_nc_u32_e32 v63, v62, v75
                                        ; implicit-def: $vgpr62
	s_delay_alu instid0(VALU_DEP_3)
	v_cmpx_ne_u32_e64 v72, v74
	s_xor_b32 s13, exec_lo, s13
; %bb.6512:                             ;   in Loop: Header=BB6_5734 Depth=3
	s_delay_alu instid0(VALU_DEP_2) | instskip(SKIP_2) | instid1(VALU_DEP_2)
	v_cmp_lt_u32_e32 vcc_lo, 0xffffff, v63
	v_sub_nc_u32_e32 v62, v72, v74
	v_cndmask_b32_e64 v72, 0, 1, vcc_lo
	v_add_co_ci_u32_e32 v62, vcc_lo, 0, v62, vcc_lo
	s_delay_alu instid0(VALU_DEP_2)
	v_lshrrev_b32_e32 v63, v72, v63
; %bb.6513:                             ;   in Loop: Header=BB6_5734 Depth=3
	s_and_not1_saveexec_b32 s13, s13
; %bb.6514:                             ;   in Loop: Header=BB6_5734 Depth=3
	s_delay_alu instid0(VALU_DEP_1)
	v_bfe_u32 v62, v63, 23, 1
; %bb.6515:                             ;   in Loop: Header=BB6_5734 Depth=3
	s_or_b32 exec_lo, exec_lo, s13
	v_lshrrev_b32_e32 v63, 20, v63
	s_delay_alu instid0(VALU_DEP_2) | instskip(SKIP_2) | instid1(VALU_DEP_2)
	v_cmp_gt_i32_e32 vcc_lo, 16, v62
	v_lshrrev_b32_e32 v72, 24, v73
	v_min_i32_e32 v73, 15, v62
	v_dual_cndmask_b32 v63, 7, v63 :: v_dual_and_b32 v72, 0x80, v72
	s_delay_alu instid0(VALU_DEP_1) | instskip(SKIP_1) | instid1(VALU_DEP_2)
	v_or_b32_e32 v62, v62, v63
	v_and_b32_e32 v74, 7, v63
	v_cmp_ne_u32_e32 vcc_lo, 0, v62
	v_lshlrev_b32_e32 v73, 3, v73
	s_delay_alu instid0(VALU_DEP_1) | instskip(NEXT) | instid1(VALU_DEP_1)
	v_or3_b32 v63, v73, v72, v74
	v_cndmask_b32_e32 v62, 0, v63, vcc_lo
.LBB6_6516:                             ;   in Loop: Header=BB6_5734 Depth=3
	s_or_b32 exec_lo, exec_lo, s31
.LBB6_6517:                             ;   in Loop: Header=BB6_5734 Depth=3
	s_delay_alu instid0(SALU_CYCLE_1) | instskip(SKIP_3) | instid1(VALU_DEP_2)
	s_or_b32 exec_lo, exec_lo, s17
	v_lshrrev_b32_e32 v72, 24, v34
	v_lshrrev_b32_e32 v63, 24, v26
	s_and_not1_b32 vcc_lo, exec_lo, s16
	v_cmp_lt_i16_e64 s13, 0x7f, v72
	s_cbranch_vccnz .LBB6_6527
; %bb.6518:                             ;   in Loop: Header=BB6_5734 Depth=3
	s_mov_b32 s17, 0
                                        ; implicit-def: $sgpr31
	s_delay_alu instid0(VALU_DEP_1) | instskip(NEXT) | instid1(SALU_CYCLE_1)
	s_and_saveexec_b32 vcc_lo, s13
	s_xor_b32 s13, exec_lo, vcc_lo
	s_cbranch_execnz .LBB6_8020
; %bb.6519:                             ;   in Loop: Header=BB6_5734 Depth=3
	s_or_saveexec_b32 s13, s13
	v_mov_b32_e32 v73, s31
	s_xor_b32 exec_lo, exec_lo, s13
	s_cbranch_execnz .LBB6_8023
.LBB6_6520:                             ;   in Loop: Header=BB6_5734 Depth=3
	s_or_b32 exec_lo, exec_lo, s13
	s_and_saveexec_b32 s13, s17
	s_cbranch_execz .LBB6_6522
.LBB6_6521:                             ;   in Loop: Header=BB6_5734 Depth=3
	v_bfe_u32 v73, v34, 24, 3
	v_bfe_u32 v76, v34, 27, 4
	s_delay_alu instid0(VALU_DEP_2) | instskip(NEXT) | instid1(VALU_DEP_2)
	v_clz_i32_u32_e32 v74, v73
	v_cmp_eq_u32_e32 vcc_lo, 0, v76
	s_delay_alu instid0(VALU_DEP_2) | instskip(NEXT) | instid1(VALU_DEP_1)
	v_min_u32_e32 v74, 32, v74
	v_subrev_nc_u32_e32 v75, 28, v74
	v_sub_nc_u32_e32 v74, 29, v74
	s_delay_alu instid0(VALU_DEP_1) | instskip(NEXT) | instid1(VALU_DEP_1)
	v_dual_cndmask_b32 v74, v76, v74 :: v_dual_lshlrev_b32 v75, v75, v72
	v_and_b32_e32 v75, 7, v75
	s_delay_alu instid0(VALU_DEP_2) | instskip(NEXT) | instid1(VALU_DEP_2)
	v_lshl_add_u32 v74, v74, 23, 0x3b800000
	v_cndmask_b32_e32 v73, v73, v75, vcc_lo
	v_and_b32_e32 v75, 0x80000000, v34
	s_delay_alu instid0(VALU_DEP_2) | instskip(NEXT) | instid1(VALU_DEP_1)
	v_lshlrev_b32_e32 v73, 20, v73
	v_or3_b32 v73, v75, v74, v73
.LBB6_6522:                             ;   in Loop: Header=BB6_5734 Depth=3
	s_or_b32 exec_lo, exec_lo, s13
	s_mov_b32 s13, 0
	s_mov_b32 s31, exec_lo
                                        ; implicit-def: $sgpr17
	v_cmpx_lt_i16_e32 0x7f, v63
	s_xor_b32 s31, exec_lo, s31
	s_cbranch_execnz .LBB6_8024
; %bb.6523:                             ;   in Loop: Header=BB6_5734 Depth=3
	s_or_saveexec_b32 s31, s31
	v_mov_b32_e32 v74, s17
	s_xor_b32 exec_lo, exec_lo, s31
	s_cbranch_execnz .LBB6_8027
.LBB6_6524:                             ;   in Loop: Header=BB6_5734 Depth=3
	s_or_b32 exec_lo, exec_lo, s31
	s_and_saveexec_b32 s17, s13
	s_cbranch_execz .LBB6_6526
.LBB6_6525:                             ;   in Loop: Header=BB6_5734 Depth=3
	v_bfe_u32 v74, v26, 24, 3
	v_bfe_u32 v77, v26, 27, 4
	s_delay_alu instid0(VALU_DEP_2) | instskip(NEXT) | instid1(VALU_DEP_2)
	v_clz_i32_u32_e32 v75, v74
	v_cmp_eq_u32_e32 vcc_lo, 0, v77
	s_delay_alu instid0(VALU_DEP_2) | instskip(NEXT) | instid1(VALU_DEP_1)
	v_min_u32_e32 v75, 32, v75
	v_subrev_nc_u32_e32 v76, 28, v75
	v_sub_nc_u32_e32 v75, 29, v75
	s_delay_alu instid0(VALU_DEP_2) | instskip(NEXT) | instid1(VALU_DEP_1)
	v_lshlrev_b32_e32 v76, v76, v63
	v_dual_cndmask_b32 v75, v77, v75 :: v_dual_and_b32 v76, 7, v76
	s_delay_alu instid0(VALU_DEP_1) | instskip(NEXT) | instid1(VALU_DEP_2)
	v_lshl_add_u32 v75, v75, 23, 0x3b800000
	v_cndmask_b32_e32 v74, v74, v76, vcc_lo
	v_and_b32_e32 v76, 0x80000000, v26
	s_delay_alu instid0(VALU_DEP_2) | instskip(NEXT) | instid1(VALU_DEP_1)
	v_lshlrev_b32_e32 v74, 20, v74
	v_or3_b32 v74, v76, v75, v74
.LBB6_6526:                             ;   in Loop: Header=BB6_5734 Depth=3
	s_or_b32 exec_lo, exec_lo, s17
	s_delay_alu instid0(VALU_DEP_1) | instskip(SKIP_1) | instid1(VALU_DEP_1)
	v_dual_max_f32 v74, v74, v74 :: v_dual_max_f32 v73, v73, v73
	s_mov_b32 s13, 0
	v_max_f32_e32 v73, v73, v74
	s_branch .LBB6_6528
.LBB6_6527:                             ;   in Loop: Header=BB6_5734 Depth=3
	s_mov_b32 s13, -1
                                        ; implicit-def: $vgpr73
.LBB6_6528:                             ;   in Loop: Header=BB6_5734 Depth=3
	s_delay_alu instid0(SALU_CYCLE_1)
	s_and_b32 vcc_lo, exec_lo, s13
	s_cbranch_vccz .LBB6_6538
; %bb.6529:                             ;   in Loop: Header=BB6_5734 Depth=3
	s_mov_b32 s13, 0
	s_mov_b32 s31, exec_lo
                                        ; implicit-def: $sgpr17
	v_cmpx_lt_i16_e32 0x7f, v72
	s_xor_b32 s31, exec_lo, s31
	s_cbranch_execnz .LBB6_8028
; %bb.6530:                             ;   in Loop: Header=BB6_5734 Depth=3
	s_or_saveexec_b32 s31, s31
	v_mov_b32_e32 v73, s17
	s_xor_b32 exec_lo, exec_lo, s31
	s_cbranch_execnz .LBB6_8031
.LBB6_6531:                             ;   in Loop: Header=BB6_5734 Depth=3
	s_or_b32 exec_lo, exec_lo, s31
	s_and_saveexec_b32 s17, s13
	s_cbranch_execz .LBB6_6533
.LBB6_6532:                             ;   in Loop: Header=BB6_5734 Depth=3
	v_bfe_u32 v73, v34, 24, 3
	s_delay_alu instid0(VALU_DEP_1) | instskip(NEXT) | instid1(VALU_DEP_1)
	v_clz_i32_u32_e32 v74, v73
	v_min_u32_e32 v74, 32, v74
	s_delay_alu instid0(VALU_DEP_1) | instskip(SKIP_1) | instid1(VALU_DEP_2)
	v_subrev_nc_u32_e32 v75, 28, v74
	v_sub_nc_u32_e32 v74, 29, v74
	v_lshlrev_b32_e32 v72, v75, v72
	v_bfe_u32 v75, v34, 27, 4
	v_and_b32_e32 v34, 0x80000000, v34
	s_delay_alu instid0(VALU_DEP_3) | instskip(NEXT) | instid1(VALU_DEP_3)
	v_and_b32_e32 v72, 7, v72
	v_cmp_eq_u32_e32 vcc_lo, 0, v75
	v_cndmask_b32_e32 v74, v75, v74, vcc_lo
	s_delay_alu instid0(VALU_DEP_3) | instskip(NEXT) | instid1(VALU_DEP_2)
	v_cndmask_b32_e32 v72, v73, v72, vcc_lo
	v_lshl_add_u32 v73, v74, 23, 0x3b800000
	s_delay_alu instid0(VALU_DEP_2) | instskip(NEXT) | instid1(VALU_DEP_1)
	v_lshlrev_b32_e32 v72, 20, v72
	v_or3_b32 v73, v34, v73, v72
.LBB6_6533:                             ;   in Loop: Header=BB6_5734 Depth=3
	s_or_b32 exec_lo, exec_lo, s17
	s_mov_b32 s13, 0
	s_mov_b32 s31, exec_lo
                                        ; implicit-def: $sgpr17
	v_cmpx_lt_i16_e32 0x7f, v63
	s_xor_b32 s31, exec_lo, s31
	s_cbranch_execnz .LBB6_8032
; %bb.6534:                             ;   in Loop: Header=BB6_5734 Depth=3
	s_or_saveexec_b32 s31, s31
	v_mov_b32_e32 v34, s17
	s_xor_b32 exec_lo, exec_lo, s31
	s_cbranch_execnz .LBB6_8035
.LBB6_6535:                             ;   in Loop: Header=BB6_5734 Depth=3
	s_or_b32 exec_lo, exec_lo, s31
	s_and_saveexec_b32 s17, s13
	s_cbranch_execz .LBB6_6537
.LBB6_6536:                             ;   in Loop: Header=BB6_5734 Depth=3
	v_bfe_u32 v34, v26, 24, 3
	s_delay_alu instid0(VALU_DEP_1) | instskip(NEXT) | instid1(VALU_DEP_1)
	v_clz_i32_u32_e32 v72, v34
	v_min_u32_e32 v72, 32, v72
	s_delay_alu instid0(VALU_DEP_1) | instskip(SKIP_1) | instid1(VALU_DEP_2)
	v_subrev_nc_u32_e32 v74, 28, v72
	v_sub_nc_u32_e32 v72, 29, v72
	v_lshlrev_b32_e32 v63, v74, v63
	v_bfe_u32 v74, v26, 27, 4
	v_and_b32_e32 v26, 0x80000000, v26
	s_delay_alu instid0(VALU_DEP_2) | instskip(NEXT) | instid1(VALU_DEP_4)
	v_cmp_eq_u32_e32 vcc_lo, 0, v74
	v_dual_cndmask_b32 v72, v74, v72 :: v_dual_and_b32 v63, 7, v63
	s_delay_alu instid0(VALU_DEP_1) | instskip(NEXT) | instid1(VALU_DEP_2)
	v_cndmask_b32_e32 v34, v34, v63, vcc_lo
	v_lshl_add_u32 v63, v72, 23, 0x3b800000
	s_delay_alu instid0(VALU_DEP_2) | instskip(NEXT) | instid1(VALU_DEP_1)
	v_lshlrev_b32_e32 v34, 20, v34
	v_or3_b32 v34, v26, v63, v34
.LBB6_6537:                             ;   in Loop: Header=BB6_5734 Depth=3
	s_or_b32 exec_lo, exec_lo, s17
	s_delay_alu instid0(VALU_DEP_1) | instskip(SKIP_1) | instid1(VALU_DEP_1)
	v_max_f32_e32 v26, v34, v34
	v_max_f32_e32 v34, v73, v73
	v_min_f32_e32 v73, v34, v26
.LBB6_6538:                             ;   in Loop: Header=BB6_5734 Depth=3
	s_delay_alu instid0(VALU_DEP_1) | instskip(NEXT) | instid1(VALU_DEP_1)
	v_and_b32_e32 v26, 0x7f800000, v73
	v_cmp_ne_u32_e32 vcc_lo, 0x7f800000, v26
	v_mov_b32_e32 v26, 0x80
	s_and_saveexec_b32 s17, vcc_lo
	s_cbranch_execz .LBB6_6546
; %bb.6539:                             ;   in Loop: Header=BB6_5734 Depth=3
	v_mov_b32_e32 v26, 0
	s_mov_b32 s31, exec_lo
	v_cmpx_ne_u32_e32 0, v73
	s_cbranch_execz .LBB6_6545
; %bb.6540:                             ;   in Loop: Header=BB6_5734 Depth=3
	v_bfe_u32 v26, v73, 23, 8
	s_delay_alu instid0(VALU_DEP_1) | instskip(SKIP_1) | instid1(VALU_DEP_2)
	v_sub_nc_u32_e32 v63, 0x78, v26
	v_cmp_gt_u32_e32 vcc_lo, 0x79, v26
	v_dual_cndmask_b32 v63, 0, v63 :: v_dual_and_b32 v34, 0x7fffff, v73
	s_delay_alu instid0(VALU_DEP_1) | instskip(SKIP_2) | instid1(VALU_DEP_4)
	v_or_b32_e32 v72, 0x800000, v34
	v_cmp_eq_u32_e32 vcc_lo, 0, v26
	v_add_nc_u32_e32 v26, 0xffffff89, v26
	v_cndmask_b32_e64 v63, v63, 0x77, vcc_lo
	s_delay_alu instid0(VALU_DEP_4) | instskip(NEXT) | instid1(VALU_DEP_3)
	v_cndmask_b32_e32 v34, v72, v34, vcc_lo
	v_cndmask_b32_e64 v26, v26, 0xffffff8a, vcc_lo
	s_delay_alu instid0(VALU_DEP_3) | instskip(NEXT) | instid1(VALU_DEP_3)
	v_lshl_add_u32 v72, 0x100000, v63, -1
	v_lshrrev_b32_e32 v74, v63, v34
	v_lshlrev_b32_e64 v76, v63, 0x80000
	s_delay_alu instid0(VALU_DEP_4) | instskip(NEXT) | instid1(VALU_DEP_4)
	v_add_nc_u32_e32 v63, v63, v26
	v_and_b32_e32 v34, v72, v34
	s_delay_alu instid0(VALU_DEP_4) | instskip(NEXT) | instid1(VALU_DEP_2)
	v_bfe_u32 v75, v74, 20, 1
	v_cmp_eq_u32_e64 s13, v34, v76
	s_delay_alu instid0(VALU_DEP_2) | instskip(NEXT) | instid1(VALU_DEP_1)
	v_add_nc_u32_e32 v72, -1, v75
	v_cndmask_b32_e64 v34, 0, v72, s13
	v_lshrrev_b32_e32 v72, 23, v74
	s_mov_b32 s13, exec_lo
	s_delay_alu instid0(VALU_DEP_2) | instskip(NEXT) | instid1(VALU_DEP_2)
	v_add_nc_u32_e32 v34, v34, v74
	v_xor_b32_e32 v72, 1, v72
	s_delay_alu instid0(VALU_DEP_2) | instskip(NEXT) | instid1(VALU_DEP_1)
	v_and_b32_e32 v26, 0xfffff, v34
	v_add_nc_u32_e32 v34, v26, v74
                                        ; implicit-def: $vgpr26
	s_delay_alu instid0(VALU_DEP_3)
	v_cmpx_ne_u32_e64 v63, v72
	s_xor_b32 s13, exec_lo, s13
; %bb.6541:                             ;   in Loop: Header=BB6_5734 Depth=3
	s_delay_alu instid0(VALU_DEP_2) | instskip(SKIP_2) | instid1(VALU_DEP_2)
	v_cmp_lt_u32_e32 vcc_lo, 0xffffff, v34
	v_sub_nc_u32_e32 v26, v63, v72
	v_cndmask_b32_e64 v63, 0, 1, vcc_lo
	v_add_co_ci_u32_e32 v26, vcc_lo, 0, v26, vcc_lo
	s_delay_alu instid0(VALU_DEP_2)
	v_lshrrev_b32_e32 v34, v63, v34
; %bb.6542:                             ;   in Loop: Header=BB6_5734 Depth=3
	s_and_not1_saveexec_b32 s13, s13
; %bb.6543:                             ;   in Loop: Header=BB6_5734 Depth=3
	s_delay_alu instid0(VALU_DEP_1)
	v_bfe_u32 v26, v34, 23, 1
; %bb.6544:                             ;   in Loop: Header=BB6_5734 Depth=3
	s_or_b32 exec_lo, exec_lo, s13
	v_lshrrev_b32_e32 v34, 20, v34
	s_delay_alu instid0(VALU_DEP_2) | instskip(SKIP_2) | instid1(VALU_DEP_2)
	v_cmp_gt_i32_e32 vcc_lo, 16, v26
	v_lshrrev_b32_e32 v63, 24, v73
	v_min_i32_e32 v72, 15, v26
	v_dual_cndmask_b32 v34, 7, v34 :: v_dual_and_b32 v63, 0x80, v63
	s_delay_alu instid0(VALU_DEP_2) | instskip(NEXT) | instid1(VALU_DEP_2)
	v_lshlrev_b32_e32 v72, 3, v72
	v_and_b32_e32 v73, 7, v34
	v_or_b32_e32 v26, v26, v34
	s_delay_alu instid0(VALU_DEP_2) | instskip(NEXT) | instid1(VALU_DEP_2)
	v_or3_b32 v34, v72, v63, v73
	v_cmp_ne_u32_e32 vcc_lo, 0, v26
	s_delay_alu instid0(VALU_DEP_2)
	v_cndmask_b32_e32 v26, 0, v34, vcc_lo
.LBB6_6545:                             ;   in Loop: Header=BB6_5734 Depth=3
	s_or_b32 exec_lo, exec_lo, s31
.LBB6_6546:                             ;   in Loop: Header=BB6_5734 Depth=3
	s_delay_alu instid0(SALU_CYCLE_1) | instskip(SKIP_2) | instid1(VALU_DEP_1)
	s_or_b32 exec_lo, exec_lo, s17
	v_and_b32_e32 v34, 0xff, v35
	s_and_not1_b32 vcc_lo, exec_lo, s16
	v_cmp_lt_i16_e64 s13, 0x7f, v34
	s_cbranch_vccnz .LBB6_6556
; %bb.6547:                             ;   in Loop: Header=BB6_5734 Depth=3
	s_mov_b32 s17, 0
                                        ; implicit-def: $sgpr31
	s_delay_alu instid0(VALU_DEP_1) | instskip(NEXT) | instid1(SALU_CYCLE_1)
	s_and_saveexec_b32 vcc_lo, s13
	s_xor_b32 s13, exec_lo, vcc_lo
	s_cbranch_execnz .LBB6_8036
; %bb.6548:                             ;   in Loop: Header=BB6_5734 Depth=3
	s_or_saveexec_b32 s13, s13
	v_mov_b32_e32 v63, s31
	s_xor_b32 exec_lo, exec_lo, s13
	s_cbranch_execnz .LBB6_8039
.LBB6_6549:                             ;   in Loop: Header=BB6_5734 Depth=3
	s_or_b32 exec_lo, exec_lo, s13
	s_and_saveexec_b32 s13, s17
	s_cbranch_execz .LBB6_6551
.LBB6_6550:                             ;   in Loop: Header=BB6_5734 Depth=3
	v_bfe_u32 v74, v35, 3, 4
	v_lshlrev_b32_e32 v75, 24, v35
	s_delay_alu instid0(VALU_DEP_2) | instskip(SKIP_1) | instid1(VALU_DEP_1)
	v_cmp_eq_u32_e32 vcc_lo, 0, v74
	v_and_b32_e32 v63, 7, v35
	v_clz_i32_u32_e32 v72, v63
	s_delay_alu instid0(VALU_DEP_1) | instskip(NEXT) | instid1(VALU_DEP_1)
	v_min_u32_e32 v72, 32, v72
	v_subrev_nc_u32_e32 v73, 28, v72
	v_sub_nc_u32_e32 v72, 29, v72
	s_delay_alu instid0(VALU_DEP_1) | instskip(NEXT) | instid1(VALU_DEP_1)
	v_dual_cndmask_b32 v72, v74, v72 :: v_dual_lshlrev_b32 v73, v73, v35
	v_and_b32_e32 v73, 7, v73
	s_delay_alu instid0(VALU_DEP_2) | instskip(NEXT) | instid1(VALU_DEP_2)
	v_lshl_add_u32 v72, v72, 23, 0x3b800000
	v_cndmask_b32_e32 v63, v63, v73, vcc_lo
	v_and_b32_e32 v73, 0x80000000, v75
	s_delay_alu instid0(VALU_DEP_2) | instskip(NEXT) | instid1(VALU_DEP_1)
	v_lshlrev_b32_e32 v63, 20, v63
	v_or3_b32 v63, v73, v72, v63
.LBB6_6551:                             ;   in Loop: Header=BB6_5734 Depth=3
	s_or_b32 exec_lo, exec_lo, s13
	v_and_b32_e32 v73, 0xff, v27
	s_mov_b32 s13, 0
	s_mov_b32 s31, exec_lo
                                        ; implicit-def: $sgpr17
	s_delay_alu instid0(VALU_DEP_1)
	v_cmpx_lt_i16_e32 0x7f, v73
	s_xor_b32 s31, exec_lo, s31
	s_cbranch_execnz .LBB6_8040
; %bb.6552:                             ;   in Loop: Header=BB6_5734 Depth=3
	s_or_saveexec_b32 s31, s31
	v_mov_b32_e32 v72, s17
	s_xor_b32 exec_lo, exec_lo, s31
	s_cbranch_execnz .LBB6_8043
.LBB6_6553:                             ;   in Loop: Header=BB6_5734 Depth=3
	s_or_b32 exec_lo, exec_lo, s31
	s_and_saveexec_b32 s17, s13
	s_cbranch_execz .LBB6_6555
.LBB6_6554:                             ;   in Loop: Header=BB6_5734 Depth=3
	v_bfe_u32 v75, v27, 3, 4
	v_lshlrev_b32_e32 v76, 24, v27
	s_delay_alu instid0(VALU_DEP_2) | instskip(SKIP_1) | instid1(VALU_DEP_1)
	v_cmp_eq_u32_e32 vcc_lo, 0, v75
	v_and_b32_e32 v72, 7, v27
	v_clz_i32_u32_e32 v73, v72
	s_delay_alu instid0(VALU_DEP_1) | instskip(NEXT) | instid1(VALU_DEP_1)
	v_min_u32_e32 v73, 32, v73
	v_subrev_nc_u32_e32 v74, 28, v73
	v_sub_nc_u32_e32 v73, 29, v73
	s_delay_alu instid0(VALU_DEP_1) | instskip(NEXT) | instid1(VALU_DEP_1)
	v_dual_cndmask_b32 v73, v75, v73 :: v_dual_lshlrev_b32 v74, v74, v27
	v_and_b32_e32 v74, 7, v74
	s_delay_alu instid0(VALU_DEP_2) | instskip(NEXT) | instid1(VALU_DEP_2)
	v_lshl_add_u32 v73, v73, 23, 0x3b800000
	v_cndmask_b32_e32 v72, v72, v74, vcc_lo
	v_and_b32_e32 v74, 0x80000000, v76
	s_delay_alu instid0(VALU_DEP_2) | instskip(NEXT) | instid1(VALU_DEP_1)
	v_lshlrev_b32_e32 v72, 20, v72
	v_or3_b32 v72, v74, v73, v72
.LBB6_6555:                             ;   in Loop: Header=BB6_5734 Depth=3
	s_or_b32 exec_lo, exec_lo, s17
	s_delay_alu instid0(VALU_DEP_1) | instskip(SKIP_1) | instid1(VALU_DEP_1)
	v_dual_max_f32 v72, v72, v72 :: v_dual_max_f32 v63, v63, v63
	s_mov_b32 s13, 0
	v_max_f32_e32 v63, v63, v72
	s_branch .LBB6_6557
.LBB6_6556:                             ;   in Loop: Header=BB6_5734 Depth=3
	s_mov_b32 s13, -1
                                        ; implicit-def: $vgpr63
.LBB6_6557:                             ;   in Loop: Header=BB6_5734 Depth=3
	s_delay_alu instid0(SALU_CYCLE_1)
	s_and_b32 vcc_lo, exec_lo, s13
	s_cbranch_vccz .LBB6_6567
; %bb.6558:                             ;   in Loop: Header=BB6_5734 Depth=3
	s_mov_b32 s13, 0
	s_mov_b32 s31, exec_lo
                                        ; implicit-def: $sgpr17
	v_cmpx_lt_i16_e32 0x7f, v34
	s_xor_b32 s31, exec_lo, s31
	s_cbranch_execnz .LBB6_8044
; %bb.6559:                             ;   in Loop: Header=BB6_5734 Depth=3
	s_or_saveexec_b32 s31, s31
	v_mov_b32_e32 v63, s17
	s_xor_b32 exec_lo, exec_lo, s31
	s_cbranch_execnz .LBB6_8047
.LBB6_6560:                             ;   in Loop: Header=BB6_5734 Depth=3
	s_or_b32 exec_lo, exec_lo, s31
	s_and_saveexec_b32 s17, s13
	s_cbranch_execz .LBB6_6562
.LBB6_6561:                             ;   in Loop: Header=BB6_5734 Depth=3
	v_and_b32_e32 v34, 7, v35
	v_bfe_u32 v73, v35, 3, 4
	v_lshlrev_b32_e32 v74, 24, v35
	s_delay_alu instid0(VALU_DEP_3) | instskip(NEXT) | instid1(VALU_DEP_3)
	v_clz_i32_u32_e32 v63, v34
	v_cmp_eq_u32_e32 vcc_lo, 0, v73
	s_delay_alu instid0(VALU_DEP_2) | instskip(NEXT) | instid1(VALU_DEP_1)
	v_min_u32_e32 v63, 32, v63
	v_subrev_nc_u32_e32 v72, 28, v63
	v_sub_nc_u32_e32 v63, 29, v63
	s_delay_alu instid0(VALU_DEP_2) | instskip(NEXT) | instid1(VALU_DEP_1)
	v_lshlrev_b32_e32 v72, v72, v35
	v_dual_cndmask_b32 v63, v73, v63 :: v_dual_and_b32 v72, 7, v72
	s_delay_alu instid0(VALU_DEP_1) | instskip(NEXT) | instid1(VALU_DEP_2)
	v_lshl_add_u32 v63, v63, 23, 0x3b800000
	v_cndmask_b32_e32 v34, v34, v72, vcc_lo
	v_and_b32_e32 v72, 0x80000000, v74
	s_delay_alu instid0(VALU_DEP_2) | instskip(NEXT) | instid1(VALU_DEP_1)
	v_lshlrev_b32_e32 v34, 20, v34
	v_or3_b32 v63, v72, v63, v34
.LBB6_6562:                             ;   in Loop: Header=BB6_5734 Depth=3
	s_or_b32 exec_lo, exec_lo, s17
	v_and_b32_e32 v72, 0xff, v27
	s_mov_b32 s13, 0
	s_mov_b32 s31, exec_lo
                                        ; implicit-def: $sgpr17
	s_delay_alu instid0(VALU_DEP_1)
	v_cmpx_lt_i16_e32 0x7f, v72
	s_xor_b32 s31, exec_lo, s31
	s_cbranch_execnz .LBB6_8048
; %bb.6563:                             ;   in Loop: Header=BB6_5734 Depth=3
	s_or_saveexec_b32 s31, s31
	v_mov_b32_e32 v34, s17
	s_xor_b32 exec_lo, exec_lo, s31
	s_cbranch_execnz .LBB6_8051
.LBB6_6564:                             ;   in Loop: Header=BB6_5734 Depth=3
	s_or_b32 exec_lo, exec_lo, s31
	s_and_saveexec_b32 s17, s13
	s_cbranch_execz .LBB6_6566
.LBB6_6565:                             ;   in Loop: Header=BB6_5734 Depth=3
	v_and_b32_e32 v34, 7, v27
	v_bfe_u32 v74, v27, 3, 4
	s_delay_alu instid0(VALU_DEP_2) | instskip(NEXT) | instid1(VALU_DEP_2)
	v_clz_i32_u32_e32 v72, v34
	v_cmp_eq_u32_e32 vcc_lo, 0, v74
	s_delay_alu instid0(VALU_DEP_2) | instskip(NEXT) | instid1(VALU_DEP_1)
	v_min_u32_e32 v72, 32, v72
	v_subrev_nc_u32_e32 v73, 28, v72
	v_sub_nc_u32_e32 v72, 29, v72
	s_delay_alu instid0(VALU_DEP_1) | instskip(NEXT) | instid1(VALU_DEP_1)
	v_dual_cndmask_b32 v72, v74, v72 :: v_dual_lshlrev_b32 v73, v73, v27
	v_and_b32_e32 v73, 7, v73
	v_lshlrev_b32_e32 v75, 24, v27
	s_delay_alu instid0(VALU_DEP_3) | instskip(NEXT) | instid1(VALU_DEP_2)
	v_lshl_add_u32 v72, v72, 23, 0x3b800000
	v_dual_cndmask_b32 v34, v34, v73 :: v_dual_and_b32 v73, 0x80000000, v75
	s_delay_alu instid0(VALU_DEP_1) | instskip(NEXT) | instid1(VALU_DEP_1)
	v_lshlrev_b32_e32 v34, 20, v34
	v_or3_b32 v34, v73, v72, v34
.LBB6_6566:                             ;   in Loop: Header=BB6_5734 Depth=3
	s_or_b32 exec_lo, exec_lo, s17
	s_delay_alu instid0(VALU_DEP_1) | instskip(NEXT) | instid1(VALU_DEP_1)
	v_dual_max_f32 v34, v34, v34 :: v_dual_max_f32 v63, v63, v63
	v_min_f32_e32 v63, v63, v34
.LBB6_6567:                             ;   in Loop: Header=BB6_5734 Depth=3
	s_delay_alu instid0(VALU_DEP_1) | instskip(NEXT) | instid1(VALU_DEP_1)
	v_and_b32_e32 v34, 0x7f800000, v63
	v_cmp_ne_u32_e32 vcc_lo, 0x7f800000, v34
	v_mov_b32_e32 v34, 0x80
	s_and_saveexec_b32 s17, vcc_lo
	s_cbranch_execz .LBB6_6575
; %bb.6568:                             ;   in Loop: Header=BB6_5734 Depth=3
	v_mov_b32_e32 v34, 0
	s_mov_b32 s31, exec_lo
	v_cmpx_ne_u32_e32 0, v63
	s_cbranch_execz .LBB6_6574
; %bb.6569:                             ;   in Loop: Header=BB6_5734 Depth=3
	v_bfe_u32 v34, v63, 23, 8
	s_delay_alu instid0(VALU_DEP_1) | instskip(SKIP_1) | instid1(VALU_DEP_2)
	v_sub_nc_u32_e32 v73, 0x78, v34
	v_cmp_gt_u32_e32 vcc_lo, 0x79, v34
	v_dual_cndmask_b32 v73, 0, v73 :: v_dual_and_b32 v72, 0x7fffff, v63
	s_delay_alu instid0(VALU_DEP_1) | instskip(SKIP_2) | instid1(VALU_DEP_4)
	v_or_b32_e32 v74, 0x800000, v72
	v_cmp_eq_u32_e32 vcc_lo, 0, v34
	v_add_nc_u32_e32 v34, 0xffffff89, v34
	v_cndmask_b32_e64 v73, v73, 0x77, vcc_lo
	s_delay_alu instid0(VALU_DEP_2) | instskip(SKIP_1) | instid1(VALU_DEP_3)
	v_cndmask_b32_e64 v34, v34, 0xffffff8a, vcc_lo
	v_cndmask_b32_e32 v72, v74, v72, vcc_lo
	v_lshl_add_u32 v74, 0x100000, v73, -1
	v_lshlrev_b32_e64 v77, v73, 0x80000
	s_delay_alu instid0(VALU_DEP_3) | instskip(SKIP_1) | instid1(VALU_DEP_4)
	v_lshrrev_b32_e32 v75, v73, v72
	v_add_nc_u32_e32 v73, v73, v34
	v_and_b32_e32 v72, v74, v72
	s_delay_alu instid0(VALU_DEP_3) | instskip(NEXT) | instid1(VALU_DEP_2)
	v_bfe_u32 v76, v75, 20, 1
	v_cmp_eq_u32_e64 s13, v72, v77
	s_delay_alu instid0(VALU_DEP_2) | instskip(NEXT) | instid1(VALU_DEP_1)
	v_add_nc_u32_e32 v74, -1, v76
	v_cndmask_b32_e64 v72, 0, v74, s13
	v_lshrrev_b32_e32 v74, 23, v75
	s_mov_b32 s13, exec_lo
	s_delay_alu instid0(VALU_DEP_2) | instskip(NEXT) | instid1(VALU_DEP_2)
	v_add_nc_u32_e32 v72, v72, v75
	v_xor_b32_e32 v74, 1, v74
	s_delay_alu instid0(VALU_DEP_2) | instskip(NEXT) | instid1(VALU_DEP_1)
	v_and_b32_e32 v34, 0xfffff, v72
	v_add_nc_u32_e32 v72, v34, v75
                                        ; implicit-def: $vgpr34
	s_delay_alu instid0(VALU_DEP_3)
	v_cmpx_ne_u32_e64 v73, v74
	s_xor_b32 s13, exec_lo, s13
; %bb.6570:                             ;   in Loop: Header=BB6_5734 Depth=3
	s_delay_alu instid0(VALU_DEP_2) | instskip(SKIP_2) | instid1(VALU_DEP_2)
	v_cmp_lt_u32_e32 vcc_lo, 0xffffff, v72
	v_sub_nc_u32_e32 v34, v73, v74
	v_cndmask_b32_e64 v73, 0, 1, vcc_lo
	v_add_co_ci_u32_e32 v34, vcc_lo, 0, v34, vcc_lo
	s_delay_alu instid0(VALU_DEP_2)
	v_lshrrev_b32_e32 v72, v73, v72
; %bb.6571:                             ;   in Loop: Header=BB6_5734 Depth=3
	s_and_not1_saveexec_b32 s13, s13
; %bb.6572:                             ;   in Loop: Header=BB6_5734 Depth=3
	s_delay_alu instid0(VALU_DEP_1)
	v_bfe_u32 v34, v72, 23, 1
; %bb.6573:                             ;   in Loop: Header=BB6_5734 Depth=3
	s_or_b32 exec_lo, exec_lo, s13
	v_lshrrev_b32_e32 v72, 20, v72
	s_delay_alu instid0(VALU_DEP_2) | instskip(SKIP_2) | instid1(VALU_DEP_2)
	v_cmp_gt_i32_e32 vcc_lo, 16, v34
	v_lshrrev_b32_e32 v63, 24, v63
	v_min_i32_e32 v73, 15, v34
	v_dual_cndmask_b32 v72, 7, v72 :: v_dual_and_b32 v63, 0x80, v63
	s_delay_alu instid0(VALU_DEP_1) | instskip(SKIP_1) | instid1(VALU_DEP_2)
	v_or_b32_e32 v34, v34, v72
	v_and_b32_e32 v74, 7, v72
	v_cmp_ne_u32_e32 vcc_lo, 0, v34
	v_lshlrev_b32_e32 v73, 3, v73
	s_delay_alu instid0(VALU_DEP_1) | instskip(NEXT) | instid1(VALU_DEP_1)
	v_or3_b32 v63, v73, v63, v74
	v_cndmask_b32_e32 v34, 0, v63, vcc_lo
.LBB6_6574:                             ;   in Loop: Header=BB6_5734 Depth=3
	s_or_b32 exec_lo, exec_lo, s31
.LBB6_6575:                             ;   in Loop: Header=BB6_5734 Depth=3
	s_delay_alu instid0(SALU_CYCLE_1) | instskip(SKIP_3) | instid1(VALU_DEP_2)
	s_or_b32 exec_lo, exec_lo, s17
	v_lshrrev_b16 v72, 8, v35
	v_lshrrev_b16 v63, 8, v27
	s_and_not1_b32 vcc_lo, exec_lo, s16
	v_cmp_lt_i16_e64 s13, 0x7f, v72
	s_cbranch_vccnz .LBB6_6585
; %bb.6576:                             ;   in Loop: Header=BB6_5734 Depth=3
	s_mov_b32 s17, 0
                                        ; implicit-def: $sgpr31
	s_delay_alu instid0(VALU_DEP_1) | instskip(NEXT) | instid1(SALU_CYCLE_1)
	s_and_saveexec_b32 vcc_lo, s13
	s_xor_b32 s13, exec_lo, vcc_lo
	s_cbranch_execnz .LBB6_8052
; %bb.6577:                             ;   in Loop: Header=BB6_5734 Depth=3
	s_or_saveexec_b32 s13, s13
	v_mov_b32_e32 v73, s31
	s_xor_b32 exec_lo, exec_lo, s13
	s_cbranch_execnz .LBB6_8055
.LBB6_6578:                             ;   in Loop: Header=BB6_5734 Depth=3
	s_or_b32 exec_lo, exec_lo, s13
	s_and_saveexec_b32 s13, s17
	s_cbranch_execz .LBB6_6580
.LBB6_6579:                             ;   in Loop: Header=BB6_5734 Depth=3
	v_and_b32_e32 v73, 0xffff, v72
	s_delay_alu instid0(VALU_DEP_1) | instskip(NEXT) | instid1(VALU_DEP_1)
	v_and_b32_e32 v74, 7, v73
	v_clz_i32_u32_e32 v75, v74
	s_delay_alu instid0(VALU_DEP_1) | instskip(NEXT) | instid1(VALU_DEP_1)
	v_min_u32_e32 v75, 32, v75
	v_subrev_nc_u32_e32 v76, 28, v75
	v_sub_nc_u32_e32 v75, 29, v75
	s_delay_alu instid0(VALU_DEP_2) | instskip(SKIP_1) | instid1(VALU_DEP_2)
	v_lshlrev_b32_e32 v76, v76, v73
	v_bfe_u32 v73, v73, 3, 4
	v_and_b32_e32 v76, 7, v76
	s_delay_alu instid0(VALU_DEP_2) | instskip(SKIP_1) | instid1(VALU_DEP_3)
	v_cmp_eq_u32_e32 vcc_lo, 0, v73
	v_cndmask_b32_e32 v73, v73, v75, vcc_lo
	v_dual_cndmask_b32 v74, v74, v76 :: v_dual_lshlrev_b32 v77, 16, v35
	s_delay_alu instid0(VALU_DEP_2) | instskip(NEXT) | instid1(VALU_DEP_2)
	v_lshl_add_u32 v73, v73, 23, 0x3b800000
	v_and_b32_e32 v75, 0x80000000, v77
	s_delay_alu instid0(VALU_DEP_3) | instskip(NEXT) | instid1(VALU_DEP_1)
	v_lshlrev_b32_e32 v74, 20, v74
	v_or3_b32 v73, v75, v73, v74
.LBB6_6580:                             ;   in Loop: Header=BB6_5734 Depth=3
	s_or_b32 exec_lo, exec_lo, s13
	s_mov_b32 s13, 0
	s_mov_b32 s31, exec_lo
                                        ; implicit-def: $sgpr17
	v_cmpx_lt_i16_e32 0x7f, v63
	s_xor_b32 s31, exec_lo, s31
	s_cbranch_execnz .LBB6_8056
; %bb.6581:                             ;   in Loop: Header=BB6_5734 Depth=3
	s_or_saveexec_b32 s31, s31
	v_mov_b32_e32 v74, s17
	s_xor_b32 exec_lo, exec_lo, s31
	s_cbranch_execnz .LBB6_8059
.LBB6_6582:                             ;   in Loop: Header=BB6_5734 Depth=3
	s_or_b32 exec_lo, exec_lo, s31
	s_and_saveexec_b32 s17, s13
	s_cbranch_execz .LBB6_6584
.LBB6_6583:                             ;   in Loop: Header=BB6_5734 Depth=3
	v_and_b32_e32 v74, 0xffff, v63
	v_lshlrev_b32_e32 v78, 16, v27
	s_delay_alu instid0(VALU_DEP_2) | instskip(NEXT) | instid1(VALU_DEP_1)
	v_and_b32_e32 v75, 7, v74
	v_clz_i32_u32_e32 v76, v75
	s_delay_alu instid0(VALU_DEP_1) | instskip(NEXT) | instid1(VALU_DEP_1)
	v_min_u32_e32 v76, 32, v76
	v_subrev_nc_u32_e32 v77, 28, v76
	v_sub_nc_u32_e32 v76, 29, v76
	s_delay_alu instid0(VALU_DEP_2) | instskip(SKIP_1) | instid1(VALU_DEP_2)
	v_lshlrev_b32_e32 v77, v77, v74
	v_bfe_u32 v74, v74, 3, 4
	v_and_b32_e32 v77, 7, v77
	s_delay_alu instid0(VALU_DEP_2) | instskip(NEXT) | instid1(VALU_DEP_2)
	v_cmp_eq_u32_e32 vcc_lo, 0, v74
	v_dual_cndmask_b32 v74, v74, v76 :: v_dual_cndmask_b32 v75, v75, v77
	v_and_b32_e32 v76, 0x80000000, v78
	s_delay_alu instid0(VALU_DEP_2) | instskip(NEXT) | instid1(VALU_DEP_3)
	v_lshl_add_u32 v74, v74, 23, 0x3b800000
	v_lshlrev_b32_e32 v75, 20, v75
	s_delay_alu instid0(VALU_DEP_1)
	v_or3_b32 v74, v76, v74, v75
.LBB6_6584:                             ;   in Loop: Header=BB6_5734 Depth=3
	s_or_b32 exec_lo, exec_lo, s17
	s_delay_alu instid0(VALU_DEP_1) | instskip(SKIP_1) | instid1(VALU_DEP_1)
	v_dual_max_f32 v74, v74, v74 :: v_dual_max_f32 v73, v73, v73
	s_mov_b32 s13, 0
	v_max_f32_e32 v73, v73, v74
	s_branch .LBB6_6586
.LBB6_6585:                             ;   in Loop: Header=BB6_5734 Depth=3
	s_mov_b32 s13, -1
                                        ; implicit-def: $vgpr73
.LBB6_6586:                             ;   in Loop: Header=BB6_5734 Depth=3
	s_delay_alu instid0(SALU_CYCLE_1)
	s_and_b32 vcc_lo, exec_lo, s13
	s_cbranch_vccz .LBB6_6596
; %bb.6587:                             ;   in Loop: Header=BB6_5734 Depth=3
	s_mov_b32 s13, 0
	s_mov_b32 s31, exec_lo
                                        ; implicit-def: $sgpr17
	v_cmpx_lt_i16_e32 0x7f, v72
	s_xor_b32 s31, exec_lo, s31
	s_cbranch_execnz .LBB6_8060
; %bb.6588:                             ;   in Loop: Header=BB6_5734 Depth=3
	s_or_saveexec_b32 s31, s31
	v_mov_b32_e32 v73, s17
	s_xor_b32 exec_lo, exec_lo, s31
	s_cbranch_execnz .LBB6_8063
.LBB6_6589:                             ;   in Loop: Header=BB6_5734 Depth=3
	s_or_b32 exec_lo, exec_lo, s31
	s_and_saveexec_b32 s17, s13
	s_cbranch_execz .LBB6_6591
.LBB6_6590:                             ;   in Loop: Header=BB6_5734 Depth=3
	v_and_b32_e32 v72, 0xffff, v72
	v_lshlrev_b32_e32 v76, 16, v35
	s_delay_alu instid0(VALU_DEP_2) | instskip(NEXT) | instid1(VALU_DEP_1)
	v_and_b32_e32 v73, 7, v72
	v_clz_i32_u32_e32 v74, v73
	s_delay_alu instid0(VALU_DEP_1) | instskip(NEXT) | instid1(VALU_DEP_1)
	v_min_u32_e32 v74, 32, v74
	v_subrev_nc_u32_e32 v75, 28, v74
	v_sub_nc_u32_e32 v74, 29, v74
	s_delay_alu instid0(VALU_DEP_2) | instskip(SKIP_1) | instid1(VALU_DEP_2)
	v_lshlrev_b32_e32 v75, v75, v72
	v_bfe_u32 v72, v72, 3, 4
	v_and_b32_e32 v75, 7, v75
	s_delay_alu instid0(VALU_DEP_2) | instskip(NEXT) | instid1(VALU_DEP_2)
	v_cmp_eq_u32_e32 vcc_lo, 0, v72
	v_dual_cndmask_b32 v72, v72, v74 :: v_dual_cndmask_b32 v73, v73, v75
	v_and_b32_e32 v74, 0x80000000, v76
	s_delay_alu instid0(VALU_DEP_2) | instskip(NEXT) | instid1(VALU_DEP_3)
	v_lshl_add_u32 v72, v72, 23, 0x3b800000
	v_lshlrev_b32_e32 v73, 20, v73
	s_delay_alu instid0(VALU_DEP_1)
	v_or3_b32 v73, v74, v72, v73
.LBB6_6591:                             ;   in Loop: Header=BB6_5734 Depth=3
	s_or_b32 exec_lo, exec_lo, s17
	s_mov_b32 s13, 0
	s_mov_b32 s31, exec_lo
                                        ; implicit-def: $sgpr17
	v_cmpx_lt_i16_e32 0x7f, v63
	s_xor_b32 s31, exec_lo, s31
	s_cbranch_execnz .LBB6_8064
; %bb.6592:                             ;   in Loop: Header=BB6_5734 Depth=3
	s_or_saveexec_b32 s31, s31
	v_mov_b32_e32 v72, s17
	s_xor_b32 exec_lo, exec_lo, s31
	s_cbranch_execnz .LBB6_8067
.LBB6_6593:                             ;   in Loop: Header=BB6_5734 Depth=3
	s_or_b32 exec_lo, exec_lo, s31
	s_and_saveexec_b32 s17, s13
	s_cbranch_execz .LBB6_6595
.LBB6_6594:                             ;   in Loop: Header=BB6_5734 Depth=3
	v_and_b32_e32 v63, 0xffff, v63
	v_lshlrev_b32_e32 v76, 16, v27
	s_delay_alu instid0(VALU_DEP_2) | instskip(NEXT) | instid1(VALU_DEP_1)
	v_and_b32_e32 v72, 7, v63
	v_clz_i32_u32_e32 v74, v72
	s_delay_alu instid0(VALU_DEP_1) | instskip(NEXT) | instid1(VALU_DEP_1)
	v_min_u32_e32 v74, 32, v74
	v_subrev_nc_u32_e32 v75, 28, v74
	v_sub_nc_u32_e32 v74, 29, v74
	s_delay_alu instid0(VALU_DEP_2) | instskip(SKIP_1) | instid1(VALU_DEP_2)
	v_lshlrev_b32_e32 v75, v75, v63
	v_bfe_u32 v63, v63, 3, 4
	v_and_b32_e32 v75, 7, v75
	s_delay_alu instid0(VALU_DEP_2) | instskip(NEXT) | instid1(VALU_DEP_2)
	v_cmp_eq_u32_e32 vcc_lo, 0, v63
	v_dual_cndmask_b32 v63, v63, v74 :: v_dual_cndmask_b32 v72, v72, v75
	v_and_b32_e32 v74, 0x80000000, v76
	s_delay_alu instid0(VALU_DEP_2) | instskip(NEXT) | instid1(VALU_DEP_3)
	v_lshl_add_u32 v63, v63, 23, 0x3b800000
	v_lshlrev_b32_e32 v72, 20, v72
	s_delay_alu instid0(VALU_DEP_1)
	v_or3_b32 v72, v74, v63, v72
.LBB6_6595:                             ;   in Loop: Header=BB6_5734 Depth=3
	s_or_b32 exec_lo, exec_lo, s17
	s_delay_alu instid0(VALU_DEP_1) | instskip(NEXT) | instid1(VALU_DEP_1)
	v_dual_max_f32 v63, v72, v72 :: v_dual_max_f32 v72, v73, v73
	v_min_f32_e32 v73, v72, v63
.LBB6_6596:                             ;   in Loop: Header=BB6_5734 Depth=3
	s_delay_alu instid0(VALU_DEP_1) | instskip(NEXT) | instid1(VALU_DEP_1)
	v_and_b32_e32 v63, 0x7f800000, v73
	v_cmp_ne_u32_e32 vcc_lo, 0x7f800000, v63
	v_mov_b32_e32 v63, 0x80
	s_and_saveexec_b32 s17, vcc_lo
	s_cbranch_execz .LBB6_6604
; %bb.6597:                             ;   in Loop: Header=BB6_5734 Depth=3
	v_mov_b32_e32 v63, 0
	s_mov_b32 s31, exec_lo
	v_cmpx_ne_u32_e32 0, v73
	s_cbranch_execz .LBB6_6603
; %bb.6598:                             ;   in Loop: Header=BB6_5734 Depth=3
	v_bfe_u32 v63, v73, 23, 8
	v_and_b32_e32 v72, 0x7fffff, v73
	s_delay_alu instid0(VALU_DEP_2) | instskip(SKIP_1) | instid1(VALU_DEP_3)
	v_sub_nc_u32_e32 v74, 0x78, v63
	v_cmp_gt_u32_e32 vcc_lo, 0x79, v63
	v_or_b32_e32 v75, 0x800000, v72
	s_delay_alu instid0(VALU_DEP_3) | instskip(SKIP_2) | instid1(VALU_DEP_3)
	v_cndmask_b32_e32 v74, 0, v74, vcc_lo
	v_cmp_eq_u32_e32 vcc_lo, 0, v63
	v_add_nc_u32_e32 v63, 0xffffff89, v63
	v_cndmask_b32_e64 v74, v74, 0x77, vcc_lo
	v_cndmask_b32_e32 v72, v75, v72, vcc_lo
	s_delay_alu instid0(VALU_DEP_3) | instskip(NEXT) | instid1(VALU_DEP_3)
	v_cndmask_b32_e64 v63, v63, 0xffffff8a, vcc_lo
	v_lshl_add_u32 v75, 0x100000, v74, -1
	s_delay_alu instid0(VALU_DEP_3) | instskip(SKIP_1) | instid1(VALU_DEP_4)
	v_lshrrev_b32_e32 v76, v74, v72
	v_lshlrev_b32_e64 v78, v74, 0x80000
	v_add_nc_u32_e32 v74, v74, v63
	s_delay_alu instid0(VALU_DEP_4) | instskip(NEXT) | instid1(VALU_DEP_4)
	v_and_b32_e32 v72, v75, v72
	v_bfe_u32 v77, v76, 20, 1
	s_delay_alu instid0(VALU_DEP_2) | instskip(NEXT) | instid1(VALU_DEP_2)
	v_cmp_eq_u32_e64 s13, v72, v78
	v_add_nc_u32_e32 v75, -1, v77
	s_delay_alu instid0(VALU_DEP_1) | instskip(SKIP_2) | instid1(VALU_DEP_2)
	v_cndmask_b32_e64 v72, 0, v75, s13
	v_lshrrev_b32_e32 v75, 23, v76
	s_mov_b32 s13, exec_lo
	v_add_nc_u32_e32 v72, v72, v76
	s_delay_alu instid0(VALU_DEP_2) | instskip(NEXT) | instid1(VALU_DEP_2)
	v_xor_b32_e32 v75, 1, v75
	v_and_b32_e32 v63, 0xfffff, v72
	s_delay_alu instid0(VALU_DEP_1) | instskip(NEXT) | instid1(VALU_DEP_3)
	v_add_nc_u32_e32 v72, v63, v76
                                        ; implicit-def: $vgpr63
	v_cmpx_ne_u32_e64 v74, v75
	s_xor_b32 s13, exec_lo, s13
; %bb.6599:                             ;   in Loop: Header=BB6_5734 Depth=3
	s_delay_alu instid0(VALU_DEP_2) | instskip(SKIP_2) | instid1(VALU_DEP_2)
	v_cmp_lt_u32_e32 vcc_lo, 0xffffff, v72
	v_sub_nc_u32_e32 v63, v74, v75
	v_cndmask_b32_e64 v74, 0, 1, vcc_lo
	v_add_co_ci_u32_e32 v63, vcc_lo, 0, v63, vcc_lo
	s_delay_alu instid0(VALU_DEP_2)
	v_lshrrev_b32_e32 v72, v74, v72
; %bb.6600:                             ;   in Loop: Header=BB6_5734 Depth=3
	s_and_not1_saveexec_b32 s13, s13
; %bb.6601:                             ;   in Loop: Header=BB6_5734 Depth=3
	s_delay_alu instid0(VALU_DEP_1)
	v_bfe_u32 v63, v72, 23, 1
; %bb.6602:                             ;   in Loop: Header=BB6_5734 Depth=3
	s_or_b32 exec_lo, exec_lo, s13
	v_lshrrev_b32_e32 v72, 20, v72
	s_delay_alu instid0(VALU_DEP_2) | instskip(SKIP_2) | instid1(VALU_DEP_2)
	v_cmp_gt_i32_e32 vcc_lo, 16, v63
	v_lshrrev_b32_e32 v73, 24, v73
	v_min_i32_e32 v74, 15, v63
	v_dual_cndmask_b32 v72, 7, v72 :: v_dual_and_b32 v73, 0x80, v73
	s_delay_alu instid0(VALU_DEP_1) | instskip(SKIP_1) | instid1(VALU_DEP_2)
	v_or_b32_e32 v63, v63, v72
	v_and_b32_e32 v75, 7, v72
	v_cmp_ne_u32_e32 vcc_lo, 0, v63
	v_lshlrev_b32_e32 v74, 3, v74
	s_delay_alu instid0(VALU_DEP_1) | instskip(NEXT) | instid1(VALU_DEP_1)
	v_or3_b32 v72, v74, v73, v75
	v_cndmask_b32_e32 v63, 0, v72, vcc_lo
.LBB6_6603:                             ;   in Loop: Header=BB6_5734 Depth=3
	s_or_b32 exec_lo, exec_lo, s31
.LBB6_6604:                             ;   in Loop: Header=BB6_5734 Depth=3
	s_delay_alu instid0(SALU_CYCLE_1) | instskip(SKIP_3) | instid1(VALU_DEP_2)
	s_or_b32 exec_lo, exec_lo, s17
	v_lshrrev_b32_e32 v73, 16, v35
	v_lshrrev_b32_e32 v72, 16, v27
	s_and_not1_b32 vcc_lo, exec_lo, s16
	v_and_b32_e32 v74, 0xff, v73
	s_delay_alu instid0(VALU_DEP_1)
	v_cmp_lt_i16_e64 s13, 0x7f, v74
	s_cbranch_vccnz .LBB6_6614
; %bb.6605:                             ;   in Loop: Header=BB6_5734 Depth=3
	s_mov_b32 s17, 0
                                        ; implicit-def: $sgpr31
	s_delay_alu instid0(VALU_DEP_1) | instskip(NEXT) | instid1(SALU_CYCLE_1)
	s_and_saveexec_b32 vcc_lo, s13
	s_xor_b32 s13, exec_lo, vcc_lo
	s_cbranch_execnz .LBB6_8068
; %bb.6606:                             ;   in Loop: Header=BB6_5734 Depth=3
	s_or_saveexec_b32 s13, s13
	v_mov_b32_e32 v75, s31
	s_xor_b32 exec_lo, exec_lo, s13
	s_cbranch_execnz .LBB6_8071
.LBB6_6607:                             ;   in Loop: Header=BB6_5734 Depth=3
	s_or_b32 exec_lo, exec_lo, s13
	s_and_saveexec_b32 s13, s17
	s_cbranch_execz .LBB6_6609
.LBB6_6608:                             ;   in Loop: Header=BB6_5734 Depth=3
	v_bfe_u32 v75, v35, 16, 3
	v_bfe_u32 v78, v35, 19, 4
	v_lshlrev_b32_e32 v79, 24, v73
	s_delay_alu instid0(VALU_DEP_3) | instskip(NEXT) | instid1(VALU_DEP_3)
	v_clz_i32_u32_e32 v76, v75
	v_cmp_eq_u32_e32 vcc_lo, 0, v78
	s_delay_alu instid0(VALU_DEP_2) | instskip(NEXT) | instid1(VALU_DEP_1)
	v_min_u32_e32 v76, 32, v76
	v_subrev_nc_u32_e32 v77, 28, v76
	v_sub_nc_u32_e32 v76, 29, v76
	s_delay_alu instid0(VALU_DEP_1) | instskip(NEXT) | instid1(VALU_DEP_1)
	v_dual_cndmask_b32 v76, v78, v76 :: v_dual_lshlrev_b32 v77, v77, v73
	v_and_b32_e32 v77, 7, v77
	s_delay_alu instid0(VALU_DEP_2) | instskip(NEXT) | instid1(VALU_DEP_2)
	v_lshl_add_u32 v76, v76, 23, 0x3b800000
	v_cndmask_b32_e32 v75, v75, v77, vcc_lo
	v_and_b32_e32 v77, 0x80000000, v79
	s_delay_alu instid0(VALU_DEP_2) | instskip(NEXT) | instid1(VALU_DEP_1)
	v_lshlrev_b32_e32 v75, 20, v75
	v_or3_b32 v75, v77, v76, v75
.LBB6_6609:                             ;   in Loop: Header=BB6_5734 Depth=3
	s_or_b32 exec_lo, exec_lo, s13
	v_and_b32_e32 v77, 0xff, v72
	s_mov_b32 s13, 0
	s_mov_b32 s31, exec_lo
                                        ; implicit-def: $sgpr17
	s_delay_alu instid0(VALU_DEP_1)
	v_cmpx_lt_i16_e32 0x7f, v77
	s_xor_b32 s31, exec_lo, s31
	s_cbranch_execnz .LBB6_8072
; %bb.6610:                             ;   in Loop: Header=BB6_5734 Depth=3
	s_or_saveexec_b32 s31, s31
	v_mov_b32_e32 v76, s17
	s_xor_b32 exec_lo, exec_lo, s31
	s_cbranch_execnz .LBB6_8075
.LBB6_6611:                             ;   in Loop: Header=BB6_5734 Depth=3
	s_or_b32 exec_lo, exec_lo, s31
	s_and_saveexec_b32 s17, s13
	s_cbranch_execz .LBB6_6613
.LBB6_6612:                             ;   in Loop: Header=BB6_5734 Depth=3
	v_bfe_u32 v76, v27, 16, 3
	v_bfe_u32 v79, v27, 19, 4
	v_lshlrev_b32_e32 v88, 24, v72
	s_delay_alu instid0(VALU_DEP_3) | instskip(NEXT) | instid1(VALU_DEP_3)
	v_clz_i32_u32_e32 v77, v76
	v_cmp_eq_u32_e32 vcc_lo, 0, v79
	s_delay_alu instid0(VALU_DEP_2) | instskip(NEXT) | instid1(VALU_DEP_1)
	v_min_u32_e32 v77, 32, v77
	v_subrev_nc_u32_e32 v78, 28, v77
	v_sub_nc_u32_e32 v77, 29, v77
	s_delay_alu instid0(VALU_DEP_1) | instskip(NEXT) | instid1(VALU_DEP_1)
	v_dual_cndmask_b32 v77, v79, v77 :: v_dual_lshlrev_b32 v78, v78, v72
	v_and_b32_e32 v78, 7, v78
	s_delay_alu instid0(VALU_DEP_2) | instskip(NEXT) | instid1(VALU_DEP_2)
	v_lshl_add_u32 v77, v77, 23, 0x3b800000
	v_cndmask_b32_e32 v76, v76, v78, vcc_lo
	v_and_b32_e32 v78, 0x80000000, v88
	s_delay_alu instid0(VALU_DEP_2) | instskip(NEXT) | instid1(VALU_DEP_1)
	v_lshlrev_b32_e32 v76, 20, v76
	v_or3_b32 v76, v78, v77, v76
.LBB6_6613:                             ;   in Loop: Header=BB6_5734 Depth=3
	s_or_b32 exec_lo, exec_lo, s17
	s_delay_alu instid0(VALU_DEP_1) | instskip(SKIP_1) | instid1(VALU_DEP_1)
	v_dual_max_f32 v76, v76, v76 :: v_dual_max_f32 v75, v75, v75
	s_mov_b32 s13, 0
	v_max_f32_e32 v75, v75, v76
	s_branch .LBB6_6615
.LBB6_6614:                             ;   in Loop: Header=BB6_5734 Depth=3
	s_mov_b32 s13, -1
                                        ; implicit-def: $vgpr75
.LBB6_6615:                             ;   in Loop: Header=BB6_5734 Depth=3
	s_delay_alu instid0(SALU_CYCLE_1)
	s_and_b32 vcc_lo, exec_lo, s13
	s_cbranch_vccz .LBB6_6625
; %bb.6616:                             ;   in Loop: Header=BB6_5734 Depth=3
	s_mov_b32 s13, 0
	s_mov_b32 s31, exec_lo
                                        ; implicit-def: $sgpr17
	v_cmpx_lt_i16_e32 0x7f, v74
	s_xor_b32 s31, exec_lo, s31
	s_cbranch_execnz .LBB6_8076
; %bb.6617:                             ;   in Loop: Header=BB6_5734 Depth=3
	s_or_saveexec_b32 s31, s31
	v_mov_b32_e32 v75, s17
	s_xor_b32 exec_lo, exec_lo, s31
	s_cbranch_execnz .LBB6_8079
.LBB6_6618:                             ;   in Loop: Header=BB6_5734 Depth=3
	s_or_b32 exec_lo, exec_lo, s31
	s_and_saveexec_b32 s17, s13
	s_cbranch_execz .LBB6_6620
.LBB6_6619:                             ;   in Loop: Header=BB6_5734 Depth=3
	v_bfe_u32 v74, v35, 16, 3
	v_bfe_u32 v77, v35, 19, 4
	s_delay_alu instid0(VALU_DEP_2) | instskip(NEXT) | instid1(VALU_DEP_2)
	v_clz_i32_u32_e32 v75, v74
	v_cmp_eq_u32_e32 vcc_lo, 0, v77
	s_delay_alu instid0(VALU_DEP_2) | instskip(NEXT) | instid1(VALU_DEP_1)
	v_min_u32_e32 v75, 32, v75
	v_subrev_nc_u32_e32 v76, 28, v75
	v_sub_nc_u32_e32 v75, 29, v75
	s_delay_alu instid0(VALU_DEP_1) | instskip(NEXT) | instid1(VALU_DEP_1)
	v_dual_cndmask_b32 v75, v77, v75 :: v_dual_lshlrev_b32 v76, v76, v73
	v_and_b32_e32 v76, 7, v76
	v_lshlrev_b32_e32 v73, 24, v73
	s_delay_alu instid0(VALU_DEP_3) | instskip(NEXT) | instid1(VALU_DEP_2)
	v_lshl_add_u32 v75, v75, 23, 0x3b800000
	v_dual_cndmask_b32 v74, v74, v76 :: v_dual_and_b32 v73, 0x80000000, v73
	s_delay_alu instid0(VALU_DEP_1) | instskip(NEXT) | instid1(VALU_DEP_1)
	v_lshlrev_b32_e32 v74, 20, v74
	v_or3_b32 v75, v73, v75, v74
.LBB6_6620:                             ;   in Loop: Header=BB6_5734 Depth=3
	s_or_b32 exec_lo, exec_lo, s17
	v_and_b32_e32 v74, 0xff, v72
	s_mov_b32 s13, 0
	s_mov_b32 s31, exec_lo
                                        ; implicit-def: $sgpr17
	s_delay_alu instid0(VALU_DEP_1)
	v_cmpx_lt_i16_e32 0x7f, v74
	s_xor_b32 s31, exec_lo, s31
	s_cbranch_execnz .LBB6_8080
; %bb.6621:                             ;   in Loop: Header=BB6_5734 Depth=3
	s_or_saveexec_b32 s31, s31
	v_mov_b32_e32 v73, s17
	s_xor_b32 exec_lo, exec_lo, s31
	s_cbranch_execnz .LBB6_8083
.LBB6_6622:                             ;   in Loop: Header=BB6_5734 Depth=3
	s_or_b32 exec_lo, exec_lo, s31
	s_and_saveexec_b32 s17, s13
	s_cbranch_execz .LBB6_6624
.LBB6_6623:                             ;   in Loop: Header=BB6_5734 Depth=3
	v_bfe_u32 v73, v27, 16, 3
	v_bfe_u32 v77, v27, 19, 4
	s_delay_alu instid0(VALU_DEP_2) | instskip(NEXT) | instid1(VALU_DEP_2)
	v_clz_i32_u32_e32 v74, v73
	v_cmp_eq_u32_e32 vcc_lo, 0, v77
	s_delay_alu instid0(VALU_DEP_2) | instskip(NEXT) | instid1(VALU_DEP_1)
	v_min_u32_e32 v74, 32, v74
	v_subrev_nc_u32_e32 v76, 28, v74
	v_sub_nc_u32_e32 v74, 29, v74
	s_delay_alu instid0(VALU_DEP_2) | instskip(SKIP_1) | instid1(VALU_DEP_2)
	v_lshlrev_b32_e32 v76, v76, v72
	v_lshlrev_b32_e32 v72, 24, v72
	v_and_b32_e32 v76, 7, v76
	s_delay_alu instid0(VALU_DEP_2) | instskip(NEXT) | instid1(VALU_DEP_2)
	v_and_b32_e32 v72, 0x80000000, v72
	v_cndmask_b32_e32 v73, v73, v76, vcc_lo
	s_delay_alu instid0(VALU_DEP_1) | instskip(NEXT) | instid1(VALU_DEP_1)
	v_dual_cndmask_b32 v74, v77, v74 :: v_dual_lshlrev_b32 v73, 20, v73
	v_lshl_add_u32 v74, v74, 23, 0x3b800000
	s_delay_alu instid0(VALU_DEP_1)
	v_or3_b32 v73, v72, v74, v73
.LBB6_6624:                             ;   in Loop: Header=BB6_5734 Depth=3
	s_or_b32 exec_lo, exec_lo, s17
	s_delay_alu instid0(VALU_DEP_1) | instskip(NEXT) | instid1(VALU_DEP_1)
	v_dual_max_f32 v72, v73, v73 :: v_dual_max_f32 v73, v75, v75
	v_min_f32_e32 v75, v73, v72
.LBB6_6625:                             ;   in Loop: Header=BB6_5734 Depth=3
	s_delay_alu instid0(VALU_DEP_1) | instskip(NEXT) | instid1(VALU_DEP_1)
	v_and_b32_e32 v72, 0x7f800000, v75
	v_cmp_ne_u32_e32 vcc_lo, 0x7f800000, v72
	v_mov_b32_e32 v72, 0x80
	s_and_saveexec_b32 s17, vcc_lo
	s_cbranch_execz .LBB6_6633
; %bb.6626:                             ;   in Loop: Header=BB6_5734 Depth=3
	v_mov_b32_e32 v72, 0
	s_mov_b32 s31, exec_lo
	v_cmpx_ne_u32_e32 0, v75
	s_cbranch_execz .LBB6_6632
; %bb.6627:                             ;   in Loop: Header=BB6_5734 Depth=3
	v_bfe_u32 v72, v75, 23, 8
	s_delay_alu instid0(VALU_DEP_1) | instskip(SKIP_1) | instid1(VALU_DEP_2)
	v_sub_nc_u32_e32 v74, 0x78, v72
	v_cmp_gt_u32_e32 vcc_lo, 0x79, v72
	v_dual_cndmask_b32 v74, 0, v74 :: v_dual_and_b32 v73, 0x7fffff, v75
	s_delay_alu instid0(VALU_DEP_1) | instskip(SKIP_2) | instid1(VALU_DEP_4)
	v_or_b32_e32 v76, 0x800000, v73
	v_cmp_eq_u32_e32 vcc_lo, 0, v72
	v_add_nc_u32_e32 v72, 0xffffff89, v72
	v_cndmask_b32_e64 v74, v74, 0x77, vcc_lo
	s_delay_alu instid0(VALU_DEP_4) | instskip(NEXT) | instid1(VALU_DEP_3)
	v_cndmask_b32_e32 v73, v76, v73, vcc_lo
	v_cndmask_b32_e64 v72, v72, 0xffffff8a, vcc_lo
	s_delay_alu instid0(VALU_DEP_3) | instskip(NEXT) | instid1(VALU_DEP_3)
	v_lshl_add_u32 v76, 0x100000, v74, -1
	v_lshrrev_b32_e32 v77, v74, v73
	v_lshlrev_b32_e64 v79, v74, 0x80000
	s_delay_alu instid0(VALU_DEP_4) | instskip(NEXT) | instid1(VALU_DEP_4)
	v_add_nc_u32_e32 v74, v74, v72
	v_and_b32_e32 v73, v76, v73
	s_delay_alu instid0(VALU_DEP_4) | instskip(NEXT) | instid1(VALU_DEP_2)
	v_bfe_u32 v78, v77, 20, 1
	v_cmp_eq_u32_e64 s13, v73, v79
	s_delay_alu instid0(VALU_DEP_2) | instskip(NEXT) | instid1(VALU_DEP_1)
	v_add_nc_u32_e32 v76, -1, v78
	v_cndmask_b32_e64 v73, 0, v76, s13
	v_lshrrev_b32_e32 v76, 23, v77
	s_mov_b32 s13, exec_lo
	s_delay_alu instid0(VALU_DEP_2) | instskip(NEXT) | instid1(VALU_DEP_2)
	v_add_nc_u32_e32 v73, v73, v77
	v_xor_b32_e32 v76, 1, v76
	s_delay_alu instid0(VALU_DEP_2) | instskip(NEXT) | instid1(VALU_DEP_1)
	v_and_b32_e32 v72, 0xfffff, v73
	v_add_nc_u32_e32 v73, v72, v77
                                        ; implicit-def: $vgpr72
	s_delay_alu instid0(VALU_DEP_3)
	v_cmpx_ne_u32_e64 v74, v76
	s_xor_b32 s13, exec_lo, s13
; %bb.6628:                             ;   in Loop: Header=BB6_5734 Depth=3
	s_delay_alu instid0(VALU_DEP_2) | instskip(SKIP_2) | instid1(VALU_DEP_2)
	v_cmp_lt_u32_e32 vcc_lo, 0xffffff, v73
	v_sub_nc_u32_e32 v72, v74, v76
	v_cndmask_b32_e64 v74, 0, 1, vcc_lo
	v_add_co_ci_u32_e32 v72, vcc_lo, 0, v72, vcc_lo
	s_delay_alu instid0(VALU_DEP_2)
	v_lshrrev_b32_e32 v73, v74, v73
; %bb.6629:                             ;   in Loop: Header=BB6_5734 Depth=3
	s_and_not1_saveexec_b32 s13, s13
; %bb.6630:                             ;   in Loop: Header=BB6_5734 Depth=3
	s_delay_alu instid0(VALU_DEP_1)
	v_bfe_u32 v72, v73, 23, 1
; %bb.6631:                             ;   in Loop: Header=BB6_5734 Depth=3
	s_or_b32 exec_lo, exec_lo, s13
	v_lshrrev_b32_e32 v73, 20, v73
	s_delay_alu instid0(VALU_DEP_2) | instskip(SKIP_2) | instid1(VALU_DEP_2)
	v_cmp_gt_i32_e32 vcc_lo, 16, v72
	v_min_i32_e32 v74, 15, v72
	v_lshrrev_b32_e32 v75, 24, v75
	v_dual_cndmask_b32 v73, 7, v73 :: v_dual_lshlrev_b32 v74, 3, v74
	s_delay_alu instid0(VALU_DEP_1) | instskip(SKIP_1) | instid1(VALU_DEP_3)
	v_or_b32_e32 v72, v72, v73
	v_and_b32_e32 v76, 7, v73
	v_and_b32_e32 v74, 0xf8, v74
	s_delay_alu instid0(VALU_DEP_3) | instskip(SKIP_1) | instid1(VALU_DEP_1)
	v_cmp_ne_u32_e32 vcc_lo, 0, v72
	v_and_b32_e32 v75, 0x80, v75
	v_or3_b32 v73, v74, v75, v76
	s_delay_alu instid0(VALU_DEP_1)
	v_cndmask_b32_e32 v72, 0, v73, vcc_lo
.LBB6_6632:                             ;   in Loop: Header=BB6_5734 Depth=3
	s_or_b32 exec_lo, exec_lo, s31
.LBB6_6633:                             ;   in Loop: Header=BB6_5734 Depth=3
	s_delay_alu instid0(SALU_CYCLE_1) | instskip(SKIP_3) | instid1(VALU_DEP_2)
	s_or_b32 exec_lo, exec_lo, s17
	v_lshrrev_b32_e32 v74, 24, v35
	v_lshrrev_b32_e32 v73, 24, v27
	s_and_not1_b32 vcc_lo, exec_lo, s16
	v_cmp_lt_i16_e64 s13, 0x7f, v74
	s_cbranch_vccnz .LBB6_6643
; %bb.6634:                             ;   in Loop: Header=BB6_5734 Depth=3
	s_mov_b32 s17, 0
                                        ; implicit-def: $sgpr31
	s_delay_alu instid0(VALU_DEP_1) | instskip(NEXT) | instid1(SALU_CYCLE_1)
	s_and_saveexec_b32 vcc_lo, s13
	s_xor_b32 s13, exec_lo, vcc_lo
	s_cbranch_execnz .LBB6_8084
; %bb.6635:                             ;   in Loop: Header=BB6_5734 Depth=3
	s_or_saveexec_b32 s13, s13
	v_mov_b32_e32 v75, s31
	s_xor_b32 exec_lo, exec_lo, s13
	s_cbranch_execnz .LBB6_8087
.LBB6_6636:                             ;   in Loop: Header=BB6_5734 Depth=3
	s_or_b32 exec_lo, exec_lo, s13
	s_and_saveexec_b32 s13, s17
	s_cbranch_execz .LBB6_6638
.LBB6_6637:                             ;   in Loop: Header=BB6_5734 Depth=3
	v_bfe_u32 v75, v35, 24, 3
	v_bfe_u32 v78, v35, 27, 4
	s_delay_alu instid0(VALU_DEP_2) | instskip(NEXT) | instid1(VALU_DEP_2)
	v_clz_i32_u32_e32 v76, v75
	v_cmp_eq_u32_e32 vcc_lo, 0, v78
	s_delay_alu instid0(VALU_DEP_2) | instskip(NEXT) | instid1(VALU_DEP_1)
	v_min_u32_e32 v76, 32, v76
	v_subrev_nc_u32_e32 v77, 28, v76
	v_sub_nc_u32_e32 v76, 29, v76
	s_delay_alu instid0(VALU_DEP_1) | instskip(NEXT) | instid1(VALU_DEP_1)
	v_dual_cndmask_b32 v76, v78, v76 :: v_dual_lshlrev_b32 v77, v77, v74
	v_and_b32_e32 v77, 7, v77
	s_delay_alu instid0(VALU_DEP_2) | instskip(NEXT) | instid1(VALU_DEP_2)
	v_lshl_add_u32 v76, v76, 23, 0x3b800000
	v_cndmask_b32_e32 v75, v75, v77, vcc_lo
	v_and_b32_e32 v77, 0x80000000, v35
	s_delay_alu instid0(VALU_DEP_2) | instskip(NEXT) | instid1(VALU_DEP_1)
	v_lshlrev_b32_e32 v75, 20, v75
	v_or3_b32 v75, v77, v76, v75
.LBB6_6638:                             ;   in Loop: Header=BB6_5734 Depth=3
	s_or_b32 exec_lo, exec_lo, s13
	s_mov_b32 s13, 0
	s_mov_b32 s31, exec_lo
                                        ; implicit-def: $sgpr17
	v_cmpx_lt_i16_e32 0x7f, v73
	s_xor_b32 s31, exec_lo, s31
	s_cbranch_execnz .LBB6_8088
; %bb.6639:                             ;   in Loop: Header=BB6_5734 Depth=3
	s_or_saveexec_b32 s31, s31
	v_mov_b32_e32 v76, s17
	s_xor_b32 exec_lo, exec_lo, s31
	s_cbranch_execnz .LBB6_8091
.LBB6_6640:                             ;   in Loop: Header=BB6_5734 Depth=3
	s_or_b32 exec_lo, exec_lo, s31
	s_and_saveexec_b32 s17, s13
	s_cbranch_execz .LBB6_6642
.LBB6_6641:                             ;   in Loop: Header=BB6_5734 Depth=3
	v_bfe_u32 v76, v27, 24, 3
	v_bfe_u32 v79, v27, 27, 4
	s_delay_alu instid0(VALU_DEP_2) | instskip(NEXT) | instid1(VALU_DEP_2)
	v_clz_i32_u32_e32 v77, v76
	v_cmp_eq_u32_e32 vcc_lo, 0, v79
	s_delay_alu instid0(VALU_DEP_2) | instskip(NEXT) | instid1(VALU_DEP_1)
	v_min_u32_e32 v77, 32, v77
	v_subrev_nc_u32_e32 v78, 28, v77
	v_sub_nc_u32_e32 v77, 29, v77
	s_delay_alu instid0(VALU_DEP_2) | instskip(NEXT) | instid1(VALU_DEP_1)
	v_lshlrev_b32_e32 v78, v78, v73
	v_dual_cndmask_b32 v77, v79, v77 :: v_dual_and_b32 v78, 7, v78
	s_delay_alu instid0(VALU_DEP_1) | instskip(NEXT) | instid1(VALU_DEP_2)
	v_lshl_add_u32 v77, v77, 23, 0x3b800000
	v_cndmask_b32_e32 v76, v76, v78, vcc_lo
	v_and_b32_e32 v78, 0x80000000, v27
	s_delay_alu instid0(VALU_DEP_2) | instskip(NEXT) | instid1(VALU_DEP_1)
	v_lshlrev_b32_e32 v76, 20, v76
	v_or3_b32 v76, v78, v77, v76
.LBB6_6642:                             ;   in Loop: Header=BB6_5734 Depth=3
	s_or_b32 exec_lo, exec_lo, s17
	s_delay_alu instid0(VALU_DEP_1) | instskip(SKIP_1) | instid1(VALU_DEP_1)
	v_dual_max_f32 v76, v76, v76 :: v_dual_max_f32 v75, v75, v75
	s_mov_b32 s13, 0
	v_max_f32_e32 v75, v75, v76
	s_branch .LBB6_6644
.LBB6_6643:                             ;   in Loop: Header=BB6_5734 Depth=3
	s_mov_b32 s13, -1
                                        ; implicit-def: $vgpr75
.LBB6_6644:                             ;   in Loop: Header=BB6_5734 Depth=3
	s_delay_alu instid0(SALU_CYCLE_1)
	s_and_b32 vcc_lo, exec_lo, s13
	s_cbranch_vccz .LBB6_6654
; %bb.6645:                             ;   in Loop: Header=BB6_5734 Depth=3
	s_mov_b32 s13, 0
	s_mov_b32 s31, exec_lo
                                        ; implicit-def: $sgpr17
	v_cmpx_lt_i16_e32 0x7f, v74
	s_xor_b32 s31, exec_lo, s31
	s_cbranch_execnz .LBB6_8092
; %bb.6646:                             ;   in Loop: Header=BB6_5734 Depth=3
	s_or_saveexec_b32 s31, s31
	v_mov_b32_e32 v75, s17
	s_xor_b32 exec_lo, exec_lo, s31
	s_cbranch_execnz .LBB6_8095
.LBB6_6647:                             ;   in Loop: Header=BB6_5734 Depth=3
	s_or_b32 exec_lo, exec_lo, s31
	s_and_saveexec_b32 s17, s13
	s_cbranch_execz .LBB6_6649
.LBB6_6648:                             ;   in Loop: Header=BB6_5734 Depth=3
	v_bfe_u32 v75, v35, 24, 3
	s_delay_alu instid0(VALU_DEP_1) | instskip(NEXT) | instid1(VALU_DEP_1)
	v_clz_i32_u32_e32 v76, v75
	v_min_u32_e32 v76, 32, v76
	s_delay_alu instid0(VALU_DEP_1) | instskip(SKIP_1) | instid1(VALU_DEP_2)
	v_subrev_nc_u32_e32 v77, 28, v76
	v_sub_nc_u32_e32 v76, 29, v76
	v_lshlrev_b32_e32 v74, v77, v74
	v_bfe_u32 v77, v35, 27, 4
	v_and_b32_e32 v35, 0x80000000, v35
	s_delay_alu instid0(VALU_DEP_3) | instskip(NEXT) | instid1(VALU_DEP_3)
	v_and_b32_e32 v74, 7, v74
	v_cmp_eq_u32_e32 vcc_lo, 0, v77
	v_cndmask_b32_e32 v76, v77, v76, vcc_lo
	s_delay_alu instid0(VALU_DEP_3) | instskip(NEXT) | instid1(VALU_DEP_2)
	v_cndmask_b32_e32 v74, v75, v74, vcc_lo
	v_lshl_add_u32 v75, v76, 23, 0x3b800000
	s_delay_alu instid0(VALU_DEP_2) | instskip(NEXT) | instid1(VALU_DEP_1)
	v_lshlrev_b32_e32 v74, 20, v74
	v_or3_b32 v75, v35, v75, v74
.LBB6_6649:                             ;   in Loop: Header=BB6_5734 Depth=3
	s_or_b32 exec_lo, exec_lo, s17
	s_mov_b32 s13, 0
	s_mov_b32 s31, exec_lo
                                        ; implicit-def: $sgpr17
	v_cmpx_lt_i16_e32 0x7f, v73
	s_xor_b32 s31, exec_lo, s31
	s_cbranch_execnz .LBB6_8096
; %bb.6650:                             ;   in Loop: Header=BB6_5734 Depth=3
	s_or_saveexec_b32 s31, s31
	v_mov_b32_e32 v35, s17
	s_xor_b32 exec_lo, exec_lo, s31
	s_cbranch_execnz .LBB6_8099
.LBB6_6651:                             ;   in Loop: Header=BB6_5734 Depth=3
	s_or_b32 exec_lo, exec_lo, s31
	s_and_saveexec_b32 s17, s13
	s_cbranch_execz .LBB6_6653
.LBB6_6652:                             ;   in Loop: Header=BB6_5734 Depth=3
	v_bfe_u32 v35, v27, 24, 3
	s_delay_alu instid0(VALU_DEP_1) | instskip(NEXT) | instid1(VALU_DEP_1)
	v_clz_i32_u32_e32 v74, v35
	v_min_u32_e32 v74, 32, v74
	s_delay_alu instid0(VALU_DEP_1) | instskip(SKIP_1) | instid1(VALU_DEP_2)
	v_subrev_nc_u32_e32 v76, 28, v74
	v_sub_nc_u32_e32 v74, 29, v74
	v_lshlrev_b32_e32 v73, v76, v73
	v_bfe_u32 v76, v27, 27, 4
	v_and_b32_e32 v27, 0x80000000, v27
	s_delay_alu instid0(VALU_DEP_2) | instskip(NEXT) | instid1(VALU_DEP_4)
	v_cmp_eq_u32_e32 vcc_lo, 0, v76
	v_dual_cndmask_b32 v74, v76, v74 :: v_dual_and_b32 v73, 7, v73
	s_delay_alu instid0(VALU_DEP_1) | instskip(NEXT) | instid1(VALU_DEP_2)
	v_cndmask_b32_e32 v35, v35, v73, vcc_lo
	v_lshl_add_u32 v73, v74, 23, 0x3b800000
	s_delay_alu instid0(VALU_DEP_2) | instskip(NEXT) | instid1(VALU_DEP_1)
	v_lshlrev_b32_e32 v35, 20, v35
	v_or3_b32 v35, v27, v73, v35
.LBB6_6653:                             ;   in Loop: Header=BB6_5734 Depth=3
	s_or_b32 exec_lo, exec_lo, s17
	s_delay_alu instid0(VALU_DEP_1) | instskip(SKIP_1) | instid1(VALU_DEP_1)
	v_max_f32_e32 v27, v35, v35
	v_max_f32_e32 v35, v75, v75
	v_min_f32_e32 v75, v35, v27
.LBB6_6654:                             ;   in Loop: Header=BB6_5734 Depth=3
	s_delay_alu instid0(VALU_DEP_1) | instskip(NEXT) | instid1(VALU_DEP_1)
	v_and_b32_e32 v27, 0x7f800000, v75
	v_cmp_ne_u32_e32 vcc_lo, 0x7f800000, v27
	v_mov_b32_e32 v27, 0x8000
	s_and_saveexec_b32 s17, vcc_lo
	s_cbranch_execz .LBB6_6662
; %bb.6655:                             ;   in Loop: Header=BB6_5734 Depth=3
	v_mov_b32_e32 v27, 0
	s_mov_b32 s31, exec_lo
	v_cmpx_ne_u32_e32 0, v75
	s_cbranch_execz .LBB6_6661
; %bb.6656:                             ;   in Loop: Header=BB6_5734 Depth=3
	v_bfe_u32 v27, v75, 23, 8
	v_and_b32_e32 v35, 0x7fffff, v75
	s_delay_alu instid0(VALU_DEP_2) | instskip(SKIP_1) | instid1(VALU_DEP_3)
	v_sub_nc_u32_e32 v73, 0x78, v27
	v_cmp_gt_u32_e32 vcc_lo, 0x79, v27
	v_or_b32_e32 v74, 0x800000, v35
	s_delay_alu instid0(VALU_DEP_3) | instskip(SKIP_2) | instid1(VALU_DEP_3)
	v_cndmask_b32_e32 v73, 0, v73, vcc_lo
	v_cmp_eq_u32_e32 vcc_lo, 0, v27
	v_add_nc_u32_e32 v27, 0xffffff89, v27
	v_cndmask_b32_e64 v73, v73, 0x77, vcc_lo
	v_cndmask_b32_e32 v35, v74, v35, vcc_lo
	s_delay_alu instid0(VALU_DEP_3) | instskip(NEXT) | instid1(VALU_DEP_3)
	v_cndmask_b32_e64 v27, v27, 0xffffff8a, vcc_lo
	v_lshl_add_u32 v74, 0x100000, v73, -1
	s_delay_alu instid0(VALU_DEP_3) | instskip(SKIP_1) | instid1(VALU_DEP_4)
	v_lshrrev_b32_e32 v76, v73, v35
	v_lshlrev_b32_e64 v78, v73, 0x80000
	v_add_nc_u32_e32 v73, v73, v27
	s_delay_alu instid0(VALU_DEP_4) | instskip(NEXT) | instid1(VALU_DEP_4)
	v_and_b32_e32 v35, v74, v35
	v_bfe_u32 v77, v76, 20, 1
	s_delay_alu instid0(VALU_DEP_2) | instskip(NEXT) | instid1(VALU_DEP_2)
	v_cmp_eq_u32_e64 s13, v35, v78
	v_add_nc_u32_e32 v74, -1, v77
	s_delay_alu instid0(VALU_DEP_1) | instskip(SKIP_2) | instid1(VALU_DEP_2)
	v_cndmask_b32_e64 v35, 0, v74, s13
	v_lshrrev_b32_e32 v74, 23, v76
	s_mov_b32 s13, exec_lo
	v_add_nc_u32_e32 v35, v35, v76
	s_delay_alu instid0(VALU_DEP_2) | instskip(NEXT) | instid1(VALU_DEP_2)
	v_xor_b32_e32 v74, 1, v74
	v_and_b32_e32 v27, 0xfffff, v35
	s_delay_alu instid0(VALU_DEP_1) | instskip(NEXT) | instid1(VALU_DEP_3)
	v_add_nc_u32_e32 v35, v27, v76
                                        ; implicit-def: $vgpr27
	v_cmpx_ne_u32_e64 v73, v74
	s_xor_b32 s13, exec_lo, s13
; %bb.6657:                             ;   in Loop: Header=BB6_5734 Depth=3
	s_delay_alu instid0(VALU_DEP_2) | instskip(SKIP_2) | instid1(VALU_DEP_2)
	v_cmp_lt_u32_e32 vcc_lo, 0xffffff, v35
	v_sub_nc_u32_e32 v27, v73, v74
	v_cndmask_b32_e64 v73, 0, 1, vcc_lo
	v_add_co_ci_u32_e32 v27, vcc_lo, 0, v27, vcc_lo
	s_delay_alu instid0(VALU_DEP_2)
	v_lshrrev_b32_e32 v35, v73, v35
; %bb.6658:                             ;   in Loop: Header=BB6_5734 Depth=3
	s_and_not1_saveexec_b32 s13, s13
; %bb.6659:                             ;   in Loop: Header=BB6_5734 Depth=3
	s_delay_alu instid0(VALU_DEP_1)
	v_bfe_u32 v27, v35, 23, 1
; %bb.6660:                             ;   in Loop: Header=BB6_5734 Depth=3
	s_or_b32 exec_lo, exec_lo, s13
	v_lshrrev_b32_e32 v35, 20, v35
	s_delay_alu instid0(VALU_DEP_2) | instskip(SKIP_2) | instid1(VALU_DEP_3)
	v_min_i32_e32 v73, 15, v27
	v_cmp_gt_i32_e32 vcc_lo, 16, v27
	v_lshrrev_b32_e32 v74, 24, v75
	v_lshlrev_b32_e32 v73, 3, v73
	s_delay_alu instid0(VALU_DEP_2) | instskip(NEXT) | instid1(VALU_DEP_2)
	v_dual_cndmask_b32 v35, 7, v35 :: v_dual_and_b32 v74, 0x80, v74
	v_and_b32_e32 v73, 0xf8, v73
	s_delay_alu instid0(VALU_DEP_2) | instskip(SKIP_1) | instid1(VALU_DEP_2)
	v_and_b32_e32 v75, 7, v35
	v_or_b32_e32 v27, v27, v35
	v_or3_b32 v73, v74, v73, v75
	s_delay_alu instid0(VALU_DEP_2) | instskip(NEXT) | instid1(VALU_DEP_2)
	v_cmp_ne_u32_e32 vcc_lo, 0, v27
	v_lshlrev_b32_e32 v35, 8, v73
	s_delay_alu instid0(VALU_DEP_1)
	v_cndmask_b32_e32 v27, 0, v35, vcc_lo
.LBB6_6661:                             ;   in Loop: Header=BB6_5734 Depth=3
	s_or_b32 exec_lo, exec_lo, s31
.LBB6_6662:                             ;   in Loop: Header=BB6_5734 Depth=3
	s_delay_alu instid0(SALU_CYCLE_1) | instskip(SKIP_2) | instid1(VALU_DEP_1)
	s_or_b32 exec_lo, exec_lo, s17
	v_and_b32_e32 v35, 0xff, v20
	s_and_not1_b32 vcc_lo, exec_lo, s16
	v_cmp_lt_i16_e64 s13, 0x7f, v35
	s_cbranch_vccnz .LBB6_6672
; %bb.6663:                             ;   in Loop: Header=BB6_5734 Depth=3
	s_mov_b32 s17, 0
                                        ; implicit-def: $sgpr31
	s_delay_alu instid0(VALU_DEP_1) | instskip(NEXT) | instid1(SALU_CYCLE_1)
	s_and_saveexec_b32 vcc_lo, s13
	s_xor_b32 s13, exec_lo, vcc_lo
	s_cbranch_execnz .LBB6_8100
; %bb.6664:                             ;   in Loop: Header=BB6_5734 Depth=3
	s_or_saveexec_b32 s13, s13
	v_mov_b32_e32 v73, s31
	s_xor_b32 exec_lo, exec_lo, s13
	s_cbranch_execnz .LBB6_8103
.LBB6_6665:                             ;   in Loop: Header=BB6_5734 Depth=3
	s_or_b32 exec_lo, exec_lo, s13
	s_and_saveexec_b32 s13, s17
	s_cbranch_execz .LBB6_6667
.LBB6_6666:                             ;   in Loop: Header=BB6_5734 Depth=3
	v_bfe_u32 v76, v20, 3, 4
	v_lshlrev_b32_e32 v77, 24, v20
	s_delay_alu instid0(VALU_DEP_2) | instskip(SKIP_1) | instid1(VALU_DEP_1)
	v_cmp_eq_u32_e32 vcc_lo, 0, v76
	v_and_b32_e32 v73, 7, v20
	v_clz_i32_u32_e32 v74, v73
	s_delay_alu instid0(VALU_DEP_1) | instskip(NEXT) | instid1(VALU_DEP_1)
	v_min_u32_e32 v74, 32, v74
	v_subrev_nc_u32_e32 v75, 28, v74
	v_sub_nc_u32_e32 v74, 29, v74
	s_delay_alu instid0(VALU_DEP_1) | instskip(NEXT) | instid1(VALU_DEP_1)
	v_dual_cndmask_b32 v74, v76, v74 :: v_dual_lshlrev_b32 v75, v75, v20
	v_and_b32_e32 v75, 7, v75
	s_delay_alu instid0(VALU_DEP_2) | instskip(NEXT) | instid1(VALU_DEP_2)
	v_lshl_add_u32 v74, v74, 23, 0x3b800000
	v_cndmask_b32_e32 v73, v73, v75, vcc_lo
	v_and_b32_e32 v75, 0x80000000, v77
	s_delay_alu instid0(VALU_DEP_2) | instskip(NEXT) | instid1(VALU_DEP_1)
	v_lshlrev_b32_e32 v73, 20, v73
	v_or3_b32 v73, v75, v74, v73
.LBB6_6667:                             ;   in Loop: Header=BB6_5734 Depth=3
	s_or_b32 exec_lo, exec_lo, s13
	s_waitcnt vmcnt(1)
	v_and_b32_e32 v75, 0xff, v16
	s_mov_b32 s13, 0
	s_mov_b32 s31, exec_lo
                                        ; implicit-def: $sgpr17
	s_delay_alu instid0(VALU_DEP_1)
	v_cmpx_lt_i16_e32 0x7f, v75
	s_xor_b32 s31, exec_lo, s31
	s_cbranch_execnz .LBB6_8104
; %bb.6668:                             ;   in Loop: Header=BB6_5734 Depth=3
	s_or_saveexec_b32 s31, s31
	v_mov_b32_e32 v74, s17
	s_xor_b32 exec_lo, exec_lo, s31
	s_cbranch_execnz .LBB6_8107
.LBB6_6669:                             ;   in Loop: Header=BB6_5734 Depth=3
	s_or_b32 exec_lo, exec_lo, s31
	s_and_saveexec_b32 s17, s13
	s_cbranch_execz .LBB6_6671
.LBB6_6670:                             ;   in Loop: Header=BB6_5734 Depth=3
	v_bfe_u32 v77, v16, 3, 4
	v_lshlrev_b32_e32 v78, 24, v16
	s_delay_alu instid0(VALU_DEP_2) | instskip(SKIP_1) | instid1(VALU_DEP_1)
	v_cmp_eq_u32_e32 vcc_lo, 0, v77
	v_and_b32_e32 v74, 7, v16
	v_clz_i32_u32_e32 v75, v74
	s_delay_alu instid0(VALU_DEP_1) | instskip(NEXT) | instid1(VALU_DEP_1)
	v_min_u32_e32 v75, 32, v75
	v_subrev_nc_u32_e32 v76, 28, v75
	v_sub_nc_u32_e32 v75, 29, v75
	s_delay_alu instid0(VALU_DEP_1) | instskip(NEXT) | instid1(VALU_DEP_1)
	v_dual_cndmask_b32 v75, v77, v75 :: v_dual_lshlrev_b32 v76, v76, v16
	v_and_b32_e32 v76, 7, v76
	s_delay_alu instid0(VALU_DEP_2) | instskip(NEXT) | instid1(VALU_DEP_2)
	v_lshl_add_u32 v75, v75, 23, 0x3b800000
	v_cndmask_b32_e32 v74, v74, v76, vcc_lo
	v_and_b32_e32 v76, 0x80000000, v78
	s_delay_alu instid0(VALU_DEP_2) | instskip(NEXT) | instid1(VALU_DEP_1)
	v_lshlrev_b32_e32 v74, 20, v74
	v_or3_b32 v74, v76, v75, v74
.LBB6_6671:                             ;   in Loop: Header=BB6_5734 Depth=3
	s_or_b32 exec_lo, exec_lo, s17
	s_delay_alu instid0(VALU_DEP_1) | instskip(SKIP_1) | instid1(VALU_DEP_1)
	v_dual_max_f32 v74, v74, v74 :: v_dual_max_f32 v73, v73, v73
	s_mov_b32 s13, 0
	v_max_f32_e32 v73, v73, v74
	s_branch .LBB6_6673
.LBB6_6672:                             ;   in Loop: Header=BB6_5734 Depth=3
	s_mov_b32 s13, -1
                                        ; implicit-def: $vgpr73
.LBB6_6673:                             ;   in Loop: Header=BB6_5734 Depth=3
	s_delay_alu instid0(SALU_CYCLE_1)
	s_and_b32 vcc_lo, exec_lo, s13
	s_cbranch_vccz .LBB6_6683
; %bb.6674:                             ;   in Loop: Header=BB6_5734 Depth=3
	s_mov_b32 s13, 0
	s_mov_b32 s31, exec_lo
                                        ; implicit-def: $sgpr17
	v_cmpx_lt_i16_e32 0x7f, v35
	s_xor_b32 s31, exec_lo, s31
	s_cbranch_execnz .LBB6_8108
; %bb.6675:                             ;   in Loop: Header=BB6_5734 Depth=3
	s_or_saveexec_b32 s31, s31
	v_mov_b32_e32 v73, s17
	s_xor_b32 exec_lo, exec_lo, s31
	s_cbranch_execnz .LBB6_8111
.LBB6_6676:                             ;   in Loop: Header=BB6_5734 Depth=3
	s_or_b32 exec_lo, exec_lo, s31
	s_and_saveexec_b32 s17, s13
	s_cbranch_execz .LBB6_6678
.LBB6_6677:                             ;   in Loop: Header=BB6_5734 Depth=3
	v_and_b32_e32 v35, 7, v20
	v_bfe_u32 v75, v20, 3, 4
	s_delay_alu instid0(VALU_DEP_2) | instskip(NEXT) | instid1(VALU_DEP_2)
	v_clz_i32_u32_e32 v73, v35
	v_cmp_eq_u32_e32 vcc_lo, 0, v75
	s_delay_alu instid0(VALU_DEP_2) | instskip(NEXT) | instid1(VALU_DEP_1)
	v_min_u32_e32 v73, 32, v73
	v_subrev_nc_u32_e32 v74, 28, v73
	v_sub_nc_u32_e32 v73, 29, v73
	s_delay_alu instid0(VALU_DEP_1) | instskip(NEXT) | instid1(VALU_DEP_1)
	v_dual_cndmask_b32 v73, v75, v73 :: v_dual_lshlrev_b32 v74, v74, v20
	v_and_b32_e32 v74, 7, v74
	v_lshlrev_b32_e32 v76, 24, v20
	s_delay_alu instid0(VALU_DEP_3) | instskip(NEXT) | instid1(VALU_DEP_2)
	v_lshl_add_u32 v73, v73, 23, 0x3b800000
	v_dual_cndmask_b32 v35, v35, v74 :: v_dual_and_b32 v74, 0x80000000, v76
	s_delay_alu instid0(VALU_DEP_1) | instskip(NEXT) | instid1(VALU_DEP_1)
	v_lshlrev_b32_e32 v35, 20, v35
	v_or3_b32 v73, v74, v73, v35
.LBB6_6678:                             ;   in Loop: Header=BB6_5734 Depth=3
	s_or_b32 exec_lo, exec_lo, s17
	s_waitcnt vmcnt(1)
	v_and_b32_e32 v74, 0xff, v16
	s_mov_b32 s13, 0
	s_mov_b32 s31, exec_lo
                                        ; implicit-def: $sgpr17
	s_delay_alu instid0(VALU_DEP_1)
	v_cmpx_lt_i16_e32 0x7f, v74
	s_xor_b32 s31, exec_lo, s31
	s_cbranch_execnz .LBB6_8112
; %bb.6679:                             ;   in Loop: Header=BB6_5734 Depth=3
	s_or_saveexec_b32 s31, s31
	v_mov_b32_e32 v35, s17
	s_xor_b32 exec_lo, exec_lo, s31
	s_cbranch_execnz .LBB6_8115
.LBB6_6680:                             ;   in Loop: Header=BB6_5734 Depth=3
	s_or_b32 exec_lo, exec_lo, s31
	s_and_saveexec_b32 s17, s13
	s_cbranch_execz .LBB6_6682
.LBB6_6681:                             ;   in Loop: Header=BB6_5734 Depth=3
	v_bfe_u32 v76, v16, 3, 4
	v_lshlrev_b32_e32 v77, 24, v16
	s_delay_alu instid0(VALU_DEP_2) | instskip(SKIP_1) | instid1(VALU_DEP_1)
	v_cmp_eq_u32_e32 vcc_lo, 0, v76
	v_and_b32_e32 v35, 7, v16
	v_clz_i32_u32_e32 v74, v35
	s_delay_alu instid0(VALU_DEP_1) | instskip(NEXT) | instid1(VALU_DEP_1)
	v_min_u32_e32 v74, 32, v74
	v_subrev_nc_u32_e32 v75, 28, v74
	v_sub_nc_u32_e32 v74, 29, v74
	s_delay_alu instid0(VALU_DEP_1) | instskip(NEXT) | instid1(VALU_DEP_1)
	v_dual_cndmask_b32 v74, v76, v74 :: v_dual_lshlrev_b32 v75, v75, v16
	v_and_b32_e32 v75, 7, v75
	s_delay_alu instid0(VALU_DEP_2) | instskip(NEXT) | instid1(VALU_DEP_2)
	v_lshl_add_u32 v74, v74, 23, 0x3b800000
	v_cndmask_b32_e32 v35, v35, v75, vcc_lo
	v_and_b32_e32 v75, 0x80000000, v77
	s_delay_alu instid0(VALU_DEP_2) | instskip(NEXT) | instid1(VALU_DEP_1)
	v_lshlrev_b32_e32 v35, 20, v35
	v_or3_b32 v35, v75, v74, v35
.LBB6_6682:                             ;   in Loop: Header=BB6_5734 Depth=3
	s_or_b32 exec_lo, exec_lo, s17
	s_delay_alu instid0(VALU_DEP_1) | instskip(SKIP_1) | instid1(VALU_DEP_1)
	v_max_f32_e32 v35, v35, v35
	v_max_f32_e32 v73, v73, v73
	v_min_f32_e32 v73, v73, v35
.LBB6_6683:                             ;   in Loop: Header=BB6_5734 Depth=3
	s_delay_alu instid0(VALU_DEP_1) | instskip(NEXT) | instid1(VALU_DEP_1)
	v_and_b32_e32 v35, 0x7f800000, v73
	v_cmp_ne_u32_e32 vcc_lo, 0x7f800000, v35
	v_mov_b32_e32 v35, 0x80
	s_and_saveexec_b32 s17, vcc_lo
	s_cbranch_execz .LBB6_6691
; %bb.6684:                             ;   in Loop: Header=BB6_5734 Depth=3
	v_mov_b32_e32 v35, 0
	s_mov_b32 s31, exec_lo
	v_cmpx_ne_u32_e32 0, v73
	s_cbranch_execz .LBB6_6690
; %bb.6685:                             ;   in Loop: Header=BB6_5734 Depth=3
	v_bfe_u32 v35, v73, 23, 8
	s_delay_alu instid0(VALU_DEP_1) | instskip(SKIP_1) | instid1(VALU_DEP_2)
	v_sub_nc_u32_e32 v75, 0x78, v35
	v_cmp_gt_u32_e32 vcc_lo, 0x79, v35
	v_dual_cndmask_b32 v75, 0, v75 :: v_dual_and_b32 v74, 0x7fffff, v73
	s_delay_alu instid0(VALU_DEP_1) | instskip(SKIP_2) | instid1(VALU_DEP_4)
	v_or_b32_e32 v76, 0x800000, v74
	v_cmp_eq_u32_e32 vcc_lo, 0, v35
	v_add_nc_u32_e32 v35, 0xffffff89, v35
	v_cndmask_b32_e64 v75, v75, 0x77, vcc_lo
	s_delay_alu instid0(VALU_DEP_4) | instskip(NEXT) | instid1(VALU_DEP_3)
	v_cndmask_b32_e32 v74, v76, v74, vcc_lo
	v_cndmask_b32_e64 v35, v35, 0xffffff8a, vcc_lo
	s_delay_alu instid0(VALU_DEP_3) | instskip(NEXT) | instid1(VALU_DEP_3)
	v_lshl_add_u32 v76, 0x100000, v75, -1
	v_lshrrev_b32_e32 v77, v75, v74
	v_lshlrev_b32_e64 v79, v75, 0x80000
	s_delay_alu instid0(VALU_DEP_4) | instskip(NEXT) | instid1(VALU_DEP_4)
	v_add_nc_u32_e32 v75, v75, v35
	v_and_b32_e32 v74, v76, v74
	s_delay_alu instid0(VALU_DEP_4) | instskip(NEXT) | instid1(VALU_DEP_2)
	v_bfe_u32 v78, v77, 20, 1
	v_cmp_eq_u32_e64 s13, v74, v79
	s_delay_alu instid0(VALU_DEP_2) | instskip(NEXT) | instid1(VALU_DEP_1)
	v_add_nc_u32_e32 v76, -1, v78
	v_cndmask_b32_e64 v74, 0, v76, s13
	v_lshrrev_b32_e32 v76, 23, v77
	s_mov_b32 s13, exec_lo
	s_delay_alu instid0(VALU_DEP_2) | instskip(NEXT) | instid1(VALU_DEP_2)
	v_add_nc_u32_e32 v74, v74, v77
	v_xor_b32_e32 v76, 1, v76
	s_delay_alu instid0(VALU_DEP_2) | instskip(NEXT) | instid1(VALU_DEP_1)
	v_and_b32_e32 v35, 0xfffff, v74
	v_add_nc_u32_e32 v74, v35, v77
                                        ; implicit-def: $vgpr35
	s_delay_alu instid0(VALU_DEP_3)
	v_cmpx_ne_u32_e64 v75, v76
	s_xor_b32 s13, exec_lo, s13
; %bb.6686:                             ;   in Loop: Header=BB6_5734 Depth=3
	s_delay_alu instid0(VALU_DEP_2) | instskip(SKIP_2) | instid1(VALU_DEP_2)
	v_cmp_lt_u32_e32 vcc_lo, 0xffffff, v74
	v_sub_nc_u32_e32 v35, v75, v76
	v_cndmask_b32_e64 v75, 0, 1, vcc_lo
	v_add_co_ci_u32_e32 v35, vcc_lo, 0, v35, vcc_lo
	s_delay_alu instid0(VALU_DEP_2)
	v_lshrrev_b32_e32 v74, v75, v74
; %bb.6687:                             ;   in Loop: Header=BB6_5734 Depth=3
	s_and_not1_saveexec_b32 s13, s13
; %bb.6688:                             ;   in Loop: Header=BB6_5734 Depth=3
	s_delay_alu instid0(VALU_DEP_1)
	v_bfe_u32 v35, v74, 23, 1
; %bb.6689:                             ;   in Loop: Header=BB6_5734 Depth=3
	s_or_b32 exec_lo, exec_lo, s13
	v_lshrrev_b32_e32 v74, 20, v74
	s_delay_alu instid0(VALU_DEP_2) | instskip(SKIP_2) | instid1(VALU_DEP_2)
	v_cmp_gt_i32_e32 vcc_lo, 16, v35
	v_lshrrev_b32_e32 v73, 24, v73
	v_min_i32_e32 v75, 15, v35
	v_dual_cndmask_b32 v74, 7, v74 :: v_dual_and_b32 v73, 0x80, v73
	s_delay_alu instid0(VALU_DEP_2) | instskip(NEXT) | instid1(VALU_DEP_2)
	v_lshlrev_b32_e32 v75, 3, v75
	v_or_b32_e32 v35, v35, v74
	s_delay_alu instid0(VALU_DEP_1) | instskip(SKIP_1) | instid1(VALU_DEP_1)
	v_cmp_ne_u32_e32 vcc_lo, 0, v35
	v_and_b32_e32 v76, 7, v74
	v_or3_b32 v73, v75, v73, v76
	s_delay_alu instid0(VALU_DEP_1)
	v_cndmask_b32_e32 v35, 0, v73, vcc_lo
.LBB6_6690:                             ;   in Loop: Header=BB6_5734 Depth=3
	s_or_b32 exec_lo, exec_lo, s31
.LBB6_6691:                             ;   in Loop: Header=BB6_5734 Depth=3
	s_delay_alu instid0(SALU_CYCLE_1) | instskip(SKIP_4) | instid1(VALU_DEP_2)
	s_or_b32 exec_lo, exec_lo, s17
	v_lshrrev_b16 v74, 8, v20
	s_waitcnt vmcnt(1)
	v_lshrrev_b16 v73, 8, v16
	s_and_not1_b32 vcc_lo, exec_lo, s16
	v_cmp_lt_i16_e64 s13, 0x7f, v74
	s_cbranch_vccnz .LBB6_6701
; %bb.6692:                             ;   in Loop: Header=BB6_5734 Depth=3
	s_mov_b32 s17, 0
                                        ; implicit-def: $sgpr31
	s_delay_alu instid0(VALU_DEP_1) | instskip(NEXT) | instid1(SALU_CYCLE_1)
	s_and_saveexec_b32 vcc_lo, s13
	s_xor_b32 s13, exec_lo, vcc_lo
	s_cbranch_execnz .LBB6_8116
; %bb.6693:                             ;   in Loop: Header=BB6_5734 Depth=3
	s_or_saveexec_b32 s13, s13
	v_mov_b32_e32 v75, s31
	s_xor_b32 exec_lo, exec_lo, s13
	s_cbranch_execnz .LBB6_8119
.LBB6_6694:                             ;   in Loop: Header=BB6_5734 Depth=3
	s_or_b32 exec_lo, exec_lo, s13
	s_and_saveexec_b32 s13, s17
	s_cbranch_execz .LBB6_6696
.LBB6_6695:                             ;   in Loop: Header=BB6_5734 Depth=3
	v_and_b32_e32 v75, 0xffff, v74
	s_delay_alu instid0(VALU_DEP_1) | instskip(NEXT) | instid1(VALU_DEP_1)
	v_and_b32_e32 v76, 7, v75
	v_clz_i32_u32_e32 v77, v76
	s_delay_alu instid0(VALU_DEP_1) | instskip(NEXT) | instid1(VALU_DEP_1)
	v_min_u32_e32 v77, 32, v77
	v_subrev_nc_u32_e32 v78, 28, v77
	v_sub_nc_u32_e32 v77, 29, v77
	s_delay_alu instid0(VALU_DEP_2) | instskip(SKIP_1) | instid1(VALU_DEP_2)
	v_lshlrev_b32_e32 v78, v78, v75
	v_bfe_u32 v75, v75, 3, 4
	v_and_b32_e32 v78, 7, v78
	s_delay_alu instid0(VALU_DEP_2) | instskip(SKIP_1) | instid1(VALU_DEP_3)
	v_cmp_eq_u32_e32 vcc_lo, 0, v75
	v_cndmask_b32_e32 v75, v75, v77, vcc_lo
	v_dual_cndmask_b32 v76, v76, v78 :: v_dual_lshlrev_b32 v79, 16, v20
	s_delay_alu instid0(VALU_DEP_2) | instskip(NEXT) | instid1(VALU_DEP_2)
	v_lshl_add_u32 v75, v75, 23, 0x3b800000
	v_and_b32_e32 v77, 0x80000000, v79
	s_delay_alu instid0(VALU_DEP_3) | instskip(NEXT) | instid1(VALU_DEP_1)
	v_lshlrev_b32_e32 v76, 20, v76
	v_or3_b32 v75, v77, v75, v76
.LBB6_6696:                             ;   in Loop: Header=BB6_5734 Depth=3
	s_or_b32 exec_lo, exec_lo, s13
	s_mov_b32 s13, 0
	s_mov_b32 s31, exec_lo
                                        ; implicit-def: $sgpr17
	v_cmpx_lt_i16_e32 0x7f, v73
	s_xor_b32 s31, exec_lo, s31
	s_cbranch_execnz .LBB6_8120
; %bb.6697:                             ;   in Loop: Header=BB6_5734 Depth=3
	s_or_saveexec_b32 s31, s31
	v_mov_b32_e32 v76, s17
	s_xor_b32 exec_lo, exec_lo, s31
	s_cbranch_execnz .LBB6_8123
.LBB6_6698:                             ;   in Loop: Header=BB6_5734 Depth=3
	s_or_b32 exec_lo, exec_lo, s31
	s_and_saveexec_b32 s17, s13
	s_cbranch_execz .LBB6_6700
.LBB6_6699:                             ;   in Loop: Header=BB6_5734 Depth=3
	v_and_b32_e32 v76, 0xffff, v73
	v_lshlrev_b32_e32 v88, 16, v16
	s_delay_alu instid0(VALU_DEP_2) | instskip(NEXT) | instid1(VALU_DEP_1)
	v_and_b32_e32 v77, 7, v76
	v_clz_i32_u32_e32 v78, v77
	s_delay_alu instid0(VALU_DEP_1) | instskip(NEXT) | instid1(VALU_DEP_1)
	v_min_u32_e32 v78, 32, v78
	v_subrev_nc_u32_e32 v79, 28, v78
	v_sub_nc_u32_e32 v78, 29, v78
	s_delay_alu instid0(VALU_DEP_2) | instskip(SKIP_1) | instid1(VALU_DEP_2)
	v_lshlrev_b32_e32 v79, v79, v76
	v_bfe_u32 v76, v76, 3, 4
	v_and_b32_e32 v79, 7, v79
	s_delay_alu instid0(VALU_DEP_2) | instskip(NEXT) | instid1(VALU_DEP_2)
	v_cmp_eq_u32_e32 vcc_lo, 0, v76
	v_dual_cndmask_b32 v76, v76, v78 :: v_dual_cndmask_b32 v77, v77, v79
	v_and_b32_e32 v78, 0x80000000, v88
	s_delay_alu instid0(VALU_DEP_2) | instskip(NEXT) | instid1(VALU_DEP_3)
	v_lshl_add_u32 v76, v76, 23, 0x3b800000
	v_lshlrev_b32_e32 v77, 20, v77
	s_delay_alu instid0(VALU_DEP_1)
	v_or3_b32 v76, v78, v76, v77
.LBB6_6700:                             ;   in Loop: Header=BB6_5734 Depth=3
	s_or_b32 exec_lo, exec_lo, s17
	s_delay_alu instid0(VALU_DEP_1) | instskip(SKIP_1) | instid1(VALU_DEP_1)
	v_dual_max_f32 v76, v76, v76 :: v_dual_max_f32 v75, v75, v75
	s_mov_b32 s13, 0
	v_max_f32_e32 v75, v75, v76
	s_branch .LBB6_6702
.LBB6_6701:                             ;   in Loop: Header=BB6_5734 Depth=3
	s_mov_b32 s13, -1
                                        ; implicit-def: $vgpr75
.LBB6_6702:                             ;   in Loop: Header=BB6_5734 Depth=3
	s_delay_alu instid0(SALU_CYCLE_1)
	s_and_b32 vcc_lo, exec_lo, s13
	s_cbranch_vccz .LBB6_6712
; %bb.6703:                             ;   in Loop: Header=BB6_5734 Depth=3
	s_mov_b32 s13, 0
	s_mov_b32 s31, exec_lo
                                        ; implicit-def: $sgpr17
	v_cmpx_lt_i16_e32 0x7f, v74
	s_xor_b32 s31, exec_lo, s31
	s_cbranch_execnz .LBB6_8124
; %bb.6704:                             ;   in Loop: Header=BB6_5734 Depth=3
	s_or_saveexec_b32 s31, s31
	v_mov_b32_e32 v75, s17
	s_xor_b32 exec_lo, exec_lo, s31
	s_cbranch_execnz .LBB6_8127
.LBB6_6705:                             ;   in Loop: Header=BB6_5734 Depth=3
	s_or_b32 exec_lo, exec_lo, s31
	s_and_saveexec_b32 s17, s13
	s_cbranch_execz .LBB6_6707
.LBB6_6706:                             ;   in Loop: Header=BB6_5734 Depth=3
	v_and_b32_e32 v74, 0xffff, v74
	v_lshlrev_b32_e32 v78, 16, v20
	s_delay_alu instid0(VALU_DEP_2) | instskip(NEXT) | instid1(VALU_DEP_1)
	v_and_b32_e32 v75, 7, v74
	v_clz_i32_u32_e32 v76, v75
	s_delay_alu instid0(VALU_DEP_1) | instskip(NEXT) | instid1(VALU_DEP_1)
	v_min_u32_e32 v76, 32, v76
	v_subrev_nc_u32_e32 v77, 28, v76
	v_sub_nc_u32_e32 v76, 29, v76
	s_delay_alu instid0(VALU_DEP_2) | instskip(SKIP_1) | instid1(VALU_DEP_2)
	v_lshlrev_b32_e32 v77, v77, v74
	v_bfe_u32 v74, v74, 3, 4
	v_and_b32_e32 v77, 7, v77
	s_delay_alu instid0(VALU_DEP_2) | instskip(NEXT) | instid1(VALU_DEP_2)
	v_cmp_eq_u32_e32 vcc_lo, 0, v74
	v_dual_cndmask_b32 v74, v74, v76 :: v_dual_cndmask_b32 v75, v75, v77
	v_and_b32_e32 v76, 0x80000000, v78
	s_delay_alu instid0(VALU_DEP_2) | instskip(NEXT) | instid1(VALU_DEP_3)
	v_lshl_add_u32 v74, v74, 23, 0x3b800000
	v_lshlrev_b32_e32 v75, 20, v75
	s_delay_alu instid0(VALU_DEP_1)
	v_or3_b32 v75, v76, v74, v75
.LBB6_6707:                             ;   in Loop: Header=BB6_5734 Depth=3
	s_or_b32 exec_lo, exec_lo, s17
	s_mov_b32 s13, 0
	s_mov_b32 s31, exec_lo
                                        ; implicit-def: $sgpr17
	v_cmpx_lt_i16_e32 0x7f, v73
	s_xor_b32 s31, exec_lo, s31
	s_cbranch_execnz .LBB6_8128
; %bb.6708:                             ;   in Loop: Header=BB6_5734 Depth=3
	s_or_saveexec_b32 s31, s31
	v_mov_b32_e32 v74, s17
	s_xor_b32 exec_lo, exec_lo, s31
	s_cbranch_execnz .LBB6_8131
.LBB6_6709:                             ;   in Loop: Header=BB6_5734 Depth=3
	s_or_b32 exec_lo, exec_lo, s31
	s_and_saveexec_b32 s17, s13
	s_cbranch_execz .LBB6_6711
.LBB6_6710:                             ;   in Loop: Header=BB6_5734 Depth=3
	v_and_b32_e32 v73, 0xffff, v73
	v_lshlrev_b32_e32 v78, 16, v16
	s_delay_alu instid0(VALU_DEP_2) | instskip(NEXT) | instid1(VALU_DEP_1)
	v_and_b32_e32 v74, 7, v73
	v_clz_i32_u32_e32 v76, v74
	s_delay_alu instid0(VALU_DEP_1) | instskip(NEXT) | instid1(VALU_DEP_1)
	v_min_u32_e32 v76, 32, v76
	v_subrev_nc_u32_e32 v77, 28, v76
	v_sub_nc_u32_e32 v76, 29, v76
	s_delay_alu instid0(VALU_DEP_2) | instskip(SKIP_1) | instid1(VALU_DEP_2)
	v_lshlrev_b32_e32 v77, v77, v73
	v_bfe_u32 v73, v73, 3, 4
	v_and_b32_e32 v77, 7, v77
	s_delay_alu instid0(VALU_DEP_2) | instskip(NEXT) | instid1(VALU_DEP_2)
	v_cmp_eq_u32_e32 vcc_lo, 0, v73
	v_dual_cndmask_b32 v73, v73, v76 :: v_dual_cndmask_b32 v74, v74, v77
	v_and_b32_e32 v76, 0x80000000, v78
	s_delay_alu instid0(VALU_DEP_2) | instskip(NEXT) | instid1(VALU_DEP_3)
	v_lshl_add_u32 v73, v73, 23, 0x3b800000
	v_lshlrev_b32_e32 v74, 20, v74
	s_delay_alu instid0(VALU_DEP_1)
	v_or3_b32 v74, v76, v73, v74
.LBB6_6711:                             ;   in Loop: Header=BB6_5734 Depth=3
	s_or_b32 exec_lo, exec_lo, s17
	s_delay_alu instid0(VALU_DEP_1) | instskip(NEXT) | instid1(VALU_DEP_1)
	v_dual_max_f32 v73, v74, v74 :: v_dual_max_f32 v74, v75, v75
	v_min_f32_e32 v75, v74, v73
.LBB6_6712:                             ;   in Loop: Header=BB6_5734 Depth=3
	s_delay_alu instid0(VALU_DEP_1) | instskip(NEXT) | instid1(VALU_DEP_1)
	v_and_b32_e32 v73, 0x7f800000, v75
	v_cmp_ne_u32_e32 vcc_lo, 0x7f800000, v73
	v_mov_b32_e32 v73, 0x80
	s_and_saveexec_b32 s17, vcc_lo
	s_cbranch_execz .LBB6_6720
; %bb.6713:                             ;   in Loop: Header=BB6_5734 Depth=3
	v_mov_b32_e32 v73, 0
	s_mov_b32 s31, exec_lo
	v_cmpx_ne_u32_e32 0, v75
	s_cbranch_execz .LBB6_6719
; %bb.6714:                             ;   in Loop: Header=BB6_5734 Depth=3
	v_bfe_u32 v73, v75, 23, 8
	v_and_b32_e32 v74, 0x7fffff, v75
	s_delay_alu instid0(VALU_DEP_2) | instskip(SKIP_1) | instid1(VALU_DEP_3)
	v_sub_nc_u32_e32 v76, 0x78, v73
	v_cmp_gt_u32_e32 vcc_lo, 0x79, v73
	v_or_b32_e32 v77, 0x800000, v74
	s_delay_alu instid0(VALU_DEP_3) | instskip(SKIP_2) | instid1(VALU_DEP_3)
	v_cndmask_b32_e32 v76, 0, v76, vcc_lo
	v_cmp_eq_u32_e32 vcc_lo, 0, v73
	v_add_nc_u32_e32 v73, 0xffffff89, v73
	v_cndmask_b32_e64 v76, v76, 0x77, vcc_lo
	v_cndmask_b32_e32 v74, v77, v74, vcc_lo
	s_delay_alu instid0(VALU_DEP_3) | instskip(NEXT) | instid1(VALU_DEP_3)
	v_cndmask_b32_e64 v73, v73, 0xffffff8a, vcc_lo
	v_lshl_add_u32 v77, 0x100000, v76, -1
	s_delay_alu instid0(VALU_DEP_3) | instskip(SKIP_1) | instid1(VALU_DEP_4)
	v_lshrrev_b32_e32 v78, v76, v74
	v_lshlrev_b32_e64 v88, v76, 0x80000
	v_add_nc_u32_e32 v76, v76, v73
	s_delay_alu instid0(VALU_DEP_4) | instskip(NEXT) | instid1(VALU_DEP_4)
	v_and_b32_e32 v74, v77, v74
	v_bfe_u32 v79, v78, 20, 1
	s_delay_alu instid0(VALU_DEP_2) | instskip(NEXT) | instid1(VALU_DEP_2)
	v_cmp_eq_u32_e64 s13, v74, v88
	v_add_nc_u32_e32 v77, -1, v79
	s_delay_alu instid0(VALU_DEP_1) | instskip(SKIP_2) | instid1(VALU_DEP_2)
	v_cndmask_b32_e64 v74, 0, v77, s13
	v_lshrrev_b32_e32 v77, 23, v78
	s_mov_b32 s13, exec_lo
	v_add_nc_u32_e32 v74, v74, v78
	s_delay_alu instid0(VALU_DEP_2) | instskip(NEXT) | instid1(VALU_DEP_2)
	v_xor_b32_e32 v77, 1, v77
	v_and_b32_e32 v73, 0xfffff, v74
	s_delay_alu instid0(VALU_DEP_1) | instskip(NEXT) | instid1(VALU_DEP_3)
	v_add_nc_u32_e32 v74, v73, v78
                                        ; implicit-def: $vgpr73
	v_cmpx_ne_u32_e64 v76, v77
	s_xor_b32 s13, exec_lo, s13
; %bb.6715:                             ;   in Loop: Header=BB6_5734 Depth=3
	s_delay_alu instid0(VALU_DEP_2) | instskip(SKIP_2) | instid1(VALU_DEP_2)
	v_cmp_lt_u32_e32 vcc_lo, 0xffffff, v74
	v_sub_nc_u32_e32 v73, v76, v77
	v_cndmask_b32_e64 v76, 0, 1, vcc_lo
	v_add_co_ci_u32_e32 v73, vcc_lo, 0, v73, vcc_lo
	s_delay_alu instid0(VALU_DEP_2)
	v_lshrrev_b32_e32 v74, v76, v74
; %bb.6716:                             ;   in Loop: Header=BB6_5734 Depth=3
	s_and_not1_saveexec_b32 s13, s13
; %bb.6717:                             ;   in Loop: Header=BB6_5734 Depth=3
	s_delay_alu instid0(VALU_DEP_1)
	v_bfe_u32 v73, v74, 23, 1
; %bb.6718:                             ;   in Loop: Header=BB6_5734 Depth=3
	s_or_b32 exec_lo, exec_lo, s13
	v_lshrrev_b32_e32 v74, 20, v74
	s_delay_alu instid0(VALU_DEP_2) | instskip(SKIP_2) | instid1(VALU_DEP_2)
	v_cmp_gt_i32_e32 vcc_lo, 16, v73
	v_lshrrev_b32_e32 v75, 24, v75
	v_min_i32_e32 v76, 15, v73
	v_dual_cndmask_b32 v74, 7, v74 :: v_dual_and_b32 v75, 0x80, v75
	s_delay_alu instid0(VALU_DEP_1) | instskip(SKIP_1) | instid1(VALU_DEP_2)
	v_or_b32_e32 v73, v73, v74
	v_and_b32_e32 v77, 7, v74
	v_cmp_ne_u32_e32 vcc_lo, 0, v73
	v_lshlrev_b32_e32 v76, 3, v76
	s_delay_alu instid0(VALU_DEP_1) | instskip(NEXT) | instid1(VALU_DEP_1)
	v_or3_b32 v74, v76, v75, v77
	v_cndmask_b32_e32 v73, 0, v74, vcc_lo
.LBB6_6719:                             ;   in Loop: Header=BB6_5734 Depth=3
	s_or_b32 exec_lo, exec_lo, s31
.LBB6_6720:                             ;   in Loop: Header=BB6_5734 Depth=3
	s_delay_alu instid0(SALU_CYCLE_1) | instskip(SKIP_3) | instid1(VALU_DEP_2)
	s_or_b32 exec_lo, exec_lo, s17
	v_lshrrev_b32_e32 v75, 16, v20
	v_lshrrev_b32_e32 v74, 16, v16
	s_and_not1_b32 vcc_lo, exec_lo, s16
	v_and_b32_e32 v76, 0xff, v75
	s_delay_alu instid0(VALU_DEP_1)
	v_cmp_lt_i16_e64 s13, 0x7f, v76
	s_cbranch_vccnz .LBB6_6730
; %bb.6721:                             ;   in Loop: Header=BB6_5734 Depth=3
	s_mov_b32 s17, 0
                                        ; implicit-def: $sgpr31
	s_delay_alu instid0(VALU_DEP_1) | instskip(NEXT) | instid1(SALU_CYCLE_1)
	s_and_saveexec_b32 vcc_lo, s13
	s_xor_b32 s13, exec_lo, vcc_lo
	s_cbranch_execnz .LBB6_8132
; %bb.6722:                             ;   in Loop: Header=BB6_5734 Depth=3
	s_or_saveexec_b32 s13, s13
	v_mov_b32_e32 v77, s31
	s_xor_b32 exec_lo, exec_lo, s13
	s_cbranch_execnz .LBB6_8135
.LBB6_6723:                             ;   in Loop: Header=BB6_5734 Depth=3
	s_or_b32 exec_lo, exec_lo, s13
	s_and_saveexec_b32 s13, s17
	s_cbranch_execz .LBB6_6725
.LBB6_6724:                             ;   in Loop: Header=BB6_5734 Depth=3
	v_bfe_u32 v77, v20, 16, 3
	v_bfe_u32 v88, v20, 19, 4
	v_lshlrev_b32_e32 v89, 24, v75
	s_delay_alu instid0(VALU_DEP_3) | instskip(NEXT) | instid1(VALU_DEP_3)
	v_clz_i32_u32_e32 v78, v77
	v_cmp_eq_u32_e32 vcc_lo, 0, v88
	s_delay_alu instid0(VALU_DEP_2) | instskip(NEXT) | instid1(VALU_DEP_1)
	v_min_u32_e32 v78, 32, v78
	v_subrev_nc_u32_e32 v79, 28, v78
	v_sub_nc_u32_e32 v78, 29, v78
	s_delay_alu instid0(VALU_DEP_1) | instskip(NEXT) | instid1(VALU_DEP_1)
	v_dual_cndmask_b32 v78, v88, v78 :: v_dual_lshlrev_b32 v79, v79, v75
	v_and_b32_e32 v79, 7, v79
	s_delay_alu instid0(VALU_DEP_2) | instskip(NEXT) | instid1(VALU_DEP_2)
	v_lshl_add_u32 v78, v78, 23, 0x3b800000
	v_cndmask_b32_e32 v77, v77, v79, vcc_lo
	v_and_b32_e32 v79, 0x80000000, v89
	s_delay_alu instid0(VALU_DEP_2) | instskip(NEXT) | instid1(VALU_DEP_1)
	v_lshlrev_b32_e32 v77, 20, v77
	v_or3_b32 v77, v79, v78, v77
.LBB6_6725:                             ;   in Loop: Header=BB6_5734 Depth=3
	s_or_b32 exec_lo, exec_lo, s13
	v_and_b32_e32 v79, 0xff, v74
	s_mov_b32 s13, 0
	s_mov_b32 s31, exec_lo
                                        ; implicit-def: $sgpr17
	s_delay_alu instid0(VALU_DEP_1)
	v_cmpx_lt_i16_e32 0x7f, v79
	s_xor_b32 s31, exec_lo, s31
	s_cbranch_execnz .LBB6_8136
; %bb.6726:                             ;   in Loop: Header=BB6_5734 Depth=3
	s_or_saveexec_b32 s31, s31
	v_mov_b32_e32 v78, s17
	s_xor_b32 exec_lo, exec_lo, s31
	s_cbranch_execnz .LBB6_8139
.LBB6_6727:                             ;   in Loop: Header=BB6_5734 Depth=3
	s_or_b32 exec_lo, exec_lo, s31
	s_and_saveexec_b32 s17, s13
	s_cbranch_execz .LBB6_6729
.LBB6_6728:                             ;   in Loop: Header=BB6_5734 Depth=3
	v_bfe_u32 v78, v16, 16, 3
	v_bfe_u32 v89, v16, 19, 4
	v_lshlrev_b32_e32 v90, 24, v74
	s_delay_alu instid0(VALU_DEP_3) | instskip(NEXT) | instid1(VALU_DEP_3)
	v_clz_i32_u32_e32 v79, v78
	v_cmp_eq_u32_e32 vcc_lo, 0, v89
	s_delay_alu instid0(VALU_DEP_2) | instskip(NEXT) | instid1(VALU_DEP_1)
	v_min_u32_e32 v79, 32, v79
	v_subrev_nc_u32_e32 v88, 28, v79
	v_sub_nc_u32_e32 v79, 29, v79
	s_delay_alu instid0(VALU_DEP_1) | instskip(NEXT) | instid1(VALU_DEP_1)
	v_dual_cndmask_b32 v79, v89, v79 :: v_dual_lshlrev_b32 v88, v88, v74
	v_and_b32_e32 v88, 7, v88
	s_delay_alu instid0(VALU_DEP_2) | instskip(NEXT) | instid1(VALU_DEP_2)
	v_lshl_add_u32 v79, v79, 23, 0x3b800000
	v_cndmask_b32_e32 v78, v78, v88, vcc_lo
	v_and_b32_e32 v88, 0x80000000, v90
	s_delay_alu instid0(VALU_DEP_2) | instskip(NEXT) | instid1(VALU_DEP_1)
	v_lshlrev_b32_e32 v78, 20, v78
	v_or3_b32 v78, v88, v79, v78
.LBB6_6729:                             ;   in Loop: Header=BB6_5734 Depth=3
	s_or_b32 exec_lo, exec_lo, s17
	s_delay_alu instid0(VALU_DEP_1) | instskip(SKIP_1) | instid1(VALU_DEP_1)
	v_dual_max_f32 v78, v78, v78 :: v_dual_max_f32 v77, v77, v77
	s_mov_b32 s13, 0
	v_max_f32_e32 v77, v77, v78
	s_branch .LBB6_6731
.LBB6_6730:                             ;   in Loop: Header=BB6_5734 Depth=3
	s_mov_b32 s13, -1
                                        ; implicit-def: $vgpr77
.LBB6_6731:                             ;   in Loop: Header=BB6_5734 Depth=3
	s_delay_alu instid0(SALU_CYCLE_1)
	s_and_b32 vcc_lo, exec_lo, s13
	s_cbranch_vccz .LBB6_6741
; %bb.6732:                             ;   in Loop: Header=BB6_5734 Depth=3
	s_mov_b32 s13, 0
	s_mov_b32 s31, exec_lo
                                        ; implicit-def: $sgpr17
	v_cmpx_lt_i16_e32 0x7f, v76
	s_xor_b32 s31, exec_lo, s31
	s_cbranch_execnz .LBB6_8140
; %bb.6733:                             ;   in Loop: Header=BB6_5734 Depth=3
	s_or_saveexec_b32 s31, s31
	v_mov_b32_e32 v77, s17
	s_xor_b32 exec_lo, exec_lo, s31
	s_cbranch_execnz .LBB6_8143
.LBB6_6734:                             ;   in Loop: Header=BB6_5734 Depth=3
	s_or_b32 exec_lo, exec_lo, s31
	s_and_saveexec_b32 s17, s13
	s_cbranch_execz .LBB6_6736
.LBB6_6735:                             ;   in Loop: Header=BB6_5734 Depth=3
	v_bfe_u32 v76, v20, 16, 3
	v_bfe_u32 v79, v20, 19, 4
	s_delay_alu instid0(VALU_DEP_2) | instskip(NEXT) | instid1(VALU_DEP_2)
	v_clz_i32_u32_e32 v77, v76
	v_cmp_eq_u32_e32 vcc_lo, 0, v79
	s_delay_alu instid0(VALU_DEP_2) | instskip(NEXT) | instid1(VALU_DEP_1)
	v_min_u32_e32 v77, 32, v77
	v_subrev_nc_u32_e32 v78, 28, v77
	v_sub_nc_u32_e32 v77, 29, v77
	s_delay_alu instid0(VALU_DEP_1) | instskip(NEXT) | instid1(VALU_DEP_1)
	v_dual_cndmask_b32 v77, v79, v77 :: v_dual_lshlrev_b32 v78, v78, v75
	v_and_b32_e32 v78, 7, v78
	v_lshlrev_b32_e32 v75, 24, v75
	s_delay_alu instid0(VALU_DEP_3) | instskip(NEXT) | instid1(VALU_DEP_2)
	v_lshl_add_u32 v77, v77, 23, 0x3b800000
	v_dual_cndmask_b32 v76, v76, v78 :: v_dual_and_b32 v75, 0x80000000, v75
	s_delay_alu instid0(VALU_DEP_1) | instskip(NEXT) | instid1(VALU_DEP_1)
	v_lshlrev_b32_e32 v76, 20, v76
	v_or3_b32 v77, v75, v77, v76
.LBB6_6736:                             ;   in Loop: Header=BB6_5734 Depth=3
	s_or_b32 exec_lo, exec_lo, s17
	v_and_b32_e32 v76, 0xff, v74
	s_mov_b32 s13, 0
	s_mov_b32 s31, exec_lo
                                        ; implicit-def: $sgpr17
	s_delay_alu instid0(VALU_DEP_1)
	v_cmpx_lt_i16_e32 0x7f, v76
	s_xor_b32 s31, exec_lo, s31
	s_cbranch_execnz .LBB6_8144
; %bb.6737:                             ;   in Loop: Header=BB6_5734 Depth=3
	s_or_saveexec_b32 s31, s31
	v_mov_b32_e32 v75, s17
	s_xor_b32 exec_lo, exec_lo, s31
	s_cbranch_execnz .LBB6_8147
.LBB6_6738:                             ;   in Loop: Header=BB6_5734 Depth=3
	s_or_b32 exec_lo, exec_lo, s31
	s_and_saveexec_b32 s17, s13
	s_cbranch_execz .LBB6_6740
.LBB6_6739:                             ;   in Loop: Header=BB6_5734 Depth=3
	v_bfe_u32 v75, v16, 16, 3
	v_bfe_u32 v79, v16, 19, 4
	s_delay_alu instid0(VALU_DEP_2) | instskip(NEXT) | instid1(VALU_DEP_2)
	v_clz_i32_u32_e32 v76, v75
	v_cmp_eq_u32_e32 vcc_lo, 0, v79
	s_delay_alu instid0(VALU_DEP_2) | instskip(NEXT) | instid1(VALU_DEP_1)
	v_min_u32_e32 v76, 32, v76
	v_subrev_nc_u32_e32 v78, 28, v76
	v_sub_nc_u32_e32 v76, 29, v76
	s_delay_alu instid0(VALU_DEP_2) | instskip(SKIP_1) | instid1(VALU_DEP_2)
	v_lshlrev_b32_e32 v78, v78, v74
	v_lshlrev_b32_e32 v74, 24, v74
	v_and_b32_e32 v78, 7, v78
	s_delay_alu instid0(VALU_DEP_2) | instskip(NEXT) | instid1(VALU_DEP_2)
	v_and_b32_e32 v74, 0x80000000, v74
	v_cndmask_b32_e32 v75, v75, v78, vcc_lo
	s_delay_alu instid0(VALU_DEP_1) | instskip(NEXT) | instid1(VALU_DEP_1)
	v_dual_cndmask_b32 v76, v79, v76 :: v_dual_lshlrev_b32 v75, 20, v75
	v_lshl_add_u32 v76, v76, 23, 0x3b800000
	s_delay_alu instid0(VALU_DEP_1)
	v_or3_b32 v75, v74, v76, v75
.LBB6_6740:                             ;   in Loop: Header=BB6_5734 Depth=3
	s_or_b32 exec_lo, exec_lo, s17
	s_delay_alu instid0(VALU_DEP_1) | instskip(NEXT) | instid1(VALU_DEP_1)
	v_dual_max_f32 v74, v75, v75 :: v_dual_max_f32 v75, v77, v77
	v_min_f32_e32 v77, v75, v74
.LBB6_6741:                             ;   in Loop: Header=BB6_5734 Depth=3
	s_delay_alu instid0(VALU_DEP_1) | instskip(NEXT) | instid1(VALU_DEP_1)
	v_and_b32_e32 v74, 0x7f800000, v77
	v_cmp_ne_u32_e32 vcc_lo, 0x7f800000, v74
	v_mov_b32_e32 v74, 0x80
	s_and_saveexec_b32 s17, vcc_lo
	s_cbranch_execz .LBB6_6749
; %bb.6742:                             ;   in Loop: Header=BB6_5734 Depth=3
	v_mov_b32_e32 v74, 0
	s_mov_b32 s31, exec_lo
	v_cmpx_ne_u32_e32 0, v77
	s_cbranch_execz .LBB6_6748
; %bb.6743:                             ;   in Loop: Header=BB6_5734 Depth=3
	v_bfe_u32 v74, v77, 23, 8
	s_delay_alu instid0(VALU_DEP_1) | instskip(SKIP_1) | instid1(VALU_DEP_2)
	v_sub_nc_u32_e32 v76, 0x78, v74
	v_cmp_gt_u32_e32 vcc_lo, 0x79, v74
	v_dual_cndmask_b32 v76, 0, v76 :: v_dual_and_b32 v75, 0x7fffff, v77
	s_delay_alu instid0(VALU_DEP_1) | instskip(SKIP_2) | instid1(VALU_DEP_4)
	v_or_b32_e32 v78, 0x800000, v75
	v_cmp_eq_u32_e32 vcc_lo, 0, v74
	v_add_nc_u32_e32 v74, 0xffffff89, v74
	v_cndmask_b32_e64 v76, v76, 0x77, vcc_lo
	s_delay_alu instid0(VALU_DEP_4) | instskip(NEXT) | instid1(VALU_DEP_3)
	v_cndmask_b32_e32 v75, v78, v75, vcc_lo
	v_cndmask_b32_e64 v74, v74, 0xffffff8a, vcc_lo
	s_delay_alu instid0(VALU_DEP_3) | instskip(NEXT) | instid1(VALU_DEP_3)
	v_lshl_add_u32 v78, 0x100000, v76, -1
	v_lshrrev_b32_e32 v79, v76, v75
	v_lshlrev_b32_e64 v89, v76, 0x80000
	s_delay_alu instid0(VALU_DEP_4) | instskip(NEXT) | instid1(VALU_DEP_4)
	v_add_nc_u32_e32 v76, v76, v74
	v_and_b32_e32 v75, v78, v75
	s_delay_alu instid0(VALU_DEP_4) | instskip(NEXT) | instid1(VALU_DEP_2)
	v_bfe_u32 v88, v79, 20, 1
	v_cmp_eq_u32_e64 s13, v75, v89
	s_delay_alu instid0(VALU_DEP_2) | instskip(NEXT) | instid1(VALU_DEP_1)
	v_add_nc_u32_e32 v78, -1, v88
	v_cndmask_b32_e64 v75, 0, v78, s13
	v_lshrrev_b32_e32 v78, 23, v79
	s_mov_b32 s13, exec_lo
	s_delay_alu instid0(VALU_DEP_2) | instskip(NEXT) | instid1(VALU_DEP_2)
	v_add_nc_u32_e32 v75, v75, v79
	v_xor_b32_e32 v78, 1, v78
	s_delay_alu instid0(VALU_DEP_2) | instskip(NEXT) | instid1(VALU_DEP_1)
	v_and_b32_e32 v74, 0xfffff, v75
	v_add_nc_u32_e32 v75, v74, v79
                                        ; implicit-def: $vgpr74
	s_delay_alu instid0(VALU_DEP_3)
	v_cmpx_ne_u32_e64 v76, v78
	s_xor_b32 s13, exec_lo, s13
; %bb.6744:                             ;   in Loop: Header=BB6_5734 Depth=3
	s_delay_alu instid0(VALU_DEP_2) | instskip(SKIP_2) | instid1(VALU_DEP_2)
	v_cmp_lt_u32_e32 vcc_lo, 0xffffff, v75
	v_sub_nc_u32_e32 v74, v76, v78
	v_cndmask_b32_e64 v76, 0, 1, vcc_lo
	v_add_co_ci_u32_e32 v74, vcc_lo, 0, v74, vcc_lo
	s_delay_alu instid0(VALU_DEP_2)
	v_lshrrev_b32_e32 v75, v76, v75
; %bb.6745:                             ;   in Loop: Header=BB6_5734 Depth=3
	s_and_not1_saveexec_b32 s13, s13
; %bb.6746:                             ;   in Loop: Header=BB6_5734 Depth=3
	s_delay_alu instid0(VALU_DEP_1)
	v_bfe_u32 v74, v75, 23, 1
; %bb.6747:                             ;   in Loop: Header=BB6_5734 Depth=3
	s_or_b32 exec_lo, exec_lo, s13
	v_lshrrev_b32_e32 v75, 20, v75
	s_delay_alu instid0(VALU_DEP_2) | instskip(SKIP_2) | instid1(VALU_DEP_2)
	v_cmp_gt_i32_e32 vcc_lo, 16, v74
	v_lshrrev_b32_e32 v76, 24, v77
	v_min_i32_e32 v77, 15, v74
	v_dual_cndmask_b32 v75, 7, v75 :: v_dual_and_b32 v76, 0x80, v76
	s_delay_alu instid0(VALU_DEP_1) | instskip(SKIP_1) | instid1(VALU_DEP_2)
	v_or_b32_e32 v74, v74, v75
	v_and_b32_e32 v78, 7, v75
	v_cmp_ne_u32_e32 vcc_lo, 0, v74
	v_lshlrev_b32_e32 v77, 3, v77
	s_delay_alu instid0(VALU_DEP_1) | instskip(NEXT) | instid1(VALU_DEP_1)
	v_or3_b32 v75, v77, v76, v78
	v_cndmask_b32_e32 v74, 0, v75, vcc_lo
.LBB6_6748:                             ;   in Loop: Header=BB6_5734 Depth=3
	s_or_b32 exec_lo, exec_lo, s31
.LBB6_6749:                             ;   in Loop: Header=BB6_5734 Depth=3
	s_delay_alu instid0(SALU_CYCLE_1) | instskip(SKIP_3) | instid1(VALU_DEP_2)
	s_or_b32 exec_lo, exec_lo, s17
	v_lshrrev_b32_e32 v76, 24, v20
	v_lshrrev_b32_e32 v75, 24, v16
	s_and_not1_b32 vcc_lo, exec_lo, s16
	v_cmp_lt_i16_e64 s13, 0x7f, v76
	s_cbranch_vccnz .LBB6_6759
; %bb.6750:                             ;   in Loop: Header=BB6_5734 Depth=3
	s_mov_b32 s17, 0
                                        ; implicit-def: $sgpr31
	s_delay_alu instid0(VALU_DEP_1) | instskip(NEXT) | instid1(SALU_CYCLE_1)
	s_and_saveexec_b32 vcc_lo, s13
	s_xor_b32 s13, exec_lo, vcc_lo
	s_cbranch_execnz .LBB6_8148
; %bb.6751:                             ;   in Loop: Header=BB6_5734 Depth=3
	s_or_saveexec_b32 s13, s13
	v_mov_b32_e32 v77, s31
	s_xor_b32 exec_lo, exec_lo, s13
	s_cbranch_execnz .LBB6_8151
.LBB6_6752:                             ;   in Loop: Header=BB6_5734 Depth=3
	s_or_b32 exec_lo, exec_lo, s13
	s_and_saveexec_b32 s13, s17
	s_cbranch_execz .LBB6_6754
.LBB6_6753:                             ;   in Loop: Header=BB6_5734 Depth=3
	v_bfe_u32 v77, v20, 24, 3
	v_bfe_u32 v88, v20, 27, 4
	s_delay_alu instid0(VALU_DEP_2) | instskip(NEXT) | instid1(VALU_DEP_2)
	v_clz_i32_u32_e32 v78, v77
	v_cmp_eq_u32_e32 vcc_lo, 0, v88
	s_delay_alu instid0(VALU_DEP_2) | instskip(NEXT) | instid1(VALU_DEP_1)
	v_min_u32_e32 v78, 32, v78
	v_subrev_nc_u32_e32 v79, 28, v78
	v_sub_nc_u32_e32 v78, 29, v78
	s_delay_alu instid0(VALU_DEP_1) | instskip(NEXT) | instid1(VALU_DEP_1)
	v_dual_cndmask_b32 v78, v88, v78 :: v_dual_lshlrev_b32 v79, v79, v76
	v_and_b32_e32 v79, 7, v79
	s_delay_alu instid0(VALU_DEP_2) | instskip(NEXT) | instid1(VALU_DEP_2)
	v_lshl_add_u32 v78, v78, 23, 0x3b800000
	v_cndmask_b32_e32 v77, v77, v79, vcc_lo
	v_and_b32_e32 v79, 0x80000000, v20
	s_delay_alu instid0(VALU_DEP_2) | instskip(NEXT) | instid1(VALU_DEP_1)
	v_lshlrev_b32_e32 v77, 20, v77
	v_or3_b32 v77, v79, v78, v77
.LBB6_6754:                             ;   in Loop: Header=BB6_5734 Depth=3
	s_or_b32 exec_lo, exec_lo, s13
	s_mov_b32 s13, 0
	s_mov_b32 s31, exec_lo
                                        ; implicit-def: $sgpr17
	v_cmpx_lt_i16_e32 0x7f, v75
	s_xor_b32 s31, exec_lo, s31
	s_cbranch_execnz .LBB6_8152
; %bb.6755:                             ;   in Loop: Header=BB6_5734 Depth=3
	s_or_saveexec_b32 s31, s31
	v_mov_b32_e32 v78, s17
	s_xor_b32 exec_lo, exec_lo, s31
	s_cbranch_execnz .LBB6_8155
.LBB6_6756:                             ;   in Loop: Header=BB6_5734 Depth=3
	s_or_b32 exec_lo, exec_lo, s31
	s_and_saveexec_b32 s17, s13
	s_cbranch_execz .LBB6_6758
.LBB6_6757:                             ;   in Loop: Header=BB6_5734 Depth=3
	v_bfe_u32 v78, v16, 24, 3
	v_bfe_u32 v89, v16, 27, 4
	s_delay_alu instid0(VALU_DEP_2) | instskip(NEXT) | instid1(VALU_DEP_2)
	v_clz_i32_u32_e32 v79, v78
	v_cmp_eq_u32_e32 vcc_lo, 0, v89
	s_delay_alu instid0(VALU_DEP_2) | instskip(NEXT) | instid1(VALU_DEP_1)
	v_min_u32_e32 v79, 32, v79
	v_subrev_nc_u32_e32 v88, 28, v79
	v_sub_nc_u32_e32 v79, 29, v79
	s_delay_alu instid0(VALU_DEP_2) | instskip(NEXT) | instid1(VALU_DEP_1)
	v_lshlrev_b32_e32 v88, v88, v75
	v_dual_cndmask_b32 v79, v89, v79 :: v_dual_and_b32 v88, 7, v88
	s_delay_alu instid0(VALU_DEP_1) | instskip(NEXT) | instid1(VALU_DEP_2)
	v_lshl_add_u32 v79, v79, 23, 0x3b800000
	v_cndmask_b32_e32 v78, v78, v88, vcc_lo
	v_and_b32_e32 v88, 0x80000000, v16
	s_delay_alu instid0(VALU_DEP_2) | instskip(NEXT) | instid1(VALU_DEP_1)
	v_lshlrev_b32_e32 v78, 20, v78
	v_or3_b32 v78, v88, v79, v78
.LBB6_6758:                             ;   in Loop: Header=BB6_5734 Depth=3
	s_or_b32 exec_lo, exec_lo, s17
	s_delay_alu instid0(VALU_DEP_1) | instskip(SKIP_1) | instid1(VALU_DEP_1)
	v_dual_max_f32 v78, v78, v78 :: v_dual_max_f32 v77, v77, v77
	s_mov_b32 s13, 0
	v_max_f32_e32 v77, v77, v78
	s_branch .LBB6_6760
.LBB6_6759:                             ;   in Loop: Header=BB6_5734 Depth=3
	s_mov_b32 s13, -1
                                        ; implicit-def: $vgpr77
.LBB6_6760:                             ;   in Loop: Header=BB6_5734 Depth=3
	s_delay_alu instid0(SALU_CYCLE_1)
	s_and_b32 vcc_lo, exec_lo, s13
	s_cbranch_vccz .LBB6_6770
; %bb.6761:                             ;   in Loop: Header=BB6_5734 Depth=3
	s_mov_b32 s13, 0
	s_mov_b32 s31, exec_lo
                                        ; implicit-def: $sgpr17
	v_cmpx_lt_i16_e32 0x7f, v76
	s_xor_b32 s31, exec_lo, s31
	s_cbranch_execnz .LBB6_8156
; %bb.6762:                             ;   in Loop: Header=BB6_5734 Depth=3
	s_or_saveexec_b32 s31, s31
	v_mov_b32_e32 v77, s17
	s_xor_b32 exec_lo, exec_lo, s31
	s_cbranch_execnz .LBB6_8159
.LBB6_6763:                             ;   in Loop: Header=BB6_5734 Depth=3
	s_or_b32 exec_lo, exec_lo, s31
	s_and_saveexec_b32 s17, s13
	s_cbranch_execz .LBB6_6765
.LBB6_6764:                             ;   in Loop: Header=BB6_5734 Depth=3
	v_bfe_u32 v77, v20, 24, 3
	s_delay_alu instid0(VALU_DEP_1) | instskip(NEXT) | instid1(VALU_DEP_1)
	v_clz_i32_u32_e32 v78, v77
	v_min_u32_e32 v78, 32, v78
	s_delay_alu instid0(VALU_DEP_1) | instskip(SKIP_1) | instid1(VALU_DEP_2)
	v_subrev_nc_u32_e32 v79, 28, v78
	v_sub_nc_u32_e32 v78, 29, v78
	v_lshlrev_b32_e32 v76, v79, v76
	v_bfe_u32 v79, v20, 27, 4
	v_and_b32_e32 v20, 0x80000000, v20
	s_delay_alu instid0(VALU_DEP_3) | instskip(NEXT) | instid1(VALU_DEP_3)
	v_and_b32_e32 v76, 7, v76
	v_cmp_eq_u32_e32 vcc_lo, 0, v79
	v_cndmask_b32_e32 v78, v79, v78, vcc_lo
	s_delay_alu instid0(VALU_DEP_3) | instskip(NEXT) | instid1(VALU_DEP_2)
	v_cndmask_b32_e32 v76, v77, v76, vcc_lo
	v_lshl_add_u32 v77, v78, 23, 0x3b800000
	s_delay_alu instid0(VALU_DEP_2) | instskip(NEXT) | instid1(VALU_DEP_1)
	v_lshlrev_b32_e32 v76, 20, v76
	v_or3_b32 v77, v20, v77, v76
.LBB6_6765:                             ;   in Loop: Header=BB6_5734 Depth=3
	s_or_b32 exec_lo, exec_lo, s17
	s_mov_b32 s13, 0
	s_mov_b32 s31, exec_lo
                                        ; implicit-def: $sgpr17
	v_cmpx_lt_i16_e32 0x7f, v75
	s_xor_b32 s31, exec_lo, s31
	s_cbranch_execnz .LBB6_8160
; %bb.6766:                             ;   in Loop: Header=BB6_5734 Depth=3
	s_or_saveexec_b32 s31, s31
	v_mov_b32_e32 v20, s17
	s_xor_b32 exec_lo, exec_lo, s31
	s_cbranch_execnz .LBB6_8163
.LBB6_6767:                             ;   in Loop: Header=BB6_5734 Depth=3
	s_or_b32 exec_lo, exec_lo, s31
	s_and_saveexec_b32 s17, s13
	s_cbranch_execz .LBB6_6769
.LBB6_6768:                             ;   in Loop: Header=BB6_5734 Depth=3
	v_bfe_u32 v20, v16, 24, 3
	s_delay_alu instid0(VALU_DEP_1) | instskip(NEXT) | instid1(VALU_DEP_1)
	v_clz_i32_u32_e32 v76, v20
	v_min_u32_e32 v76, 32, v76
	s_delay_alu instid0(VALU_DEP_1) | instskip(SKIP_1) | instid1(VALU_DEP_2)
	v_subrev_nc_u32_e32 v78, 28, v76
	v_sub_nc_u32_e32 v76, 29, v76
	v_lshlrev_b32_e32 v75, v78, v75
	v_bfe_u32 v78, v16, 27, 4
	v_and_b32_e32 v16, 0x80000000, v16
	s_delay_alu instid0(VALU_DEP_2) | instskip(NEXT) | instid1(VALU_DEP_4)
	v_cmp_eq_u32_e32 vcc_lo, 0, v78
	v_dual_cndmask_b32 v76, v78, v76 :: v_dual_and_b32 v75, 7, v75
	s_delay_alu instid0(VALU_DEP_1) | instskip(NEXT) | instid1(VALU_DEP_2)
	v_cndmask_b32_e32 v20, v20, v75, vcc_lo
	v_lshl_add_u32 v75, v76, 23, 0x3b800000
	s_delay_alu instid0(VALU_DEP_2) | instskip(NEXT) | instid1(VALU_DEP_1)
	v_lshlrev_b32_e32 v20, 20, v20
	v_or3_b32 v20, v16, v75, v20
.LBB6_6769:                             ;   in Loop: Header=BB6_5734 Depth=3
	s_or_b32 exec_lo, exec_lo, s17
	s_delay_alu instid0(VALU_DEP_1) | instskip(SKIP_1) | instid1(VALU_DEP_1)
	v_max_f32_e32 v16, v20, v20
	v_max_f32_e32 v20, v77, v77
	v_min_f32_e32 v77, v20, v16
.LBB6_6770:                             ;   in Loop: Header=BB6_5734 Depth=3
	s_delay_alu instid0(VALU_DEP_1) | instskip(NEXT) | instid1(VALU_DEP_1)
	v_and_b32_e32 v16, 0x7f800000, v77
	v_cmp_ne_u32_e32 vcc_lo, 0x7f800000, v16
	v_mov_b32_e32 v16, 0x80
	s_and_saveexec_b32 s17, vcc_lo
	s_cbranch_execz .LBB6_6778
; %bb.6771:                             ;   in Loop: Header=BB6_5734 Depth=3
	v_mov_b32_e32 v16, 0
	s_mov_b32 s31, exec_lo
	v_cmpx_ne_u32_e32 0, v77
	s_cbranch_execz .LBB6_6777
; %bb.6772:                             ;   in Loop: Header=BB6_5734 Depth=3
	v_bfe_u32 v16, v77, 23, 8
	s_delay_alu instid0(VALU_DEP_1) | instskip(SKIP_1) | instid1(VALU_DEP_2)
	v_sub_nc_u32_e32 v75, 0x78, v16
	v_cmp_gt_u32_e32 vcc_lo, 0x79, v16
	v_dual_cndmask_b32 v75, 0, v75 :: v_dual_and_b32 v20, 0x7fffff, v77
	s_delay_alu instid0(VALU_DEP_1) | instskip(SKIP_2) | instid1(VALU_DEP_4)
	v_or_b32_e32 v76, 0x800000, v20
	v_cmp_eq_u32_e32 vcc_lo, 0, v16
	v_add_nc_u32_e32 v16, 0xffffff89, v16
	v_cndmask_b32_e64 v75, v75, 0x77, vcc_lo
	s_delay_alu instid0(VALU_DEP_4) | instskip(NEXT) | instid1(VALU_DEP_3)
	v_cndmask_b32_e32 v20, v76, v20, vcc_lo
	v_cndmask_b32_e64 v16, v16, 0xffffff8a, vcc_lo
	s_delay_alu instid0(VALU_DEP_3) | instskip(NEXT) | instid1(VALU_DEP_3)
	v_lshl_add_u32 v76, 0x100000, v75, -1
	v_lshrrev_b32_e32 v78, v75, v20
	v_lshlrev_b32_e64 v88, v75, 0x80000
	s_delay_alu instid0(VALU_DEP_4) | instskip(NEXT) | instid1(VALU_DEP_4)
	v_add_nc_u32_e32 v75, v75, v16
	v_and_b32_e32 v20, v76, v20
	s_delay_alu instid0(VALU_DEP_4) | instskip(NEXT) | instid1(VALU_DEP_2)
	v_bfe_u32 v79, v78, 20, 1
	v_cmp_eq_u32_e64 s13, v20, v88
	s_delay_alu instid0(VALU_DEP_2) | instskip(NEXT) | instid1(VALU_DEP_1)
	v_add_nc_u32_e32 v76, -1, v79
	v_cndmask_b32_e64 v20, 0, v76, s13
	v_lshrrev_b32_e32 v76, 23, v78
	s_mov_b32 s13, exec_lo
	s_delay_alu instid0(VALU_DEP_2) | instskip(NEXT) | instid1(VALU_DEP_2)
	v_add_nc_u32_e32 v20, v20, v78
	v_xor_b32_e32 v76, 1, v76
	s_delay_alu instid0(VALU_DEP_2) | instskip(NEXT) | instid1(VALU_DEP_1)
	v_and_b32_e32 v16, 0xfffff, v20
	v_add_nc_u32_e32 v20, v16, v78
                                        ; implicit-def: $vgpr16
	s_delay_alu instid0(VALU_DEP_3)
	v_cmpx_ne_u32_e64 v75, v76
	s_xor_b32 s13, exec_lo, s13
; %bb.6773:                             ;   in Loop: Header=BB6_5734 Depth=3
	s_delay_alu instid0(VALU_DEP_2) | instskip(SKIP_2) | instid1(VALU_DEP_2)
	v_cmp_lt_u32_e32 vcc_lo, 0xffffff, v20
	v_sub_nc_u32_e32 v16, v75, v76
	v_cndmask_b32_e64 v75, 0, 1, vcc_lo
	v_add_co_ci_u32_e32 v16, vcc_lo, 0, v16, vcc_lo
	s_delay_alu instid0(VALU_DEP_2)
	v_lshrrev_b32_e32 v20, v75, v20
; %bb.6774:                             ;   in Loop: Header=BB6_5734 Depth=3
	s_and_not1_saveexec_b32 s13, s13
; %bb.6775:                             ;   in Loop: Header=BB6_5734 Depth=3
	s_delay_alu instid0(VALU_DEP_1)
	v_bfe_u32 v16, v20, 23, 1
; %bb.6776:                             ;   in Loop: Header=BB6_5734 Depth=3
	s_or_b32 exec_lo, exec_lo, s13
	v_lshrrev_b32_e32 v20, 20, v20
	s_delay_alu instid0(VALU_DEP_2) | instskip(SKIP_2) | instid1(VALU_DEP_2)
	v_cmp_gt_i32_e32 vcc_lo, 16, v16
	v_lshrrev_b32_e32 v75, 24, v77
	v_min_i32_e32 v76, 15, v16
	v_dual_cndmask_b32 v20, 7, v20 :: v_dual_and_b32 v75, 0x80, v75
	s_delay_alu instid0(VALU_DEP_2) | instskip(NEXT) | instid1(VALU_DEP_2)
	v_lshlrev_b32_e32 v76, 3, v76
	v_and_b32_e32 v77, 7, v20
	v_or_b32_e32 v16, v16, v20
	s_delay_alu instid0(VALU_DEP_2) | instskip(NEXT) | instid1(VALU_DEP_2)
	v_or3_b32 v20, v76, v75, v77
	v_cmp_ne_u32_e32 vcc_lo, 0, v16
	s_delay_alu instid0(VALU_DEP_2)
	v_cndmask_b32_e32 v16, 0, v20, vcc_lo
.LBB6_6777:                             ;   in Loop: Header=BB6_5734 Depth=3
	s_or_b32 exec_lo, exec_lo, s31
.LBB6_6778:                             ;   in Loop: Header=BB6_5734 Depth=3
	s_delay_alu instid0(SALU_CYCLE_1) | instskip(SKIP_2) | instid1(VALU_DEP_1)
	s_or_b32 exec_lo, exec_lo, s17
	v_and_b32_e32 v20, 0xff, v21
	s_and_not1_b32 vcc_lo, exec_lo, s16
	v_cmp_lt_i16_e64 s13, 0x7f, v20
	s_cbranch_vccnz .LBB6_6788
; %bb.6779:                             ;   in Loop: Header=BB6_5734 Depth=3
	s_mov_b32 s17, 0
                                        ; implicit-def: $sgpr31
	s_delay_alu instid0(VALU_DEP_1) | instskip(NEXT) | instid1(SALU_CYCLE_1)
	s_and_saveexec_b32 vcc_lo, s13
	s_xor_b32 s13, exec_lo, vcc_lo
	s_cbranch_execnz .LBB6_8164
; %bb.6780:                             ;   in Loop: Header=BB6_5734 Depth=3
	s_or_saveexec_b32 s13, s13
	v_mov_b32_e32 v75, s31
	s_xor_b32 exec_lo, exec_lo, s13
	s_cbranch_execnz .LBB6_8167
.LBB6_6781:                             ;   in Loop: Header=BB6_5734 Depth=3
	s_or_b32 exec_lo, exec_lo, s13
	s_and_saveexec_b32 s13, s17
	s_cbranch_execz .LBB6_6783
.LBB6_6782:                             ;   in Loop: Header=BB6_5734 Depth=3
	v_bfe_u32 v78, v21, 3, 4
	v_lshlrev_b32_e32 v79, 24, v21
	s_delay_alu instid0(VALU_DEP_2) | instskip(SKIP_1) | instid1(VALU_DEP_1)
	v_cmp_eq_u32_e32 vcc_lo, 0, v78
	v_and_b32_e32 v75, 7, v21
	v_clz_i32_u32_e32 v76, v75
	s_delay_alu instid0(VALU_DEP_1) | instskip(NEXT) | instid1(VALU_DEP_1)
	v_min_u32_e32 v76, 32, v76
	v_subrev_nc_u32_e32 v77, 28, v76
	v_sub_nc_u32_e32 v76, 29, v76
	s_delay_alu instid0(VALU_DEP_1) | instskip(NEXT) | instid1(VALU_DEP_1)
	v_dual_cndmask_b32 v76, v78, v76 :: v_dual_lshlrev_b32 v77, v77, v21
	v_and_b32_e32 v77, 7, v77
	s_delay_alu instid0(VALU_DEP_2) | instskip(NEXT) | instid1(VALU_DEP_2)
	v_lshl_add_u32 v76, v76, 23, 0x3b800000
	v_cndmask_b32_e32 v75, v75, v77, vcc_lo
	v_and_b32_e32 v77, 0x80000000, v79
	s_delay_alu instid0(VALU_DEP_2) | instskip(NEXT) | instid1(VALU_DEP_1)
	v_lshlrev_b32_e32 v75, 20, v75
	v_or3_b32 v75, v77, v76, v75
.LBB6_6783:                             ;   in Loop: Header=BB6_5734 Depth=3
	s_or_b32 exec_lo, exec_lo, s13
	v_and_b32_e32 v77, 0xff, v17
	s_mov_b32 s13, 0
	s_mov_b32 s31, exec_lo
                                        ; implicit-def: $sgpr17
	s_delay_alu instid0(VALU_DEP_1)
	v_cmpx_lt_i16_e32 0x7f, v77
	s_xor_b32 s31, exec_lo, s31
	s_cbranch_execnz .LBB6_8168
; %bb.6784:                             ;   in Loop: Header=BB6_5734 Depth=3
	s_or_saveexec_b32 s31, s31
	v_mov_b32_e32 v76, s17
	s_xor_b32 exec_lo, exec_lo, s31
	s_cbranch_execnz .LBB6_8171
.LBB6_6785:                             ;   in Loop: Header=BB6_5734 Depth=3
	s_or_b32 exec_lo, exec_lo, s31
	s_and_saveexec_b32 s17, s13
	s_cbranch_execz .LBB6_6787
.LBB6_6786:                             ;   in Loop: Header=BB6_5734 Depth=3
	v_and_b32_e32 v76, 7, v17
	v_bfe_u32 v79, v17, 3, 4
	v_lshlrev_b32_e32 v88, 24, v17
	s_delay_alu instid0(VALU_DEP_3) | instskip(NEXT) | instid1(VALU_DEP_3)
	v_clz_i32_u32_e32 v77, v76
	v_cmp_eq_u32_e32 vcc_lo, 0, v79
	s_delay_alu instid0(VALU_DEP_2) | instskip(NEXT) | instid1(VALU_DEP_1)
	v_min_u32_e32 v77, 32, v77
	v_subrev_nc_u32_e32 v78, 28, v77
	v_sub_nc_u32_e32 v77, 29, v77
	s_delay_alu instid0(VALU_DEP_2) | instskip(NEXT) | instid1(VALU_DEP_1)
	v_lshlrev_b32_e32 v78, v78, v17
	v_dual_cndmask_b32 v77, v79, v77 :: v_dual_and_b32 v78, 7, v78
	s_delay_alu instid0(VALU_DEP_1) | instskip(NEXT) | instid1(VALU_DEP_2)
	v_lshl_add_u32 v77, v77, 23, 0x3b800000
	v_cndmask_b32_e32 v76, v76, v78, vcc_lo
	v_and_b32_e32 v78, 0x80000000, v88
	s_delay_alu instid0(VALU_DEP_2) | instskip(NEXT) | instid1(VALU_DEP_1)
	v_lshlrev_b32_e32 v76, 20, v76
	v_or3_b32 v76, v78, v77, v76
.LBB6_6787:                             ;   in Loop: Header=BB6_5734 Depth=3
	s_or_b32 exec_lo, exec_lo, s17
	s_delay_alu instid0(VALU_DEP_1) | instskip(SKIP_1) | instid1(VALU_DEP_1)
	v_dual_max_f32 v76, v76, v76 :: v_dual_max_f32 v75, v75, v75
	s_mov_b32 s13, 0
	v_max_f32_e32 v75, v75, v76
	s_branch .LBB6_6789
.LBB6_6788:                             ;   in Loop: Header=BB6_5734 Depth=3
	s_mov_b32 s13, -1
                                        ; implicit-def: $vgpr75
.LBB6_6789:                             ;   in Loop: Header=BB6_5734 Depth=3
	s_delay_alu instid0(SALU_CYCLE_1)
	s_and_b32 vcc_lo, exec_lo, s13
	s_cbranch_vccz .LBB6_6799
; %bb.6790:                             ;   in Loop: Header=BB6_5734 Depth=3
	s_mov_b32 s13, 0
	s_mov_b32 s31, exec_lo
                                        ; implicit-def: $sgpr17
	v_cmpx_lt_i16_e32 0x7f, v20
	s_xor_b32 s31, exec_lo, s31
	s_cbranch_execnz .LBB6_8172
; %bb.6791:                             ;   in Loop: Header=BB6_5734 Depth=3
	s_or_saveexec_b32 s31, s31
	v_mov_b32_e32 v75, s17
	s_xor_b32 exec_lo, exec_lo, s31
	s_cbranch_execnz .LBB6_8175
.LBB6_6792:                             ;   in Loop: Header=BB6_5734 Depth=3
	s_or_b32 exec_lo, exec_lo, s31
	s_and_saveexec_b32 s17, s13
	s_cbranch_execz .LBB6_6794
.LBB6_6793:                             ;   in Loop: Header=BB6_5734 Depth=3
	v_bfe_u32 v77, v21, 3, 4
	v_lshlrev_b32_e32 v78, 24, v21
	s_delay_alu instid0(VALU_DEP_2) | instskip(SKIP_1) | instid1(VALU_DEP_1)
	v_cmp_eq_u32_e32 vcc_lo, 0, v77
	v_and_b32_e32 v20, 7, v21
	v_clz_i32_u32_e32 v75, v20
	s_delay_alu instid0(VALU_DEP_1) | instskip(NEXT) | instid1(VALU_DEP_1)
	v_min_u32_e32 v75, 32, v75
	v_subrev_nc_u32_e32 v76, 28, v75
	v_sub_nc_u32_e32 v75, 29, v75
	s_delay_alu instid0(VALU_DEP_1) | instskip(NEXT) | instid1(VALU_DEP_1)
	v_dual_cndmask_b32 v75, v77, v75 :: v_dual_lshlrev_b32 v76, v76, v21
	v_and_b32_e32 v76, 7, v76
	s_delay_alu instid0(VALU_DEP_2) | instskip(NEXT) | instid1(VALU_DEP_2)
	v_lshl_add_u32 v75, v75, 23, 0x3b800000
	v_cndmask_b32_e32 v20, v20, v76, vcc_lo
	v_and_b32_e32 v76, 0x80000000, v78
	s_delay_alu instid0(VALU_DEP_2) | instskip(NEXT) | instid1(VALU_DEP_1)
	v_lshlrev_b32_e32 v20, 20, v20
	v_or3_b32 v75, v76, v75, v20
.LBB6_6794:                             ;   in Loop: Header=BB6_5734 Depth=3
	s_or_b32 exec_lo, exec_lo, s17
	v_and_b32_e32 v76, 0xff, v17
	s_mov_b32 s13, 0
	s_mov_b32 s31, exec_lo
                                        ; implicit-def: $sgpr17
	s_delay_alu instid0(VALU_DEP_1)
	v_cmpx_lt_i16_e32 0x7f, v76
	s_xor_b32 s31, exec_lo, s31
	s_cbranch_execnz .LBB6_8176
; %bb.6795:                             ;   in Loop: Header=BB6_5734 Depth=3
	s_or_saveexec_b32 s31, s31
	v_mov_b32_e32 v20, s17
	s_xor_b32 exec_lo, exec_lo, s31
	s_cbranch_execnz .LBB6_8179
.LBB6_6796:                             ;   in Loop: Header=BB6_5734 Depth=3
	s_or_b32 exec_lo, exec_lo, s31
	s_and_saveexec_b32 s17, s13
	s_cbranch_execz .LBB6_6798
.LBB6_6797:                             ;   in Loop: Header=BB6_5734 Depth=3
	v_and_b32_e32 v20, 7, v17
	v_bfe_u32 v78, v17, 3, 4
	v_lshlrev_b32_e32 v79, 24, v17
	s_delay_alu instid0(VALU_DEP_3) | instskip(NEXT) | instid1(VALU_DEP_3)
	v_clz_i32_u32_e32 v76, v20
	v_cmp_eq_u32_e32 vcc_lo, 0, v78
	s_delay_alu instid0(VALU_DEP_2) | instskip(NEXT) | instid1(VALU_DEP_1)
	v_min_u32_e32 v76, 32, v76
	v_subrev_nc_u32_e32 v77, 28, v76
	v_sub_nc_u32_e32 v76, 29, v76
	s_delay_alu instid0(VALU_DEP_1) | instskip(NEXT) | instid1(VALU_DEP_1)
	v_dual_cndmask_b32 v76, v78, v76 :: v_dual_lshlrev_b32 v77, v77, v17
	v_and_b32_e32 v77, 7, v77
	s_delay_alu instid0(VALU_DEP_2) | instskip(NEXT) | instid1(VALU_DEP_2)
	v_lshl_add_u32 v76, v76, 23, 0x3b800000
	v_dual_cndmask_b32 v20, v20, v77 :: v_dual_and_b32 v77, 0x80000000, v79
	s_delay_alu instid0(VALU_DEP_1) | instskip(NEXT) | instid1(VALU_DEP_1)
	v_lshlrev_b32_e32 v20, 20, v20
	v_or3_b32 v20, v77, v76, v20
.LBB6_6798:                             ;   in Loop: Header=BB6_5734 Depth=3
	s_or_b32 exec_lo, exec_lo, s17
	s_delay_alu instid0(VALU_DEP_1) | instskip(NEXT) | instid1(VALU_DEP_1)
	v_dual_max_f32 v20, v20, v20 :: v_dual_max_f32 v75, v75, v75
	v_min_f32_e32 v75, v75, v20
.LBB6_6799:                             ;   in Loop: Header=BB6_5734 Depth=3
	s_delay_alu instid0(VALU_DEP_1) | instskip(NEXT) | instid1(VALU_DEP_1)
	v_and_b32_e32 v20, 0x7f800000, v75
	v_cmp_ne_u32_e32 vcc_lo, 0x7f800000, v20
	v_mov_b32_e32 v20, 0x80
	s_and_saveexec_b32 s17, vcc_lo
	s_cbranch_execz .LBB6_6807
; %bb.6800:                             ;   in Loop: Header=BB6_5734 Depth=3
	v_mov_b32_e32 v20, 0
	s_mov_b32 s31, exec_lo
	v_cmpx_ne_u32_e32 0, v75
	s_cbranch_execz .LBB6_6806
; %bb.6801:                             ;   in Loop: Header=BB6_5734 Depth=3
	v_bfe_u32 v20, v75, 23, 8
	s_delay_alu instid0(VALU_DEP_1) | instskip(SKIP_1) | instid1(VALU_DEP_2)
	v_sub_nc_u32_e32 v77, 0x78, v20
	v_cmp_gt_u32_e32 vcc_lo, 0x79, v20
	v_dual_cndmask_b32 v77, 0, v77 :: v_dual_and_b32 v76, 0x7fffff, v75
	s_delay_alu instid0(VALU_DEP_1) | instskip(SKIP_2) | instid1(VALU_DEP_4)
	v_or_b32_e32 v78, 0x800000, v76
	v_cmp_eq_u32_e32 vcc_lo, 0, v20
	v_add_nc_u32_e32 v20, 0xffffff89, v20
	v_cndmask_b32_e64 v77, v77, 0x77, vcc_lo
	s_delay_alu instid0(VALU_DEP_4) | instskip(NEXT) | instid1(VALU_DEP_3)
	v_cndmask_b32_e32 v76, v78, v76, vcc_lo
	v_cndmask_b32_e64 v20, v20, 0xffffff8a, vcc_lo
	s_delay_alu instid0(VALU_DEP_3) | instskip(NEXT) | instid1(VALU_DEP_3)
	v_lshl_add_u32 v78, 0x100000, v77, -1
	v_lshrrev_b32_e32 v79, v77, v76
	v_lshlrev_b32_e64 v89, v77, 0x80000
	s_delay_alu instid0(VALU_DEP_4) | instskip(NEXT) | instid1(VALU_DEP_4)
	v_add_nc_u32_e32 v77, v77, v20
	v_and_b32_e32 v76, v78, v76
	s_delay_alu instid0(VALU_DEP_4) | instskip(NEXT) | instid1(VALU_DEP_2)
	v_bfe_u32 v88, v79, 20, 1
	v_cmp_eq_u32_e64 s13, v76, v89
	s_delay_alu instid0(VALU_DEP_2) | instskip(NEXT) | instid1(VALU_DEP_1)
	v_add_nc_u32_e32 v78, -1, v88
	v_cndmask_b32_e64 v76, 0, v78, s13
	v_lshrrev_b32_e32 v78, 23, v79
	s_mov_b32 s13, exec_lo
	s_delay_alu instid0(VALU_DEP_2) | instskip(NEXT) | instid1(VALU_DEP_2)
	v_add_nc_u32_e32 v76, v76, v79
	v_xor_b32_e32 v78, 1, v78
	s_delay_alu instid0(VALU_DEP_2) | instskip(NEXT) | instid1(VALU_DEP_1)
	v_and_b32_e32 v20, 0xfffff, v76
	v_add_nc_u32_e32 v76, v20, v79
                                        ; implicit-def: $vgpr20
	s_delay_alu instid0(VALU_DEP_3)
	v_cmpx_ne_u32_e64 v77, v78
	s_xor_b32 s13, exec_lo, s13
; %bb.6802:                             ;   in Loop: Header=BB6_5734 Depth=3
	s_delay_alu instid0(VALU_DEP_2) | instskip(SKIP_2) | instid1(VALU_DEP_2)
	v_cmp_lt_u32_e32 vcc_lo, 0xffffff, v76
	v_sub_nc_u32_e32 v20, v77, v78
	v_cndmask_b32_e64 v77, 0, 1, vcc_lo
	v_add_co_ci_u32_e32 v20, vcc_lo, 0, v20, vcc_lo
	s_delay_alu instid0(VALU_DEP_2)
	v_lshrrev_b32_e32 v76, v77, v76
; %bb.6803:                             ;   in Loop: Header=BB6_5734 Depth=3
	s_and_not1_saveexec_b32 s13, s13
; %bb.6804:                             ;   in Loop: Header=BB6_5734 Depth=3
	s_delay_alu instid0(VALU_DEP_1)
	v_bfe_u32 v20, v76, 23, 1
; %bb.6805:                             ;   in Loop: Header=BB6_5734 Depth=3
	s_or_b32 exec_lo, exec_lo, s13
	v_lshrrev_b32_e32 v76, 20, v76
	s_delay_alu instid0(VALU_DEP_2) | instskip(SKIP_2) | instid1(VALU_DEP_2)
	v_cmp_gt_i32_e32 vcc_lo, 16, v20
	v_lshrrev_b32_e32 v75, 24, v75
	v_min_i32_e32 v77, 15, v20
	v_dual_cndmask_b32 v76, 7, v76 :: v_dual_and_b32 v75, 0x80, v75
	s_delay_alu instid0(VALU_DEP_1) | instskip(SKIP_1) | instid1(VALU_DEP_2)
	v_or_b32_e32 v20, v20, v76
	v_and_b32_e32 v78, 7, v76
	v_cmp_ne_u32_e32 vcc_lo, 0, v20
	v_lshlrev_b32_e32 v77, 3, v77
	s_delay_alu instid0(VALU_DEP_1) | instskip(NEXT) | instid1(VALU_DEP_1)
	v_or3_b32 v75, v77, v75, v78
	v_cndmask_b32_e32 v20, 0, v75, vcc_lo
.LBB6_6806:                             ;   in Loop: Header=BB6_5734 Depth=3
	s_or_b32 exec_lo, exec_lo, s31
.LBB6_6807:                             ;   in Loop: Header=BB6_5734 Depth=3
	s_delay_alu instid0(SALU_CYCLE_1) | instskip(SKIP_3) | instid1(VALU_DEP_2)
	s_or_b32 exec_lo, exec_lo, s17
	v_lshrrev_b16 v76, 8, v21
	v_lshrrev_b16 v75, 8, v17
	s_and_not1_b32 vcc_lo, exec_lo, s16
	v_cmp_lt_i16_e64 s13, 0x7f, v76
	s_cbranch_vccnz .LBB6_6817
; %bb.6808:                             ;   in Loop: Header=BB6_5734 Depth=3
	s_mov_b32 s17, 0
                                        ; implicit-def: $sgpr31
	s_delay_alu instid0(VALU_DEP_1) | instskip(NEXT) | instid1(SALU_CYCLE_1)
	s_and_saveexec_b32 vcc_lo, s13
	s_xor_b32 s13, exec_lo, vcc_lo
	s_cbranch_execnz .LBB6_8180
; %bb.6809:                             ;   in Loop: Header=BB6_5734 Depth=3
	s_or_saveexec_b32 s13, s13
	v_mov_b32_e32 v77, s31
	s_xor_b32 exec_lo, exec_lo, s13
	s_cbranch_execnz .LBB6_8183
.LBB6_6810:                             ;   in Loop: Header=BB6_5734 Depth=3
	s_or_b32 exec_lo, exec_lo, s13
	s_and_saveexec_b32 s13, s17
	s_cbranch_execz .LBB6_6812
.LBB6_6811:                             ;   in Loop: Header=BB6_5734 Depth=3
	v_and_b32_e32 v77, 0xffff, v76
	s_delay_alu instid0(VALU_DEP_1) | instskip(NEXT) | instid1(VALU_DEP_1)
	v_and_b32_e32 v78, 7, v77
	v_clz_i32_u32_e32 v79, v78
	s_delay_alu instid0(VALU_DEP_1) | instskip(NEXT) | instid1(VALU_DEP_1)
	v_min_u32_e32 v79, 32, v79
	v_subrev_nc_u32_e32 v88, 28, v79
	v_sub_nc_u32_e32 v79, 29, v79
	s_delay_alu instid0(VALU_DEP_2) | instskip(SKIP_1) | instid1(VALU_DEP_2)
	v_lshlrev_b32_e32 v88, v88, v77
	v_bfe_u32 v77, v77, 3, 4
	v_and_b32_e32 v88, 7, v88
	s_delay_alu instid0(VALU_DEP_2) | instskip(SKIP_1) | instid1(VALU_DEP_3)
	v_cmp_eq_u32_e32 vcc_lo, 0, v77
	v_cndmask_b32_e32 v77, v77, v79, vcc_lo
	v_dual_cndmask_b32 v78, v78, v88 :: v_dual_lshlrev_b32 v89, 16, v21
	s_delay_alu instid0(VALU_DEP_2) | instskip(NEXT) | instid1(VALU_DEP_2)
	v_lshl_add_u32 v77, v77, 23, 0x3b800000
	v_and_b32_e32 v79, 0x80000000, v89
	s_delay_alu instid0(VALU_DEP_3) | instskip(NEXT) | instid1(VALU_DEP_1)
	v_lshlrev_b32_e32 v78, 20, v78
	v_or3_b32 v77, v79, v77, v78
.LBB6_6812:                             ;   in Loop: Header=BB6_5734 Depth=3
	s_or_b32 exec_lo, exec_lo, s13
	s_mov_b32 s13, 0
	s_mov_b32 s31, exec_lo
                                        ; implicit-def: $sgpr17
	v_cmpx_lt_i16_e32 0x7f, v75
	s_xor_b32 s31, exec_lo, s31
	s_cbranch_execnz .LBB6_8184
; %bb.6813:                             ;   in Loop: Header=BB6_5734 Depth=3
	s_or_saveexec_b32 s31, s31
	v_mov_b32_e32 v78, s17
	s_xor_b32 exec_lo, exec_lo, s31
	s_cbranch_execnz .LBB6_8187
.LBB6_6814:                             ;   in Loop: Header=BB6_5734 Depth=3
	s_or_b32 exec_lo, exec_lo, s31
	s_and_saveexec_b32 s17, s13
	s_cbranch_execz .LBB6_6816
.LBB6_6815:                             ;   in Loop: Header=BB6_5734 Depth=3
	v_and_b32_e32 v78, 0xffff, v75
	v_lshlrev_b32_e32 v90, 16, v17
	s_delay_alu instid0(VALU_DEP_2) | instskip(NEXT) | instid1(VALU_DEP_1)
	v_and_b32_e32 v79, 7, v78
	v_clz_i32_u32_e32 v88, v79
	s_delay_alu instid0(VALU_DEP_1) | instskip(NEXT) | instid1(VALU_DEP_1)
	v_min_u32_e32 v88, 32, v88
	v_subrev_nc_u32_e32 v89, 28, v88
	v_sub_nc_u32_e32 v88, 29, v88
	s_delay_alu instid0(VALU_DEP_2) | instskip(SKIP_1) | instid1(VALU_DEP_2)
	v_lshlrev_b32_e32 v89, v89, v78
	v_bfe_u32 v78, v78, 3, 4
	v_and_b32_e32 v89, 7, v89
	s_delay_alu instid0(VALU_DEP_2) | instskip(NEXT) | instid1(VALU_DEP_2)
	v_cmp_eq_u32_e32 vcc_lo, 0, v78
	v_dual_cndmask_b32 v78, v78, v88 :: v_dual_cndmask_b32 v79, v79, v89
	v_and_b32_e32 v88, 0x80000000, v90
	s_delay_alu instid0(VALU_DEP_2) | instskip(NEXT) | instid1(VALU_DEP_3)
	v_lshl_add_u32 v78, v78, 23, 0x3b800000
	v_lshlrev_b32_e32 v79, 20, v79
	s_delay_alu instid0(VALU_DEP_1)
	v_or3_b32 v78, v88, v78, v79
.LBB6_6816:                             ;   in Loop: Header=BB6_5734 Depth=3
	s_or_b32 exec_lo, exec_lo, s17
	s_delay_alu instid0(VALU_DEP_1) | instskip(SKIP_1) | instid1(VALU_DEP_1)
	v_dual_max_f32 v78, v78, v78 :: v_dual_max_f32 v77, v77, v77
	s_mov_b32 s13, 0
	v_max_f32_e32 v77, v77, v78
	s_branch .LBB6_6818
.LBB6_6817:                             ;   in Loop: Header=BB6_5734 Depth=3
	s_mov_b32 s13, -1
                                        ; implicit-def: $vgpr77
.LBB6_6818:                             ;   in Loop: Header=BB6_5734 Depth=3
	s_delay_alu instid0(SALU_CYCLE_1)
	s_and_b32 vcc_lo, exec_lo, s13
	s_cbranch_vccz .LBB6_6828
; %bb.6819:                             ;   in Loop: Header=BB6_5734 Depth=3
	s_mov_b32 s13, 0
	s_mov_b32 s31, exec_lo
                                        ; implicit-def: $sgpr17
	v_cmpx_lt_i16_e32 0x7f, v76
	s_xor_b32 s31, exec_lo, s31
	s_cbranch_execnz .LBB6_8188
; %bb.6820:                             ;   in Loop: Header=BB6_5734 Depth=3
	s_or_saveexec_b32 s31, s31
	v_mov_b32_e32 v77, s17
	s_xor_b32 exec_lo, exec_lo, s31
	s_cbranch_execnz .LBB6_8191
.LBB6_6821:                             ;   in Loop: Header=BB6_5734 Depth=3
	s_or_b32 exec_lo, exec_lo, s31
	s_and_saveexec_b32 s17, s13
	s_cbranch_execz .LBB6_6823
.LBB6_6822:                             ;   in Loop: Header=BB6_5734 Depth=3
	v_and_b32_e32 v76, 0xffff, v76
	v_lshlrev_b32_e32 v88, 16, v21
	s_delay_alu instid0(VALU_DEP_2) | instskip(NEXT) | instid1(VALU_DEP_1)
	v_and_b32_e32 v77, 7, v76
	v_clz_i32_u32_e32 v78, v77
	s_delay_alu instid0(VALU_DEP_1) | instskip(NEXT) | instid1(VALU_DEP_1)
	v_min_u32_e32 v78, 32, v78
	v_subrev_nc_u32_e32 v79, 28, v78
	v_sub_nc_u32_e32 v78, 29, v78
	s_delay_alu instid0(VALU_DEP_2) | instskip(SKIP_1) | instid1(VALU_DEP_2)
	v_lshlrev_b32_e32 v79, v79, v76
	v_bfe_u32 v76, v76, 3, 4
	v_and_b32_e32 v79, 7, v79
	s_delay_alu instid0(VALU_DEP_2) | instskip(NEXT) | instid1(VALU_DEP_2)
	v_cmp_eq_u32_e32 vcc_lo, 0, v76
	v_dual_cndmask_b32 v76, v76, v78 :: v_dual_cndmask_b32 v77, v77, v79
	v_and_b32_e32 v78, 0x80000000, v88
	s_delay_alu instid0(VALU_DEP_2) | instskip(NEXT) | instid1(VALU_DEP_3)
	v_lshl_add_u32 v76, v76, 23, 0x3b800000
	v_lshlrev_b32_e32 v77, 20, v77
	s_delay_alu instid0(VALU_DEP_1)
	v_or3_b32 v77, v78, v76, v77
.LBB6_6823:                             ;   in Loop: Header=BB6_5734 Depth=3
	s_or_b32 exec_lo, exec_lo, s17
	s_mov_b32 s13, 0
	s_mov_b32 s31, exec_lo
                                        ; implicit-def: $sgpr17
	v_cmpx_lt_i16_e32 0x7f, v75
	s_xor_b32 s31, exec_lo, s31
	s_cbranch_execnz .LBB6_8192
; %bb.6824:                             ;   in Loop: Header=BB6_5734 Depth=3
	s_or_saveexec_b32 s31, s31
	v_mov_b32_e32 v76, s17
	s_xor_b32 exec_lo, exec_lo, s31
	s_cbranch_execnz .LBB6_8195
.LBB6_6825:                             ;   in Loop: Header=BB6_5734 Depth=3
	s_or_b32 exec_lo, exec_lo, s31
	s_and_saveexec_b32 s17, s13
	s_cbranch_execz .LBB6_6827
.LBB6_6826:                             ;   in Loop: Header=BB6_5734 Depth=3
	v_and_b32_e32 v75, 0xffff, v75
	v_lshlrev_b32_e32 v88, 16, v17
	s_delay_alu instid0(VALU_DEP_2) | instskip(NEXT) | instid1(VALU_DEP_1)
	v_and_b32_e32 v76, 7, v75
	v_clz_i32_u32_e32 v78, v76
	s_delay_alu instid0(VALU_DEP_1) | instskip(NEXT) | instid1(VALU_DEP_1)
	v_min_u32_e32 v78, 32, v78
	v_subrev_nc_u32_e32 v79, 28, v78
	v_sub_nc_u32_e32 v78, 29, v78
	s_delay_alu instid0(VALU_DEP_2) | instskip(SKIP_1) | instid1(VALU_DEP_2)
	v_lshlrev_b32_e32 v79, v79, v75
	v_bfe_u32 v75, v75, 3, 4
	v_and_b32_e32 v79, 7, v79
	s_delay_alu instid0(VALU_DEP_2) | instskip(NEXT) | instid1(VALU_DEP_2)
	v_cmp_eq_u32_e32 vcc_lo, 0, v75
	v_dual_cndmask_b32 v75, v75, v78 :: v_dual_cndmask_b32 v76, v76, v79
	v_and_b32_e32 v78, 0x80000000, v88
	s_delay_alu instid0(VALU_DEP_2) | instskip(NEXT) | instid1(VALU_DEP_3)
	v_lshl_add_u32 v75, v75, 23, 0x3b800000
	v_lshlrev_b32_e32 v76, 20, v76
	s_delay_alu instid0(VALU_DEP_1)
	v_or3_b32 v76, v78, v75, v76
.LBB6_6827:                             ;   in Loop: Header=BB6_5734 Depth=3
	s_or_b32 exec_lo, exec_lo, s17
	s_delay_alu instid0(VALU_DEP_1) | instskip(NEXT) | instid1(VALU_DEP_1)
	v_dual_max_f32 v75, v76, v76 :: v_dual_max_f32 v76, v77, v77
	v_min_f32_e32 v77, v76, v75
.LBB6_6828:                             ;   in Loop: Header=BB6_5734 Depth=3
	s_delay_alu instid0(VALU_DEP_1) | instskip(NEXT) | instid1(VALU_DEP_1)
	v_and_b32_e32 v75, 0x7f800000, v77
	v_cmp_ne_u32_e32 vcc_lo, 0x7f800000, v75
	v_mov_b32_e32 v75, 0x80
	s_and_saveexec_b32 s17, vcc_lo
	s_cbranch_execz .LBB6_6836
; %bb.6829:                             ;   in Loop: Header=BB6_5734 Depth=3
	v_mov_b32_e32 v75, 0
	s_mov_b32 s31, exec_lo
	v_cmpx_ne_u32_e32 0, v77
	s_cbranch_execz .LBB6_6835
; %bb.6830:                             ;   in Loop: Header=BB6_5734 Depth=3
	v_bfe_u32 v75, v77, 23, 8
	v_and_b32_e32 v76, 0x7fffff, v77
	s_delay_alu instid0(VALU_DEP_2) | instskip(SKIP_1) | instid1(VALU_DEP_3)
	v_sub_nc_u32_e32 v78, 0x78, v75
	v_cmp_gt_u32_e32 vcc_lo, 0x79, v75
	v_or_b32_e32 v79, 0x800000, v76
	s_delay_alu instid0(VALU_DEP_3) | instskip(SKIP_2) | instid1(VALU_DEP_3)
	v_cndmask_b32_e32 v78, 0, v78, vcc_lo
	v_cmp_eq_u32_e32 vcc_lo, 0, v75
	v_add_nc_u32_e32 v75, 0xffffff89, v75
	v_cndmask_b32_e64 v78, v78, 0x77, vcc_lo
	v_cndmask_b32_e32 v76, v79, v76, vcc_lo
	s_delay_alu instid0(VALU_DEP_3) | instskip(NEXT) | instid1(VALU_DEP_3)
	v_cndmask_b32_e64 v75, v75, 0xffffff8a, vcc_lo
	v_lshl_add_u32 v79, 0x100000, v78, -1
	s_delay_alu instid0(VALU_DEP_3) | instskip(SKIP_1) | instid1(VALU_DEP_4)
	v_lshrrev_b32_e32 v88, v78, v76
	v_lshlrev_b32_e64 v90, v78, 0x80000
	v_add_nc_u32_e32 v78, v78, v75
	s_delay_alu instid0(VALU_DEP_4) | instskip(NEXT) | instid1(VALU_DEP_4)
	v_and_b32_e32 v76, v79, v76
	v_bfe_u32 v89, v88, 20, 1
	s_delay_alu instid0(VALU_DEP_2) | instskip(NEXT) | instid1(VALU_DEP_2)
	v_cmp_eq_u32_e64 s13, v76, v90
	v_add_nc_u32_e32 v79, -1, v89
	s_delay_alu instid0(VALU_DEP_1) | instskip(SKIP_2) | instid1(VALU_DEP_2)
	v_cndmask_b32_e64 v76, 0, v79, s13
	v_lshrrev_b32_e32 v79, 23, v88
	s_mov_b32 s13, exec_lo
	v_add_nc_u32_e32 v76, v76, v88
	s_delay_alu instid0(VALU_DEP_2) | instskip(NEXT) | instid1(VALU_DEP_2)
	v_xor_b32_e32 v79, 1, v79
	v_and_b32_e32 v75, 0xfffff, v76
	s_delay_alu instid0(VALU_DEP_1) | instskip(NEXT) | instid1(VALU_DEP_3)
	v_add_nc_u32_e32 v76, v75, v88
                                        ; implicit-def: $vgpr75
	v_cmpx_ne_u32_e64 v78, v79
	s_xor_b32 s13, exec_lo, s13
; %bb.6831:                             ;   in Loop: Header=BB6_5734 Depth=3
	s_delay_alu instid0(VALU_DEP_2) | instskip(SKIP_2) | instid1(VALU_DEP_2)
	v_cmp_lt_u32_e32 vcc_lo, 0xffffff, v76
	v_sub_nc_u32_e32 v75, v78, v79
	v_cndmask_b32_e64 v78, 0, 1, vcc_lo
	v_add_co_ci_u32_e32 v75, vcc_lo, 0, v75, vcc_lo
	s_delay_alu instid0(VALU_DEP_2)
	v_lshrrev_b32_e32 v76, v78, v76
; %bb.6832:                             ;   in Loop: Header=BB6_5734 Depth=3
	s_and_not1_saveexec_b32 s13, s13
; %bb.6833:                             ;   in Loop: Header=BB6_5734 Depth=3
	s_delay_alu instid0(VALU_DEP_1)
	v_bfe_u32 v75, v76, 23, 1
; %bb.6834:                             ;   in Loop: Header=BB6_5734 Depth=3
	s_or_b32 exec_lo, exec_lo, s13
	v_lshrrev_b32_e32 v76, 20, v76
	s_delay_alu instid0(VALU_DEP_2) | instskip(SKIP_2) | instid1(VALU_DEP_2)
	v_cmp_gt_i32_e32 vcc_lo, 16, v75
	v_lshrrev_b32_e32 v77, 24, v77
	v_min_i32_e32 v78, 15, v75
	v_dual_cndmask_b32 v76, 7, v76 :: v_dual_and_b32 v77, 0x80, v77
	s_delay_alu instid0(VALU_DEP_1) | instskip(SKIP_1) | instid1(VALU_DEP_2)
	v_or_b32_e32 v75, v75, v76
	v_and_b32_e32 v79, 7, v76
	v_cmp_ne_u32_e32 vcc_lo, 0, v75
	v_lshlrev_b32_e32 v78, 3, v78
	s_delay_alu instid0(VALU_DEP_1) | instskip(NEXT) | instid1(VALU_DEP_1)
	v_or3_b32 v76, v78, v77, v79
	v_cndmask_b32_e32 v75, 0, v76, vcc_lo
.LBB6_6835:                             ;   in Loop: Header=BB6_5734 Depth=3
	s_or_b32 exec_lo, exec_lo, s31
.LBB6_6836:                             ;   in Loop: Header=BB6_5734 Depth=3
	s_delay_alu instid0(SALU_CYCLE_1) | instskip(SKIP_3) | instid1(VALU_DEP_2)
	s_or_b32 exec_lo, exec_lo, s17
	v_lshrrev_b32_e32 v77, 16, v21
	v_lshrrev_b32_e32 v76, 16, v17
	s_and_not1_b32 vcc_lo, exec_lo, s16
	v_and_b32_e32 v78, 0xff, v77
	s_delay_alu instid0(VALU_DEP_1)
	v_cmp_lt_i16_e64 s13, 0x7f, v78
	s_cbranch_vccnz .LBB6_6846
; %bb.6837:                             ;   in Loop: Header=BB6_5734 Depth=3
	s_mov_b32 s17, 0
                                        ; implicit-def: $sgpr31
	s_delay_alu instid0(VALU_DEP_1) | instskip(NEXT) | instid1(SALU_CYCLE_1)
	s_and_saveexec_b32 vcc_lo, s13
	s_xor_b32 s13, exec_lo, vcc_lo
	s_cbranch_execnz .LBB6_8196
; %bb.6838:                             ;   in Loop: Header=BB6_5734 Depth=3
	s_or_saveexec_b32 s13, s13
	v_mov_b32_e32 v79, s31
	s_xor_b32 exec_lo, exec_lo, s13
	s_cbranch_execnz .LBB6_8199
.LBB6_6839:                             ;   in Loop: Header=BB6_5734 Depth=3
	s_or_b32 exec_lo, exec_lo, s13
	s_and_saveexec_b32 s13, s17
	s_cbranch_execz .LBB6_6841
.LBB6_6840:                             ;   in Loop: Header=BB6_5734 Depth=3
	v_bfe_u32 v79, v21, 16, 3
	v_bfe_u32 v90, v21, 19, 4
	v_lshlrev_b32_e32 v91, 24, v77
	s_delay_alu instid0(VALU_DEP_3) | instskip(NEXT) | instid1(VALU_DEP_3)
	v_clz_i32_u32_e32 v88, v79
	v_cmp_eq_u32_e32 vcc_lo, 0, v90
	s_delay_alu instid0(VALU_DEP_2) | instskip(NEXT) | instid1(VALU_DEP_1)
	v_min_u32_e32 v88, 32, v88
	v_subrev_nc_u32_e32 v89, 28, v88
	v_sub_nc_u32_e32 v88, 29, v88
	s_delay_alu instid0(VALU_DEP_1) | instskip(NEXT) | instid1(VALU_DEP_1)
	v_dual_cndmask_b32 v88, v90, v88 :: v_dual_lshlrev_b32 v89, v89, v77
	v_and_b32_e32 v89, 7, v89
	s_delay_alu instid0(VALU_DEP_2) | instskip(NEXT) | instid1(VALU_DEP_2)
	v_lshl_add_u32 v88, v88, 23, 0x3b800000
	v_cndmask_b32_e32 v79, v79, v89, vcc_lo
	v_and_b32_e32 v89, 0x80000000, v91
	s_delay_alu instid0(VALU_DEP_2) | instskip(NEXT) | instid1(VALU_DEP_1)
	v_lshlrev_b32_e32 v79, 20, v79
	v_or3_b32 v79, v89, v88, v79
.LBB6_6841:                             ;   in Loop: Header=BB6_5734 Depth=3
	s_or_b32 exec_lo, exec_lo, s13
	v_and_b32_e32 v89, 0xff, v76
	s_mov_b32 s13, 0
	s_mov_b32 s31, exec_lo
                                        ; implicit-def: $sgpr17
	s_delay_alu instid0(VALU_DEP_1)
	v_cmpx_lt_i16_e32 0x7f, v89
	s_xor_b32 s31, exec_lo, s31
	s_cbranch_execnz .LBB6_8200
; %bb.6842:                             ;   in Loop: Header=BB6_5734 Depth=3
	s_or_saveexec_b32 s31, s31
	v_mov_b32_e32 v88, s17
	s_xor_b32 exec_lo, exec_lo, s31
	s_cbranch_execnz .LBB6_8203
.LBB6_6843:                             ;   in Loop: Header=BB6_5734 Depth=3
	s_or_b32 exec_lo, exec_lo, s31
	s_and_saveexec_b32 s17, s13
	s_cbranch_execz .LBB6_6845
.LBB6_6844:                             ;   in Loop: Header=BB6_5734 Depth=3
	v_bfe_u32 v88, v17, 16, 3
	v_bfe_u32 v91, v17, 19, 4
	v_lshlrev_b32_e32 v92, 24, v76
	s_delay_alu instid0(VALU_DEP_3) | instskip(NEXT) | instid1(VALU_DEP_3)
	v_clz_i32_u32_e32 v89, v88
	v_cmp_eq_u32_e32 vcc_lo, 0, v91
	s_delay_alu instid0(VALU_DEP_2) | instskip(NEXT) | instid1(VALU_DEP_1)
	v_min_u32_e32 v89, 32, v89
	v_subrev_nc_u32_e32 v90, 28, v89
	v_sub_nc_u32_e32 v89, 29, v89
	s_delay_alu instid0(VALU_DEP_1) | instskip(NEXT) | instid1(VALU_DEP_1)
	v_dual_cndmask_b32 v89, v91, v89 :: v_dual_lshlrev_b32 v90, v90, v76
	v_and_b32_e32 v90, 7, v90
	s_delay_alu instid0(VALU_DEP_2) | instskip(NEXT) | instid1(VALU_DEP_2)
	v_lshl_add_u32 v89, v89, 23, 0x3b800000
	v_cndmask_b32_e32 v88, v88, v90, vcc_lo
	v_and_b32_e32 v90, 0x80000000, v92
	s_delay_alu instid0(VALU_DEP_2) | instskip(NEXT) | instid1(VALU_DEP_1)
	v_lshlrev_b32_e32 v88, 20, v88
	v_or3_b32 v88, v90, v89, v88
.LBB6_6845:                             ;   in Loop: Header=BB6_5734 Depth=3
	s_or_b32 exec_lo, exec_lo, s17
	s_delay_alu instid0(VALU_DEP_1) | instskip(SKIP_1) | instid1(VALU_DEP_1)
	v_dual_max_f32 v88, v88, v88 :: v_dual_max_f32 v79, v79, v79
	s_mov_b32 s13, 0
	v_max_f32_e32 v79, v79, v88
	s_branch .LBB6_6847
.LBB6_6846:                             ;   in Loop: Header=BB6_5734 Depth=3
	s_mov_b32 s13, -1
                                        ; implicit-def: $vgpr79
.LBB6_6847:                             ;   in Loop: Header=BB6_5734 Depth=3
	s_delay_alu instid0(SALU_CYCLE_1)
	s_and_b32 vcc_lo, exec_lo, s13
	s_cbranch_vccz .LBB6_6857
; %bb.6848:                             ;   in Loop: Header=BB6_5734 Depth=3
	s_mov_b32 s13, 0
	s_mov_b32 s31, exec_lo
                                        ; implicit-def: $sgpr17
	v_cmpx_lt_i16_e32 0x7f, v78
	s_xor_b32 s31, exec_lo, s31
	s_cbranch_execnz .LBB6_8204
; %bb.6849:                             ;   in Loop: Header=BB6_5734 Depth=3
	s_or_saveexec_b32 s31, s31
	v_mov_b32_e32 v79, s17
	s_xor_b32 exec_lo, exec_lo, s31
	s_cbranch_execnz .LBB6_8207
.LBB6_6850:                             ;   in Loop: Header=BB6_5734 Depth=3
	s_or_b32 exec_lo, exec_lo, s31
	s_and_saveexec_b32 s17, s13
	s_cbranch_execz .LBB6_6852
.LBB6_6851:                             ;   in Loop: Header=BB6_5734 Depth=3
	v_bfe_u32 v78, v21, 16, 3
	v_bfe_u32 v89, v21, 19, 4
	s_delay_alu instid0(VALU_DEP_2) | instskip(NEXT) | instid1(VALU_DEP_2)
	v_clz_i32_u32_e32 v79, v78
	v_cmp_eq_u32_e32 vcc_lo, 0, v89
	s_delay_alu instid0(VALU_DEP_2) | instskip(NEXT) | instid1(VALU_DEP_1)
	v_min_u32_e32 v79, 32, v79
	v_subrev_nc_u32_e32 v88, 28, v79
	v_sub_nc_u32_e32 v79, 29, v79
	s_delay_alu instid0(VALU_DEP_1) | instskip(NEXT) | instid1(VALU_DEP_1)
	v_dual_cndmask_b32 v79, v89, v79 :: v_dual_lshlrev_b32 v88, v88, v77
	v_and_b32_e32 v88, 7, v88
	v_lshlrev_b32_e32 v77, 24, v77
	s_delay_alu instid0(VALU_DEP_3) | instskip(NEXT) | instid1(VALU_DEP_2)
	v_lshl_add_u32 v79, v79, 23, 0x3b800000
	v_dual_cndmask_b32 v78, v78, v88 :: v_dual_and_b32 v77, 0x80000000, v77
	s_delay_alu instid0(VALU_DEP_1) | instskip(NEXT) | instid1(VALU_DEP_1)
	v_lshlrev_b32_e32 v78, 20, v78
	v_or3_b32 v79, v77, v79, v78
.LBB6_6852:                             ;   in Loop: Header=BB6_5734 Depth=3
	s_or_b32 exec_lo, exec_lo, s17
	v_and_b32_e32 v78, 0xff, v76
	s_mov_b32 s13, 0
	s_mov_b32 s31, exec_lo
                                        ; implicit-def: $sgpr17
	s_delay_alu instid0(VALU_DEP_1)
	v_cmpx_lt_i16_e32 0x7f, v78
	s_xor_b32 s31, exec_lo, s31
	s_cbranch_execnz .LBB6_8208
; %bb.6853:                             ;   in Loop: Header=BB6_5734 Depth=3
	s_or_saveexec_b32 s31, s31
	v_mov_b32_e32 v77, s17
	s_xor_b32 exec_lo, exec_lo, s31
	s_cbranch_execnz .LBB6_8211
.LBB6_6854:                             ;   in Loop: Header=BB6_5734 Depth=3
	s_or_b32 exec_lo, exec_lo, s31
	s_and_saveexec_b32 s17, s13
	s_cbranch_execz .LBB6_6856
.LBB6_6855:                             ;   in Loop: Header=BB6_5734 Depth=3
	v_bfe_u32 v77, v17, 16, 3
	v_bfe_u32 v89, v17, 19, 4
	s_delay_alu instid0(VALU_DEP_2) | instskip(NEXT) | instid1(VALU_DEP_2)
	v_clz_i32_u32_e32 v78, v77
	v_cmp_eq_u32_e32 vcc_lo, 0, v89
	s_delay_alu instid0(VALU_DEP_2) | instskip(NEXT) | instid1(VALU_DEP_1)
	v_min_u32_e32 v78, 32, v78
	v_subrev_nc_u32_e32 v88, 28, v78
	v_sub_nc_u32_e32 v78, 29, v78
	s_delay_alu instid0(VALU_DEP_2) | instskip(SKIP_1) | instid1(VALU_DEP_2)
	v_lshlrev_b32_e32 v88, v88, v76
	v_lshlrev_b32_e32 v76, 24, v76
	v_and_b32_e32 v88, 7, v88
	s_delay_alu instid0(VALU_DEP_2) | instskip(NEXT) | instid1(VALU_DEP_2)
	v_and_b32_e32 v76, 0x80000000, v76
	v_cndmask_b32_e32 v77, v77, v88, vcc_lo
	s_delay_alu instid0(VALU_DEP_1) | instskip(NEXT) | instid1(VALU_DEP_1)
	v_dual_cndmask_b32 v78, v89, v78 :: v_dual_lshlrev_b32 v77, 20, v77
	v_lshl_add_u32 v78, v78, 23, 0x3b800000
	s_delay_alu instid0(VALU_DEP_1)
	v_or3_b32 v77, v76, v78, v77
.LBB6_6856:                             ;   in Loop: Header=BB6_5734 Depth=3
	s_or_b32 exec_lo, exec_lo, s17
	s_delay_alu instid0(VALU_DEP_1) | instskip(NEXT) | instid1(VALU_DEP_1)
	v_dual_max_f32 v76, v77, v77 :: v_dual_max_f32 v77, v79, v79
	v_min_f32_e32 v79, v77, v76
.LBB6_6857:                             ;   in Loop: Header=BB6_5734 Depth=3
	s_delay_alu instid0(VALU_DEP_1) | instskip(NEXT) | instid1(VALU_DEP_1)
	v_and_b32_e32 v76, 0x7f800000, v79
	v_cmp_ne_u32_e32 vcc_lo, 0x7f800000, v76
	v_mov_b32_e32 v76, 0x80
	s_and_saveexec_b32 s17, vcc_lo
	s_cbranch_execz .LBB6_6865
; %bb.6858:                             ;   in Loop: Header=BB6_5734 Depth=3
	v_mov_b32_e32 v76, 0
	s_mov_b32 s31, exec_lo
	v_cmpx_ne_u32_e32 0, v79
	s_cbranch_execz .LBB6_6864
; %bb.6859:                             ;   in Loop: Header=BB6_5734 Depth=3
	v_bfe_u32 v76, v79, 23, 8
	s_delay_alu instid0(VALU_DEP_1) | instskip(SKIP_1) | instid1(VALU_DEP_2)
	v_sub_nc_u32_e32 v78, 0x78, v76
	v_cmp_gt_u32_e32 vcc_lo, 0x79, v76
	v_dual_cndmask_b32 v78, 0, v78 :: v_dual_and_b32 v77, 0x7fffff, v79
	s_delay_alu instid0(VALU_DEP_1) | instskip(SKIP_2) | instid1(VALU_DEP_4)
	v_or_b32_e32 v88, 0x800000, v77
	v_cmp_eq_u32_e32 vcc_lo, 0, v76
	v_add_nc_u32_e32 v76, 0xffffff89, v76
	v_cndmask_b32_e64 v78, v78, 0x77, vcc_lo
	s_delay_alu instid0(VALU_DEP_4) | instskip(NEXT) | instid1(VALU_DEP_3)
	v_cndmask_b32_e32 v77, v88, v77, vcc_lo
	v_cndmask_b32_e64 v76, v76, 0xffffff8a, vcc_lo
	s_delay_alu instid0(VALU_DEP_3) | instskip(NEXT) | instid1(VALU_DEP_3)
	v_lshl_add_u32 v88, 0x100000, v78, -1
	v_lshrrev_b32_e32 v89, v78, v77
	v_lshlrev_b32_e64 v91, v78, 0x80000
	s_delay_alu instid0(VALU_DEP_4) | instskip(NEXT) | instid1(VALU_DEP_4)
	v_add_nc_u32_e32 v78, v78, v76
	v_and_b32_e32 v77, v88, v77
	s_delay_alu instid0(VALU_DEP_4) | instskip(NEXT) | instid1(VALU_DEP_2)
	v_bfe_u32 v90, v89, 20, 1
	v_cmp_eq_u32_e64 s13, v77, v91
	s_delay_alu instid0(VALU_DEP_2) | instskip(NEXT) | instid1(VALU_DEP_1)
	v_add_nc_u32_e32 v88, -1, v90
	v_cndmask_b32_e64 v77, 0, v88, s13
	v_lshrrev_b32_e32 v88, 23, v89
	s_mov_b32 s13, exec_lo
	s_delay_alu instid0(VALU_DEP_2) | instskip(NEXT) | instid1(VALU_DEP_2)
	v_add_nc_u32_e32 v77, v77, v89
	v_xor_b32_e32 v88, 1, v88
	s_delay_alu instid0(VALU_DEP_2) | instskip(NEXT) | instid1(VALU_DEP_1)
	v_and_b32_e32 v76, 0xfffff, v77
	v_add_nc_u32_e32 v77, v76, v89
                                        ; implicit-def: $vgpr76
	s_delay_alu instid0(VALU_DEP_3)
	v_cmpx_ne_u32_e64 v78, v88
	s_xor_b32 s13, exec_lo, s13
; %bb.6860:                             ;   in Loop: Header=BB6_5734 Depth=3
	s_delay_alu instid0(VALU_DEP_2) | instskip(SKIP_2) | instid1(VALU_DEP_2)
	v_cmp_lt_u32_e32 vcc_lo, 0xffffff, v77
	v_sub_nc_u32_e32 v76, v78, v88
	v_cndmask_b32_e64 v78, 0, 1, vcc_lo
	v_add_co_ci_u32_e32 v76, vcc_lo, 0, v76, vcc_lo
	s_delay_alu instid0(VALU_DEP_2)
	v_lshrrev_b32_e32 v77, v78, v77
; %bb.6861:                             ;   in Loop: Header=BB6_5734 Depth=3
	s_and_not1_saveexec_b32 s13, s13
; %bb.6862:                             ;   in Loop: Header=BB6_5734 Depth=3
	s_delay_alu instid0(VALU_DEP_1)
	v_bfe_u32 v76, v77, 23, 1
; %bb.6863:                             ;   in Loop: Header=BB6_5734 Depth=3
	s_or_b32 exec_lo, exec_lo, s13
	v_lshrrev_b32_e32 v77, 20, v77
	s_delay_alu instid0(VALU_DEP_2) | instskip(SKIP_2) | instid1(VALU_DEP_2)
	v_cmp_gt_i32_e32 vcc_lo, 16, v76
	v_min_i32_e32 v78, 15, v76
	v_lshrrev_b32_e32 v79, 24, v79
	v_dual_cndmask_b32 v77, 7, v77 :: v_dual_lshlrev_b32 v78, 3, v78
	s_delay_alu instid0(VALU_DEP_1) | instskip(SKIP_1) | instid1(VALU_DEP_3)
	v_or_b32_e32 v76, v76, v77
	v_and_b32_e32 v88, 7, v77
	v_and_b32_e32 v78, 0xf8, v78
	s_delay_alu instid0(VALU_DEP_3) | instskip(SKIP_1) | instid1(VALU_DEP_1)
	v_cmp_ne_u32_e32 vcc_lo, 0, v76
	v_and_b32_e32 v79, 0x80, v79
	v_or3_b32 v77, v78, v79, v88
	s_delay_alu instid0(VALU_DEP_1)
	v_cndmask_b32_e32 v76, 0, v77, vcc_lo
.LBB6_6864:                             ;   in Loop: Header=BB6_5734 Depth=3
	s_or_b32 exec_lo, exec_lo, s31
.LBB6_6865:                             ;   in Loop: Header=BB6_5734 Depth=3
	s_delay_alu instid0(SALU_CYCLE_1) | instskip(SKIP_3) | instid1(VALU_DEP_2)
	s_or_b32 exec_lo, exec_lo, s17
	v_lshrrev_b32_e32 v78, 24, v21
	v_lshrrev_b32_e32 v77, 24, v17
	s_and_not1_b32 vcc_lo, exec_lo, s16
	v_cmp_lt_i16_e64 s13, 0x7f, v78
	s_cbranch_vccnz .LBB6_6875
; %bb.6866:                             ;   in Loop: Header=BB6_5734 Depth=3
	s_mov_b32 s17, 0
                                        ; implicit-def: $sgpr31
	s_delay_alu instid0(VALU_DEP_1) | instskip(NEXT) | instid1(SALU_CYCLE_1)
	s_and_saveexec_b32 vcc_lo, s13
	s_xor_b32 s13, exec_lo, vcc_lo
	s_cbranch_execnz .LBB6_8212
; %bb.6867:                             ;   in Loop: Header=BB6_5734 Depth=3
	s_or_saveexec_b32 s13, s13
	v_mov_b32_e32 v79, s31
	s_xor_b32 exec_lo, exec_lo, s13
	s_cbranch_execnz .LBB6_8215
.LBB6_6868:                             ;   in Loop: Header=BB6_5734 Depth=3
	s_or_b32 exec_lo, exec_lo, s13
	s_and_saveexec_b32 s13, s17
	s_cbranch_execz .LBB6_6870
.LBB6_6869:                             ;   in Loop: Header=BB6_5734 Depth=3
	v_bfe_u32 v79, v21, 24, 3
	v_bfe_u32 v90, v21, 27, 4
	s_delay_alu instid0(VALU_DEP_2) | instskip(NEXT) | instid1(VALU_DEP_2)
	v_clz_i32_u32_e32 v88, v79
	v_cmp_eq_u32_e32 vcc_lo, 0, v90
	s_delay_alu instid0(VALU_DEP_2) | instskip(NEXT) | instid1(VALU_DEP_1)
	v_min_u32_e32 v88, 32, v88
	v_subrev_nc_u32_e32 v89, 28, v88
	v_sub_nc_u32_e32 v88, 29, v88
	s_delay_alu instid0(VALU_DEP_1) | instskip(NEXT) | instid1(VALU_DEP_1)
	v_dual_cndmask_b32 v88, v90, v88 :: v_dual_lshlrev_b32 v89, v89, v78
	v_and_b32_e32 v89, 7, v89
	s_delay_alu instid0(VALU_DEP_2) | instskip(NEXT) | instid1(VALU_DEP_2)
	v_lshl_add_u32 v88, v88, 23, 0x3b800000
	v_cndmask_b32_e32 v79, v79, v89, vcc_lo
	v_and_b32_e32 v89, 0x80000000, v21
	s_delay_alu instid0(VALU_DEP_2) | instskip(NEXT) | instid1(VALU_DEP_1)
	v_lshlrev_b32_e32 v79, 20, v79
	v_or3_b32 v79, v89, v88, v79
.LBB6_6870:                             ;   in Loop: Header=BB6_5734 Depth=3
	s_or_b32 exec_lo, exec_lo, s13
	s_mov_b32 s13, 0
	s_mov_b32 s31, exec_lo
                                        ; implicit-def: $sgpr17
	v_cmpx_lt_i16_e32 0x7f, v77
	s_xor_b32 s31, exec_lo, s31
	s_cbranch_execnz .LBB6_8216
; %bb.6871:                             ;   in Loop: Header=BB6_5734 Depth=3
	s_or_saveexec_b32 s31, s31
	v_mov_b32_e32 v88, s17
	s_xor_b32 exec_lo, exec_lo, s31
	s_cbranch_execnz .LBB6_8219
.LBB6_6872:                             ;   in Loop: Header=BB6_5734 Depth=3
	s_or_b32 exec_lo, exec_lo, s31
	s_and_saveexec_b32 s17, s13
	s_cbranch_execz .LBB6_6874
.LBB6_6873:                             ;   in Loop: Header=BB6_5734 Depth=3
	v_bfe_u32 v88, v17, 24, 3
	v_bfe_u32 v91, v17, 27, 4
	s_delay_alu instid0(VALU_DEP_2) | instskip(NEXT) | instid1(VALU_DEP_2)
	v_clz_i32_u32_e32 v89, v88
	v_cmp_eq_u32_e32 vcc_lo, 0, v91
	s_delay_alu instid0(VALU_DEP_2) | instskip(NEXT) | instid1(VALU_DEP_1)
	v_min_u32_e32 v89, 32, v89
	v_subrev_nc_u32_e32 v90, 28, v89
	v_sub_nc_u32_e32 v89, 29, v89
	s_delay_alu instid0(VALU_DEP_2) | instskip(NEXT) | instid1(VALU_DEP_1)
	v_lshlrev_b32_e32 v90, v90, v77
	v_dual_cndmask_b32 v89, v91, v89 :: v_dual_and_b32 v90, 7, v90
	s_delay_alu instid0(VALU_DEP_1) | instskip(NEXT) | instid1(VALU_DEP_2)
	v_lshl_add_u32 v89, v89, 23, 0x3b800000
	v_cndmask_b32_e32 v88, v88, v90, vcc_lo
	v_and_b32_e32 v90, 0x80000000, v17
	s_delay_alu instid0(VALU_DEP_2) | instskip(NEXT) | instid1(VALU_DEP_1)
	v_lshlrev_b32_e32 v88, 20, v88
	v_or3_b32 v88, v90, v89, v88
.LBB6_6874:                             ;   in Loop: Header=BB6_5734 Depth=3
	s_or_b32 exec_lo, exec_lo, s17
	s_delay_alu instid0(VALU_DEP_1) | instskip(SKIP_1) | instid1(VALU_DEP_1)
	v_dual_max_f32 v88, v88, v88 :: v_dual_max_f32 v79, v79, v79
	s_mov_b32 s13, 0
	v_max_f32_e32 v79, v79, v88
	s_branch .LBB6_6876
.LBB6_6875:                             ;   in Loop: Header=BB6_5734 Depth=3
	s_mov_b32 s13, -1
                                        ; implicit-def: $vgpr79
.LBB6_6876:                             ;   in Loop: Header=BB6_5734 Depth=3
	s_delay_alu instid0(SALU_CYCLE_1)
	s_and_b32 vcc_lo, exec_lo, s13
	s_cbranch_vccz .LBB6_6886
; %bb.6877:                             ;   in Loop: Header=BB6_5734 Depth=3
	s_mov_b32 s13, 0
	s_mov_b32 s31, exec_lo
                                        ; implicit-def: $sgpr17
	v_cmpx_lt_i16_e32 0x7f, v78
	s_xor_b32 s31, exec_lo, s31
	s_cbranch_execnz .LBB6_8220
; %bb.6878:                             ;   in Loop: Header=BB6_5734 Depth=3
	s_or_saveexec_b32 s31, s31
	v_mov_b32_e32 v79, s17
	s_xor_b32 exec_lo, exec_lo, s31
	s_cbranch_execnz .LBB6_8223
.LBB6_6879:                             ;   in Loop: Header=BB6_5734 Depth=3
	s_or_b32 exec_lo, exec_lo, s31
	s_and_saveexec_b32 s17, s13
	s_cbranch_execz .LBB6_6881
.LBB6_6880:                             ;   in Loop: Header=BB6_5734 Depth=3
	v_bfe_u32 v79, v21, 24, 3
	s_delay_alu instid0(VALU_DEP_1) | instskip(NEXT) | instid1(VALU_DEP_1)
	v_clz_i32_u32_e32 v88, v79
	v_min_u32_e32 v88, 32, v88
	s_delay_alu instid0(VALU_DEP_1) | instskip(SKIP_1) | instid1(VALU_DEP_2)
	v_subrev_nc_u32_e32 v89, 28, v88
	v_sub_nc_u32_e32 v88, 29, v88
	v_lshlrev_b32_e32 v78, v89, v78
	v_bfe_u32 v89, v21, 27, 4
	v_and_b32_e32 v21, 0x80000000, v21
	s_delay_alu instid0(VALU_DEP_3) | instskip(NEXT) | instid1(VALU_DEP_3)
	v_and_b32_e32 v78, 7, v78
	v_cmp_eq_u32_e32 vcc_lo, 0, v89
	v_cndmask_b32_e32 v88, v89, v88, vcc_lo
	s_delay_alu instid0(VALU_DEP_3) | instskip(NEXT) | instid1(VALU_DEP_2)
	v_cndmask_b32_e32 v78, v79, v78, vcc_lo
	v_lshl_add_u32 v79, v88, 23, 0x3b800000
	s_delay_alu instid0(VALU_DEP_2) | instskip(NEXT) | instid1(VALU_DEP_1)
	v_lshlrev_b32_e32 v78, 20, v78
	v_or3_b32 v79, v21, v79, v78
.LBB6_6881:                             ;   in Loop: Header=BB6_5734 Depth=3
	s_or_b32 exec_lo, exec_lo, s17
	s_mov_b32 s13, 0
	s_mov_b32 s31, exec_lo
                                        ; implicit-def: $sgpr17
	v_cmpx_lt_i16_e32 0x7f, v77
	s_xor_b32 s31, exec_lo, s31
	s_cbranch_execnz .LBB6_8224
; %bb.6882:                             ;   in Loop: Header=BB6_5734 Depth=3
	s_or_saveexec_b32 s31, s31
	v_mov_b32_e32 v21, s17
	s_xor_b32 exec_lo, exec_lo, s31
	s_cbranch_execnz .LBB6_8227
.LBB6_6883:                             ;   in Loop: Header=BB6_5734 Depth=3
	s_or_b32 exec_lo, exec_lo, s31
	s_and_saveexec_b32 s17, s13
	s_cbranch_execz .LBB6_6885
.LBB6_6884:                             ;   in Loop: Header=BB6_5734 Depth=3
	v_bfe_u32 v21, v17, 24, 3
	s_delay_alu instid0(VALU_DEP_1) | instskip(NEXT) | instid1(VALU_DEP_1)
	v_clz_i32_u32_e32 v78, v21
	v_min_u32_e32 v78, 32, v78
	s_delay_alu instid0(VALU_DEP_1) | instskip(SKIP_1) | instid1(VALU_DEP_2)
	v_subrev_nc_u32_e32 v88, 28, v78
	v_sub_nc_u32_e32 v78, 29, v78
	v_lshlrev_b32_e32 v77, v88, v77
	v_bfe_u32 v88, v17, 27, 4
	v_and_b32_e32 v17, 0x80000000, v17
	s_delay_alu instid0(VALU_DEP_2) | instskip(NEXT) | instid1(VALU_DEP_4)
	v_cmp_eq_u32_e32 vcc_lo, 0, v88
	v_dual_cndmask_b32 v78, v88, v78 :: v_dual_and_b32 v77, 7, v77
	s_delay_alu instid0(VALU_DEP_1) | instskip(NEXT) | instid1(VALU_DEP_2)
	v_cndmask_b32_e32 v21, v21, v77, vcc_lo
	v_lshl_add_u32 v77, v78, 23, 0x3b800000
	s_delay_alu instid0(VALU_DEP_2) | instskip(NEXT) | instid1(VALU_DEP_1)
	v_lshlrev_b32_e32 v21, 20, v21
	v_or3_b32 v21, v17, v77, v21
.LBB6_6885:                             ;   in Loop: Header=BB6_5734 Depth=3
	s_or_b32 exec_lo, exec_lo, s17
	s_delay_alu instid0(VALU_DEP_1) | instskip(SKIP_1) | instid1(VALU_DEP_1)
	v_max_f32_e32 v17, v21, v21
	v_max_f32_e32 v21, v79, v79
	v_min_f32_e32 v79, v21, v17
.LBB6_6886:                             ;   in Loop: Header=BB6_5734 Depth=3
	s_delay_alu instid0(VALU_DEP_1) | instskip(NEXT) | instid1(VALU_DEP_1)
	v_and_b32_e32 v17, 0x7f800000, v79
	v_cmp_ne_u32_e32 vcc_lo, 0x7f800000, v17
	v_mov_b32_e32 v17, 0x8000
	s_and_saveexec_b32 s17, vcc_lo
	s_cbranch_execz .LBB6_6894
; %bb.6887:                             ;   in Loop: Header=BB6_5734 Depth=3
	v_mov_b32_e32 v17, 0
	s_mov_b32 s31, exec_lo
	v_cmpx_ne_u32_e32 0, v79
	s_cbranch_execz .LBB6_6893
; %bb.6888:                             ;   in Loop: Header=BB6_5734 Depth=3
	v_bfe_u32 v17, v79, 23, 8
	v_and_b32_e32 v21, 0x7fffff, v79
	s_delay_alu instid0(VALU_DEP_2) | instskip(SKIP_1) | instid1(VALU_DEP_3)
	v_sub_nc_u32_e32 v77, 0x78, v17
	v_cmp_gt_u32_e32 vcc_lo, 0x79, v17
	v_or_b32_e32 v78, 0x800000, v21
	s_delay_alu instid0(VALU_DEP_3) | instskip(SKIP_2) | instid1(VALU_DEP_3)
	v_cndmask_b32_e32 v77, 0, v77, vcc_lo
	v_cmp_eq_u32_e32 vcc_lo, 0, v17
	v_add_nc_u32_e32 v17, 0xffffff89, v17
	v_cndmask_b32_e64 v77, v77, 0x77, vcc_lo
	v_cndmask_b32_e32 v21, v78, v21, vcc_lo
	s_delay_alu instid0(VALU_DEP_3) | instskip(NEXT) | instid1(VALU_DEP_3)
	v_cndmask_b32_e64 v17, v17, 0xffffff8a, vcc_lo
	v_lshl_add_u32 v78, 0x100000, v77, -1
	s_delay_alu instid0(VALU_DEP_3) | instskip(SKIP_1) | instid1(VALU_DEP_4)
	v_lshrrev_b32_e32 v88, v77, v21
	v_lshlrev_b32_e64 v90, v77, 0x80000
	v_add_nc_u32_e32 v77, v77, v17
	s_delay_alu instid0(VALU_DEP_4) | instskip(NEXT) | instid1(VALU_DEP_4)
	v_and_b32_e32 v21, v78, v21
	v_bfe_u32 v89, v88, 20, 1
	s_delay_alu instid0(VALU_DEP_2) | instskip(NEXT) | instid1(VALU_DEP_2)
	v_cmp_eq_u32_e64 s13, v21, v90
	v_add_nc_u32_e32 v78, -1, v89
	s_delay_alu instid0(VALU_DEP_1) | instskip(SKIP_2) | instid1(VALU_DEP_2)
	v_cndmask_b32_e64 v21, 0, v78, s13
	v_lshrrev_b32_e32 v78, 23, v88
	s_mov_b32 s13, exec_lo
	v_add_nc_u32_e32 v21, v21, v88
	s_delay_alu instid0(VALU_DEP_2) | instskip(NEXT) | instid1(VALU_DEP_2)
	v_xor_b32_e32 v78, 1, v78
	v_and_b32_e32 v17, 0xfffff, v21
	s_delay_alu instid0(VALU_DEP_1) | instskip(NEXT) | instid1(VALU_DEP_3)
	v_add_nc_u32_e32 v21, v17, v88
                                        ; implicit-def: $vgpr17
	v_cmpx_ne_u32_e64 v77, v78
	s_xor_b32 s13, exec_lo, s13
; %bb.6889:                             ;   in Loop: Header=BB6_5734 Depth=3
	s_delay_alu instid0(VALU_DEP_2) | instskip(SKIP_2) | instid1(VALU_DEP_2)
	v_cmp_lt_u32_e32 vcc_lo, 0xffffff, v21
	v_sub_nc_u32_e32 v17, v77, v78
	v_cndmask_b32_e64 v77, 0, 1, vcc_lo
	v_add_co_ci_u32_e32 v17, vcc_lo, 0, v17, vcc_lo
	s_delay_alu instid0(VALU_DEP_2)
	v_lshrrev_b32_e32 v21, v77, v21
; %bb.6890:                             ;   in Loop: Header=BB6_5734 Depth=3
	s_and_not1_saveexec_b32 s13, s13
; %bb.6891:                             ;   in Loop: Header=BB6_5734 Depth=3
	s_delay_alu instid0(VALU_DEP_1)
	v_bfe_u32 v17, v21, 23, 1
; %bb.6892:                             ;   in Loop: Header=BB6_5734 Depth=3
	s_or_b32 exec_lo, exec_lo, s13
	v_lshrrev_b32_e32 v21, 20, v21
	s_delay_alu instid0(VALU_DEP_2) | instskip(SKIP_2) | instid1(VALU_DEP_3)
	v_min_i32_e32 v77, 15, v17
	v_cmp_gt_i32_e32 vcc_lo, 16, v17
	v_lshrrev_b32_e32 v78, 24, v79
	v_lshlrev_b32_e32 v77, 3, v77
	s_delay_alu instid0(VALU_DEP_2) | instskip(NEXT) | instid1(VALU_DEP_2)
	v_dual_cndmask_b32 v21, 7, v21 :: v_dual_and_b32 v78, 0x80, v78
	v_and_b32_e32 v77, 0xf8, v77
	s_delay_alu instid0(VALU_DEP_2) | instskip(SKIP_1) | instid1(VALU_DEP_2)
	v_and_b32_e32 v79, 7, v21
	v_or_b32_e32 v17, v17, v21
	v_or3_b32 v77, v78, v77, v79
	s_delay_alu instid0(VALU_DEP_2) | instskip(NEXT) | instid1(VALU_DEP_2)
	v_cmp_ne_u32_e32 vcc_lo, 0, v17
	v_lshlrev_b32_e32 v21, 8, v77
	s_delay_alu instid0(VALU_DEP_1)
	v_cndmask_b32_e32 v17, 0, v21, vcc_lo
.LBB6_6893:                             ;   in Loop: Header=BB6_5734 Depth=3
	s_or_b32 exec_lo, exec_lo, s31
.LBB6_6894:                             ;   in Loop: Header=BB6_5734 Depth=3
	s_delay_alu instid0(SALU_CYCLE_1) | instskip(SKIP_2) | instid1(VALU_DEP_1)
	s_or_b32 exec_lo, exec_lo, s17
	v_and_b32_e32 v21, 0xff, v22
	s_and_not1_b32 vcc_lo, exec_lo, s16
	v_cmp_lt_i16_e64 s13, 0x7f, v21
	s_cbranch_vccnz .LBB6_6904
; %bb.6895:                             ;   in Loop: Header=BB6_5734 Depth=3
	s_mov_b32 s17, 0
                                        ; implicit-def: $sgpr31
	s_delay_alu instid0(VALU_DEP_1) | instskip(NEXT) | instid1(SALU_CYCLE_1)
	s_and_saveexec_b32 vcc_lo, s13
	s_xor_b32 s13, exec_lo, vcc_lo
	s_cbranch_execnz .LBB6_8228
; %bb.6896:                             ;   in Loop: Header=BB6_5734 Depth=3
	s_or_saveexec_b32 s13, s13
	v_mov_b32_e32 v77, s31
	s_xor_b32 exec_lo, exec_lo, s13
	s_cbranch_execnz .LBB6_8231
.LBB6_6897:                             ;   in Loop: Header=BB6_5734 Depth=3
	s_or_b32 exec_lo, exec_lo, s13
	s_and_saveexec_b32 s13, s17
	s_cbranch_execz .LBB6_6899
.LBB6_6898:                             ;   in Loop: Header=BB6_5734 Depth=3
	v_and_b32_e32 v77, 7, v22
	v_bfe_u32 v88, v22, 3, 4
	v_lshlrev_b32_e32 v89, 24, v22
	s_delay_alu instid0(VALU_DEP_3) | instskip(NEXT) | instid1(VALU_DEP_3)
	v_clz_i32_u32_e32 v78, v77
	v_cmp_eq_u32_e32 vcc_lo, 0, v88
	s_delay_alu instid0(VALU_DEP_2) | instskip(NEXT) | instid1(VALU_DEP_1)
	v_min_u32_e32 v78, 32, v78
	v_subrev_nc_u32_e32 v79, 28, v78
	v_sub_nc_u32_e32 v78, 29, v78
	s_delay_alu instid0(VALU_DEP_2) | instskip(NEXT) | instid1(VALU_DEP_1)
	v_lshlrev_b32_e32 v79, v79, v22
	v_dual_cndmask_b32 v78, v88, v78 :: v_dual_and_b32 v79, 7, v79
	s_delay_alu instid0(VALU_DEP_1) | instskip(NEXT) | instid1(VALU_DEP_2)
	v_lshl_add_u32 v78, v78, 23, 0x3b800000
	v_cndmask_b32_e32 v77, v77, v79, vcc_lo
	v_and_b32_e32 v79, 0x80000000, v89
	s_delay_alu instid0(VALU_DEP_2) | instskip(NEXT) | instid1(VALU_DEP_1)
	v_lshlrev_b32_e32 v77, 20, v77
	v_or3_b32 v77, v79, v78, v77
.LBB6_6899:                             ;   in Loop: Header=BB6_5734 Depth=3
	s_or_b32 exec_lo, exec_lo, s13
	v_and_b32_e32 v79, 0xff, v18
	s_mov_b32 s13, 0
	s_mov_b32 s31, exec_lo
                                        ; implicit-def: $sgpr17
	s_delay_alu instid0(VALU_DEP_1)
	v_cmpx_lt_i16_e32 0x7f, v79
	s_xor_b32 s31, exec_lo, s31
	s_cbranch_execnz .LBB6_8232
; %bb.6900:                             ;   in Loop: Header=BB6_5734 Depth=3
	s_or_saveexec_b32 s31, s31
	v_mov_b32_e32 v78, s17
	s_xor_b32 exec_lo, exec_lo, s31
	s_cbranch_execnz .LBB6_8235
.LBB6_6901:                             ;   in Loop: Header=BB6_5734 Depth=3
	s_or_b32 exec_lo, exec_lo, s31
	s_and_saveexec_b32 s17, s13
	s_cbranch_execz .LBB6_6903
.LBB6_6902:                             ;   in Loop: Header=BB6_5734 Depth=3
	v_bfe_u32 v89, v18, 3, 4
	v_lshlrev_b32_e32 v90, 24, v18
	s_delay_alu instid0(VALU_DEP_2) | instskip(SKIP_1) | instid1(VALU_DEP_1)
	v_cmp_eq_u32_e32 vcc_lo, 0, v89
	v_and_b32_e32 v78, 7, v18
	v_clz_i32_u32_e32 v79, v78
	s_delay_alu instid0(VALU_DEP_1) | instskip(NEXT) | instid1(VALU_DEP_1)
	v_min_u32_e32 v79, 32, v79
	v_subrev_nc_u32_e32 v88, 28, v79
	v_sub_nc_u32_e32 v79, 29, v79
	s_delay_alu instid0(VALU_DEP_1) | instskip(NEXT) | instid1(VALU_DEP_1)
	v_dual_cndmask_b32 v79, v89, v79 :: v_dual_lshlrev_b32 v88, v88, v18
	v_and_b32_e32 v88, 7, v88
	s_delay_alu instid0(VALU_DEP_2) | instskip(NEXT) | instid1(VALU_DEP_2)
	v_lshl_add_u32 v79, v79, 23, 0x3b800000
	v_cndmask_b32_e32 v78, v78, v88, vcc_lo
	v_and_b32_e32 v88, 0x80000000, v90
	s_delay_alu instid0(VALU_DEP_2) | instskip(NEXT) | instid1(VALU_DEP_1)
	v_lshlrev_b32_e32 v78, 20, v78
	v_or3_b32 v78, v88, v79, v78
.LBB6_6903:                             ;   in Loop: Header=BB6_5734 Depth=3
	s_or_b32 exec_lo, exec_lo, s17
	s_delay_alu instid0(VALU_DEP_1) | instskip(SKIP_1) | instid1(VALU_DEP_1)
	v_dual_max_f32 v78, v78, v78 :: v_dual_max_f32 v77, v77, v77
	s_mov_b32 s13, 0
	v_max_f32_e32 v77, v77, v78
	s_branch .LBB6_6905
.LBB6_6904:                             ;   in Loop: Header=BB6_5734 Depth=3
	s_mov_b32 s13, -1
                                        ; implicit-def: $vgpr77
.LBB6_6905:                             ;   in Loop: Header=BB6_5734 Depth=3
	s_delay_alu instid0(SALU_CYCLE_1)
	s_and_b32 vcc_lo, exec_lo, s13
	s_cbranch_vccz .LBB6_6915
; %bb.6906:                             ;   in Loop: Header=BB6_5734 Depth=3
	s_mov_b32 s13, 0
	s_mov_b32 s31, exec_lo
                                        ; implicit-def: $sgpr17
	v_cmpx_lt_i16_e32 0x7f, v21
	s_xor_b32 s31, exec_lo, s31
	s_cbranch_execnz .LBB6_8236
; %bb.6907:                             ;   in Loop: Header=BB6_5734 Depth=3
	s_or_saveexec_b32 s31, s31
	v_mov_b32_e32 v77, s17
	s_xor_b32 exec_lo, exec_lo, s31
	s_cbranch_execnz .LBB6_8239
.LBB6_6908:                             ;   in Loop: Header=BB6_5734 Depth=3
	s_or_b32 exec_lo, exec_lo, s31
	s_and_saveexec_b32 s17, s13
	s_cbranch_execz .LBB6_6910
.LBB6_6909:                             ;   in Loop: Header=BB6_5734 Depth=3
	v_and_b32_e32 v21, 7, v22
	v_bfe_u32 v79, v22, 3, 4
	v_lshlrev_b32_e32 v88, 24, v22
	s_delay_alu instid0(VALU_DEP_3) | instskip(NEXT) | instid1(VALU_DEP_3)
	v_clz_i32_u32_e32 v77, v21
	v_cmp_eq_u32_e32 vcc_lo, 0, v79
	s_delay_alu instid0(VALU_DEP_2) | instskip(NEXT) | instid1(VALU_DEP_1)
	v_min_u32_e32 v77, 32, v77
	v_subrev_nc_u32_e32 v78, 28, v77
	v_sub_nc_u32_e32 v77, 29, v77
	s_delay_alu instid0(VALU_DEP_1) | instskip(NEXT) | instid1(VALU_DEP_1)
	v_dual_cndmask_b32 v77, v79, v77 :: v_dual_lshlrev_b32 v78, v78, v22
	v_and_b32_e32 v78, 7, v78
	s_delay_alu instid0(VALU_DEP_2) | instskip(NEXT) | instid1(VALU_DEP_2)
	v_lshl_add_u32 v77, v77, 23, 0x3b800000
	v_dual_cndmask_b32 v21, v21, v78 :: v_dual_and_b32 v78, 0x80000000, v88
	s_delay_alu instid0(VALU_DEP_1) | instskip(NEXT) | instid1(VALU_DEP_1)
	v_lshlrev_b32_e32 v21, 20, v21
	v_or3_b32 v77, v78, v77, v21
.LBB6_6910:                             ;   in Loop: Header=BB6_5734 Depth=3
	s_or_b32 exec_lo, exec_lo, s17
	v_and_b32_e32 v78, 0xff, v18
	s_mov_b32 s13, 0
	s_mov_b32 s31, exec_lo
                                        ; implicit-def: $sgpr17
	s_delay_alu instid0(VALU_DEP_1)
	v_cmpx_lt_i16_e32 0x7f, v78
	s_xor_b32 s31, exec_lo, s31
	s_cbranch_execnz .LBB6_8240
; %bb.6911:                             ;   in Loop: Header=BB6_5734 Depth=3
	s_or_saveexec_b32 s31, s31
	v_mov_b32_e32 v21, s17
	s_xor_b32 exec_lo, exec_lo, s31
	s_cbranch_execnz .LBB6_8243
.LBB6_6912:                             ;   in Loop: Header=BB6_5734 Depth=3
	s_or_b32 exec_lo, exec_lo, s31
	s_and_saveexec_b32 s17, s13
	s_cbranch_execz .LBB6_6914
.LBB6_6913:                             ;   in Loop: Header=BB6_5734 Depth=3
	v_and_b32_e32 v21, 7, v18
	v_bfe_u32 v88, v18, 3, 4
	v_lshlrev_b32_e32 v89, 24, v18
	s_delay_alu instid0(VALU_DEP_3) | instskip(NEXT) | instid1(VALU_DEP_3)
	v_clz_i32_u32_e32 v78, v21
	v_cmp_eq_u32_e32 vcc_lo, 0, v88
	s_delay_alu instid0(VALU_DEP_2) | instskip(NEXT) | instid1(VALU_DEP_1)
	v_min_u32_e32 v78, 32, v78
	v_subrev_nc_u32_e32 v79, 28, v78
	v_sub_nc_u32_e32 v78, 29, v78
	s_delay_alu instid0(VALU_DEP_2) | instskip(NEXT) | instid1(VALU_DEP_1)
	v_lshlrev_b32_e32 v79, v79, v18
	v_dual_cndmask_b32 v78, v88, v78 :: v_dual_and_b32 v79, 7, v79
	s_delay_alu instid0(VALU_DEP_1) | instskip(NEXT) | instid1(VALU_DEP_2)
	v_lshl_add_u32 v78, v78, 23, 0x3b800000
	v_cndmask_b32_e32 v21, v21, v79, vcc_lo
	v_and_b32_e32 v79, 0x80000000, v89
	s_delay_alu instid0(VALU_DEP_2) | instskip(NEXT) | instid1(VALU_DEP_1)
	v_lshlrev_b32_e32 v21, 20, v21
	v_or3_b32 v21, v79, v78, v21
.LBB6_6914:                             ;   in Loop: Header=BB6_5734 Depth=3
	s_or_b32 exec_lo, exec_lo, s17
	s_delay_alu instid0(VALU_DEP_1) | instskip(SKIP_1) | instid1(VALU_DEP_1)
	v_max_f32_e32 v21, v21, v21
	v_max_f32_e32 v77, v77, v77
	v_min_f32_e32 v77, v77, v21
.LBB6_6915:                             ;   in Loop: Header=BB6_5734 Depth=3
	s_delay_alu instid0(VALU_DEP_1) | instskip(NEXT) | instid1(VALU_DEP_1)
	v_and_b32_e32 v21, 0x7f800000, v77
	v_cmp_ne_u32_e32 vcc_lo, 0x7f800000, v21
	v_mov_b32_e32 v21, 0x80
	s_and_saveexec_b32 s17, vcc_lo
	s_cbranch_execz .LBB6_6923
; %bb.6916:                             ;   in Loop: Header=BB6_5734 Depth=3
	v_mov_b32_e32 v21, 0
	s_mov_b32 s31, exec_lo
	v_cmpx_ne_u32_e32 0, v77
	s_cbranch_execz .LBB6_6922
; %bb.6917:                             ;   in Loop: Header=BB6_5734 Depth=3
	v_bfe_u32 v21, v77, 23, 8
	s_delay_alu instid0(VALU_DEP_1) | instskip(SKIP_1) | instid1(VALU_DEP_2)
	v_sub_nc_u32_e32 v79, 0x78, v21
	v_cmp_gt_u32_e32 vcc_lo, 0x79, v21
	v_dual_cndmask_b32 v79, 0, v79 :: v_dual_and_b32 v78, 0x7fffff, v77
	s_delay_alu instid0(VALU_DEP_1) | instskip(SKIP_2) | instid1(VALU_DEP_4)
	v_or_b32_e32 v88, 0x800000, v78
	v_cmp_eq_u32_e32 vcc_lo, 0, v21
	v_add_nc_u32_e32 v21, 0xffffff89, v21
	v_cndmask_b32_e64 v79, v79, 0x77, vcc_lo
	s_delay_alu instid0(VALU_DEP_4) | instskip(NEXT) | instid1(VALU_DEP_3)
	v_cndmask_b32_e32 v78, v88, v78, vcc_lo
	v_cndmask_b32_e64 v21, v21, 0xffffff8a, vcc_lo
	s_delay_alu instid0(VALU_DEP_3) | instskip(NEXT) | instid1(VALU_DEP_3)
	v_lshl_add_u32 v88, 0x100000, v79, -1
	v_lshrrev_b32_e32 v89, v79, v78
	v_lshlrev_b32_e64 v91, v79, 0x80000
	s_delay_alu instid0(VALU_DEP_4) | instskip(NEXT) | instid1(VALU_DEP_4)
	v_add_nc_u32_e32 v79, v79, v21
	v_and_b32_e32 v78, v88, v78
	s_delay_alu instid0(VALU_DEP_4) | instskip(NEXT) | instid1(VALU_DEP_2)
	v_bfe_u32 v90, v89, 20, 1
	v_cmp_eq_u32_e64 s13, v78, v91
	s_delay_alu instid0(VALU_DEP_2) | instskip(NEXT) | instid1(VALU_DEP_1)
	v_add_nc_u32_e32 v88, -1, v90
	v_cndmask_b32_e64 v78, 0, v88, s13
	v_lshrrev_b32_e32 v88, 23, v89
	s_mov_b32 s13, exec_lo
	s_delay_alu instid0(VALU_DEP_2) | instskip(NEXT) | instid1(VALU_DEP_2)
	v_add_nc_u32_e32 v78, v78, v89
	v_xor_b32_e32 v88, 1, v88
	s_delay_alu instid0(VALU_DEP_2) | instskip(NEXT) | instid1(VALU_DEP_1)
	v_and_b32_e32 v21, 0xfffff, v78
	v_add_nc_u32_e32 v78, v21, v89
                                        ; implicit-def: $vgpr21
	s_delay_alu instid0(VALU_DEP_3)
	v_cmpx_ne_u32_e64 v79, v88
	s_xor_b32 s13, exec_lo, s13
; %bb.6918:                             ;   in Loop: Header=BB6_5734 Depth=3
	s_delay_alu instid0(VALU_DEP_2) | instskip(SKIP_2) | instid1(VALU_DEP_2)
	v_cmp_lt_u32_e32 vcc_lo, 0xffffff, v78
	v_sub_nc_u32_e32 v21, v79, v88
	v_cndmask_b32_e64 v79, 0, 1, vcc_lo
	v_add_co_ci_u32_e32 v21, vcc_lo, 0, v21, vcc_lo
	s_delay_alu instid0(VALU_DEP_2)
	v_lshrrev_b32_e32 v78, v79, v78
; %bb.6919:                             ;   in Loop: Header=BB6_5734 Depth=3
	s_and_not1_saveexec_b32 s13, s13
; %bb.6920:                             ;   in Loop: Header=BB6_5734 Depth=3
	s_delay_alu instid0(VALU_DEP_1)
	v_bfe_u32 v21, v78, 23, 1
; %bb.6921:                             ;   in Loop: Header=BB6_5734 Depth=3
	s_or_b32 exec_lo, exec_lo, s13
	v_lshrrev_b32_e32 v78, 20, v78
	s_delay_alu instid0(VALU_DEP_2) | instskip(SKIP_2) | instid1(VALU_DEP_2)
	v_cmp_gt_i32_e32 vcc_lo, 16, v21
	v_lshrrev_b32_e32 v77, 24, v77
	v_min_i32_e32 v79, 15, v21
	v_dual_cndmask_b32 v78, 7, v78 :: v_dual_and_b32 v77, 0x80, v77
	s_delay_alu instid0(VALU_DEP_2) | instskip(NEXT) | instid1(VALU_DEP_2)
	v_lshlrev_b32_e32 v79, 3, v79
	v_or_b32_e32 v21, v21, v78
	s_delay_alu instid0(VALU_DEP_1) | instskip(SKIP_1) | instid1(VALU_DEP_1)
	v_cmp_ne_u32_e32 vcc_lo, 0, v21
	v_and_b32_e32 v88, 7, v78
	v_or3_b32 v77, v79, v77, v88
	s_delay_alu instid0(VALU_DEP_1)
	v_cndmask_b32_e32 v21, 0, v77, vcc_lo
.LBB6_6922:                             ;   in Loop: Header=BB6_5734 Depth=3
	s_or_b32 exec_lo, exec_lo, s31
.LBB6_6923:                             ;   in Loop: Header=BB6_5734 Depth=3
	s_delay_alu instid0(SALU_CYCLE_1) | instskip(SKIP_3) | instid1(VALU_DEP_2)
	s_or_b32 exec_lo, exec_lo, s17
	v_lshrrev_b16 v78, 8, v22
	v_lshrrev_b16 v77, 8, v18
	s_and_not1_b32 vcc_lo, exec_lo, s16
	v_cmp_lt_i16_e64 s13, 0x7f, v78
	s_cbranch_vccnz .LBB6_6933
; %bb.6924:                             ;   in Loop: Header=BB6_5734 Depth=3
	s_mov_b32 s17, 0
                                        ; implicit-def: $sgpr31
	s_delay_alu instid0(VALU_DEP_1) | instskip(NEXT) | instid1(SALU_CYCLE_1)
	s_and_saveexec_b32 vcc_lo, s13
	s_xor_b32 s13, exec_lo, vcc_lo
	s_cbranch_execnz .LBB6_8244
; %bb.6925:                             ;   in Loop: Header=BB6_5734 Depth=3
	s_or_saveexec_b32 s13, s13
	v_mov_b32_e32 v79, s31
	s_xor_b32 exec_lo, exec_lo, s13
	s_cbranch_execnz .LBB6_8247
.LBB6_6926:                             ;   in Loop: Header=BB6_5734 Depth=3
	s_or_b32 exec_lo, exec_lo, s13
	s_and_saveexec_b32 s13, s17
	s_cbranch_execz .LBB6_6928
.LBB6_6927:                             ;   in Loop: Header=BB6_5734 Depth=3
	v_and_b32_e32 v79, 0xffff, v78
	v_lshlrev_b32_e32 v91, 16, v22
	s_delay_alu instid0(VALU_DEP_2) | instskip(NEXT) | instid1(VALU_DEP_1)
	v_and_b32_e32 v88, 7, v79
	v_clz_i32_u32_e32 v89, v88
	s_delay_alu instid0(VALU_DEP_1) | instskip(NEXT) | instid1(VALU_DEP_1)
	v_min_u32_e32 v89, 32, v89
	v_subrev_nc_u32_e32 v90, 28, v89
	v_sub_nc_u32_e32 v89, 29, v89
	s_delay_alu instid0(VALU_DEP_2) | instskip(SKIP_1) | instid1(VALU_DEP_2)
	v_lshlrev_b32_e32 v90, v90, v79
	v_bfe_u32 v79, v79, 3, 4
	v_and_b32_e32 v90, 7, v90
	s_delay_alu instid0(VALU_DEP_2) | instskip(NEXT) | instid1(VALU_DEP_2)
	v_cmp_eq_u32_e32 vcc_lo, 0, v79
	v_dual_cndmask_b32 v79, v79, v89 :: v_dual_cndmask_b32 v88, v88, v90
	v_and_b32_e32 v89, 0x80000000, v91
	s_delay_alu instid0(VALU_DEP_2) | instskip(NEXT) | instid1(VALU_DEP_3)
	v_lshl_add_u32 v79, v79, 23, 0x3b800000
	v_lshlrev_b32_e32 v88, 20, v88
	s_delay_alu instid0(VALU_DEP_1)
	v_or3_b32 v79, v89, v79, v88
.LBB6_6928:                             ;   in Loop: Header=BB6_5734 Depth=3
	s_or_b32 exec_lo, exec_lo, s13
	s_mov_b32 s13, 0
	s_mov_b32 s31, exec_lo
                                        ; implicit-def: $sgpr17
	v_cmpx_lt_i16_e32 0x7f, v77
	s_xor_b32 s31, exec_lo, s31
	s_cbranch_execnz .LBB6_8248
; %bb.6929:                             ;   in Loop: Header=BB6_5734 Depth=3
	s_or_saveexec_b32 s31, s31
	v_mov_b32_e32 v88, s17
	s_xor_b32 exec_lo, exec_lo, s31
	s_cbranch_execnz .LBB6_8251
.LBB6_6930:                             ;   in Loop: Header=BB6_5734 Depth=3
	s_or_b32 exec_lo, exec_lo, s31
	s_and_saveexec_b32 s17, s13
	s_cbranch_execz .LBB6_6932
.LBB6_6931:                             ;   in Loop: Header=BB6_5734 Depth=3
	v_and_b32_e32 v88, 0xffff, v77
	v_lshlrev_b32_e32 v92, 16, v18
	s_delay_alu instid0(VALU_DEP_2) | instskip(NEXT) | instid1(VALU_DEP_1)
	v_and_b32_e32 v89, 7, v88
	v_clz_i32_u32_e32 v90, v89
	s_delay_alu instid0(VALU_DEP_1) | instskip(NEXT) | instid1(VALU_DEP_1)
	v_min_u32_e32 v90, 32, v90
	v_subrev_nc_u32_e32 v91, 28, v90
	v_sub_nc_u32_e32 v90, 29, v90
	s_delay_alu instid0(VALU_DEP_2) | instskip(SKIP_1) | instid1(VALU_DEP_2)
	v_lshlrev_b32_e32 v91, v91, v88
	v_bfe_u32 v88, v88, 3, 4
	v_and_b32_e32 v91, 7, v91
	s_delay_alu instid0(VALU_DEP_2) | instskip(NEXT) | instid1(VALU_DEP_2)
	v_cmp_eq_u32_e32 vcc_lo, 0, v88
	v_dual_cndmask_b32 v88, v88, v90 :: v_dual_cndmask_b32 v89, v89, v91
	v_and_b32_e32 v90, 0x80000000, v92
	s_delay_alu instid0(VALU_DEP_2) | instskip(NEXT) | instid1(VALU_DEP_3)
	v_lshl_add_u32 v88, v88, 23, 0x3b800000
	v_lshlrev_b32_e32 v89, 20, v89
	s_delay_alu instid0(VALU_DEP_1)
	v_or3_b32 v88, v90, v88, v89
.LBB6_6932:                             ;   in Loop: Header=BB6_5734 Depth=3
	s_or_b32 exec_lo, exec_lo, s17
	s_delay_alu instid0(VALU_DEP_1) | instskip(SKIP_1) | instid1(VALU_DEP_1)
	v_dual_max_f32 v88, v88, v88 :: v_dual_max_f32 v79, v79, v79
	s_mov_b32 s13, 0
	v_max_f32_e32 v79, v79, v88
	s_branch .LBB6_6934
.LBB6_6933:                             ;   in Loop: Header=BB6_5734 Depth=3
	s_mov_b32 s13, -1
                                        ; implicit-def: $vgpr79
.LBB6_6934:                             ;   in Loop: Header=BB6_5734 Depth=3
	s_delay_alu instid0(SALU_CYCLE_1)
	s_and_b32 vcc_lo, exec_lo, s13
	s_cbranch_vccz .LBB6_6944
; %bb.6935:                             ;   in Loop: Header=BB6_5734 Depth=3
	s_mov_b32 s13, 0
	s_mov_b32 s31, exec_lo
                                        ; implicit-def: $sgpr17
	v_cmpx_lt_i16_e32 0x7f, v78
	s_xor_b32 s31, exec_lo, s31
	s_cbranch_execnz .LBB6_8252
; %bb.6936:                             ;   in Loop: Header=BB6_5734 Depth=3
	s_or_saveexec_b32 s31, s31
	v_mov_b32_e32 v79, s17
	s_xor_b32 exec_lo, exec_lo, s31
	s_cbranch_execnz .LBB6_8255
.LBB6_6937:                             ;   in Loop: Header=BB6_5734 Depth=3
	s_or_b32 exec_lo, exec_lo, s31
	s_and_saveexec_b32 s17, s13
	s_cbranch_execz .LBB6_6939
.LBB6_6938:                             ;   in Loop: Header=BB6_5734 Depth=3
	v_and_b32_e32 v78, 0xffff, v78
	v_lshlrev_b32_e32 v90, 16, v22
	s_delay_alu instid0(VALU_DEP_2) | instskip(NEXT) | instid1(VALU_DEP_1)
	v_and_b32_e32 v79, 7, v78
	v_clz_i32_u32_e32 v88, v79
	s_delay_alu instid0(VALU_DEP_1) | instskip(NEXT) | instid1(VALU_DEP_1)
	v_min_u32_e32 v88, 32, v88
	v_subrev_nc_u32_e32 v89, 28, v88
	v_sub_nc_u32_e32 v88, 29, v88
	s_delay_alu instid0(VALU_DEP_2) | instskip(SKIP_1) | instid1(VALU_DEP_2)
	v_lshlrev_b32_e32 v89, v89, v78
	v_bfe_u32 v78, v78, 3, 4
	v_and_b32_e32 v89, 7, v89
	s_delay_alu instid0(VALU_DEP_2) | instskip(NEXT) | instid1(VALU_DEP_2)
	v_cmp_eq_u32_e32 vcc_lo, 0, v78
	v_dual_cndmask_b32 v78, v78, v88 :: v_dual_cndmask_b32 v79, v79, v89
	v_and_b32_e32 v88, 0x80000000, v90
	s_delay_alu instid0(VALU_DEP_2) | instskip(NEXT) | instid1(VALU_DEP_3)
	v_lshl_add_u32 v78, v78, 23, 0x3b800000
	v_lshlrev_b32_e32 v79, 20, v79
	s_delay_alu instid0(VALU_DEP_1)
	v_or3_b32 v79, v88, v78, v79
.LBB6_6939:                             ;   in Loop: Header=BB6_5734 Depth=3
	s_or_b32 exec_lo, exec_lo, s17
	s_mov_b32 s13, 0
	s_mov_b32 s31, exec_lo
                                        ; implicit-def: $sgpr17
	v_cmpx_lt_i16_e32 0x7f, v77
	s_xor_b32 s31, exec_lo, s31
	s_cbranch_execnz .LBB6_8256
; %bb.6940:                             ;   in Loop: Header=BB6_5734 Depth=3
	s_or_saveexec_b32 s31, s31
	v_mov_b32_e32 v78, s17
	s_xor_b32 exec_lo, exec_lo, s31
	s_cbranch_execnz .LBB6_8259
.LBB6_6941:                             ;   in Loop: Header=BB6_5734 Depth=3
	s_or_b32 exec_lo, exec_lo, s31
	s_and_saveexec_b32 s17, s13
	s_cbranch_execz .LBB6_6943
.LBB6_6942:                             ;   in Loop: Header=BB6_5734 Depth=3
	v_and_b32_e32 v77, 0xffff, v77
	v_lshlrev_b32_e32 v90, 16, v18
	s_delay_alu instid0(VALU_DEP_2) | instskip(NEXT) | instid1(VALU_DEP_1)
	v_and_b32_e32 v78, 7, v77
	v_clz_i32_u32_e32 v88, v78
	s_delay_alu instid0(VALU_DEP_1) | instskip(NEXT) | instid1(VALU_DEP_1)
	v_min_u32_e32 v88, 32, v88
	v_subrev_nc_u32_e32 v89, 28, v88
	v_sub_nc_u32_e32 v88, 29, v88
	s_delay_alu instid0(VALU_DEP_2) | instskip(SKIP_1) | instid1(VALU_DEP_2)
	v_lshlrev_b32_e32 v89, v89, v77
	v_bfe_u32 v77, v77, 3, 4
	v_and_b32_e32 v89, 7, v89
	s_delay_alu instid0(VALU_DEP_2) | instskip(NEXT) | instid1(VALU_DEP_2)
	v_cmp_eq_u32_e32 vcc_lo, 0, v77
	v_dual_cndmask_b32 v77, v77, v88 :: v_dual_cndmask_b32 v78, v78, v89
	v_and_b32_e32 v88, 0x80000000, v90
	s_delay_alu instid0(VALU_DEP_2) | instskip(NEXT) | instid1(VALU_DEP_3)
	v_lshl_add_u32 v77, v77, 23, 0x3b800000
	v_lshlrev_b32_e32 v78, 20, v78
	s_delay_alu instid0(VALU_DEP_1)
	v_or3_b32 v78, v88, v77, v78
.LBB6_6943:                             ;   in Loop: Header=BB6_5734 Depth=3
	s_or_b32 exec_lo, exec_lo, s17
	s_delay_alu instid0(VALU_DEP_1) | instskip(NEXT) | instid1(VALU_DEP_1)
	v_dual_max_f32 v77, v78, v78 :: v_dual_max_f32 v78, v79, v79
	v_min_f32_e32 v79, v78, v77
.LBB6_6944:                             ;   in Loop: Header=BB6_5734 Depth=3
	s_delay_alu instid0(VALU_DEP_1) | instskip(NEXT) | instid1(VALU_DEP_1)
	v_and_b32_e32 v77, 0x7f800000, v79
	v_cmp_ne_u32_e32 vcc_lo, 0x7f800000, v77
	v_mov_b32_e32 v77, 0x80
	s_and_saveexec_b32 s17, vcc_lo
	s_cbranch_execz .LBB6_6952
; %bb.6945:                             ;   in Loop: Header=BB6_5734 Depth=3
	v_mov_b32_e32 v77, 0
	s_mov_b32 s31, exec_lo
	v_cmpx_ne_u32_e32 0, v79
	s_cbranch_execz .LBB6_6951
; %bb.6946:                             ;   in Loop: Header=BB6_5734 Depth=3
	v_bfe_u32 v77, v79, 23, 8
	v_and_b32_e32 v78, 0x7fffff, v79
	s_delay_alu instid0(VALU_DEP_2) | instskip(SKIP_1) | instid1(VALU_DEP_3)
	v_sub_nc_u32_e32 v88, 0x78, v77
	v_cmp_gt_u32_e32 vcc_lo, 0x79, v77
	v_or_b32_e32 v89, 0x800000, v78
	s_delay_alu instid0(VALU_DEP_3) | instskip(SKIP_2) | instid1(VALU_DEP_3)
	v_cndmask_b32_e32 v88, 0, v88, vcc_lo
	v_cmp_eq_u32_e32 vcc_lo, 0, v77
	v_add_nc_u32_e32 v77, 0xffffff89, v77
	v_cndmask_b32_e64 v88, v88, 0x77, vcc_lo
	v_cndmask_b32_e32 v78, v89, v78, vcc_lo
	s_delay_alu instid0(VALU_DEP_3) | instskip(NEXT) | instid1(VALU_DEP_3)
	v_cndmask_b32_e64 v77, v77, 0xffffff8a, vcc_lo
	v_lshl_add_u32 v89, 0x100000, v88, -1
	s_delay_alu instid0(VALU_DEP_3) | instskip(SKIP_1) | instid1(VALU_DEP_4)
	v_lshrrev_b32_e32 v90, v88, v78
	v_lshlrev_b32_e64 v92, v88, 0x80000
	v_add_nc_u32_e32 v88, v88, v77
	s_delay_alu instid0(VALU_DEP_4) | instskip(NEXT) | instid1(VALU_DEP_4)
	v_and_b32_e32 v78, v89, v78
	v_bfe_u32 v91, v90, 20, 1
	s_delay_alu instid0(VALU_DEP_2) | instskip(NEXT) | instid1(VALU_DEP_2)
	v_cmp_eq_u32_e64 s13, v78, v92
	v_add_nc_u32_e32 v89, -1, v91
	s_delay_alu instid0(VALU_DEP_1) | instskip(SKIP_2) | instid1(VALU_DEP_2)
	v_cndmask_b32_e64 v78, 0, v89, s13
	v_lshrrev_b32_e32 v89, 23, v90
	s_mov_b32 s13, exec_lo
	v_add_nc_u32_e32 v78, v78, v90
	s_delay_alu instid0(VALU_DEP_2) | instskip(NEXT) | instid1(VALU_DEP_2)
	v_xor_b32_e32 v89, 1, v89
	v_and_b32_e32 v77, 0xfffff, v78
	s_delay_alu instid0(VALU_DEP_1) | instskip(NEXT) | instid1(VALU_DEP_3)
	v_add_nc_u32_e32 v78, v77, v90
                                        ; implicit-def: $vgpr77
	v_cmpx_ne_u32_e64 v88, v89
	s_xor_b32 s13, exec_lo, s13
; %bb.6947:                             ;   in Loop: Header=BB6_5734 Depth=3
	s_delay_alu instid0(VALU_DEP_2) | instskip(SKIP_2) | instid1(VALU_DEP_2)
	v_cmp_lt_u32_e32 vcc_lo, 0xffffff, v78
	v_sub_nc_u32_e32 v77, v88, v89
	v_cndmask_b32_e64 v88, 0, 1, vcc_lo
	v_add_co_ci_u32_e32 v77, vcc_lo, 0, v77, vcc_lo
	s_delay_alu instid0(VALU_DEP_2)
	v_lshrrev_b32_e32 v78, v88, v78
; %bb.6948:                             ;   in Loop: Header=BB6_5734 Depth=3
	s_and_not1_saveexec_b32 s13, s13
; %bb.6949:                             ;   in Loop: Header=BB6_5734 Depth=3
	s_delay_alu instid0(VALU_DEP_1)
	v_bfe_u32 v77, v78, 23, 1
; %bb.6950:                             ;   in Loop: Header=BB6_5734 Depth=3
	s_or_b32 exec_lo, exec_lo, s13
	v_lshrrev_b32_e32 v78, 20, v78
	s_delay_alu instid0(VALU_DEP_2) | instskip(SKIP_2) | instid1(VALU_DEP_2)
	v_cmp_gt_i32_e32 vcc_lo, 16, v77
	v_lshrrev_b32_e32 v79, 24, v79
	v_min_i32_e32 v88, 15, v77
	v_dual_cndmask_b32 v78, 7, v78 :: v_dual_and_b32 v79, 0x80, v79
	s_delay_alu instid0(VALU_DEP_1) | instskip(SKIP_1) | instid1(VALU_DEP_2)
	v_or_b32_e32 v77, v77, v78
	v_and_b32_e32 v89, 7, v78
	v_cmp_ne_u32_e32 vcc_lo, 0, v77
	v_lshlrev_b32_e32 v88, 3, v88
	s_delay_alu instid0(VALU_DEP_1) | instskip(NEXT) | instid1(VALU_DEP_1)
	v_or3_b32 v78, v88, v79, v89
	v_cndmask_b32_e32 v77, 0, v78, vcc_lo
.LBB6_6951:                             ;   in Loop: Header=BB6_5734 Depth=3
	s_or_b32 exec_lo, exec_lo, s31
.LBB6_6952:                             ;   in Loop: Header=BB6_5734 Depth=3
	s_delay_alu instid0(SALU_CYCLE_1) | instskip(SKIP_3) | instid1(VALU_DEP_2)
	s_or_b32 exec_lo, exec_lo, s17
	v_lshrrev_b32_e32 v79, 16, v22
	v_lshrrev_b32_e32 v78, 16, v18
	s_and_not1_b32 vcc_lo, exec_lo, s16
	v_and_b32_e32 v88, 0xff, v79
	s_delay_alu instid0(VALU_DEP_1)
	v_cmp_lt_i16_e64 s13, 0x7f, v88
	s_cbranch_vccnz .LBB6_6962
; %bb.6953:                             ;   in Loop: Header=BB6_5734 Depth=3
	s_mov_b32 s17, 0
                                        ; implicit-def: $sgpr31
	s_delay_alu instid0(VALU_DEP_1) | instskip(NEXT) | instid1(SALU_CYCLE_1)
	s_and_saveexec_b32 vcc_lo, s13
	s_xor_b32 s13, exec_lo, vcc_lo
	s_cbranch_execnz .LBB6_8260
; %bb.6954:                             ;   in Loop: Header=BB6_5734 Depth=3
	s_or_saveexec_b32 s13, s13
	v_mov_b32_e32 v89, s31
	s_xor_b32 exec_lo, exec_lo, s13
	s_cbranch_execnz .LBB6_8263
.LBB6_6955:                             ;   in Loop: Header=BB6_5734 Depth=3
	s_or_b32 exec_lo, exec_lo, s13
	s_and_saveexec_b32 s13, s17
	s_cbranch_execz .LBB6_6957
.LBB6_6956:                             ;   in Loop: Header=BB6_5734 Depth=3
	v_bfe_u32 v89, v22, 16, 3
	v_bfe_u32 v92, v22, 19, 4
	v_lshlrev_b32_e32 v93, 24, v79
	s_delay_alu instid0(VALU_DEP_3) | instskip(NEXT) | instid1(VALU_DEP_3)
	v_clz_i32_u32_e32 v90, v89
	v_cmp_eq_u32_e32 vcc_lo, 0, v92
	s_delay_alu instid0(VALU_DEP_2) | instskip(NEXT) | instid1(VALU_DEP_1)
	v_min_u32_e32 v90, 32, v90
	v_subrev_nc_u32_e32 v91, 28, v90
	v_sub_nc_u32_e32 v90, 29, v90
	s_delay_alu instid0(VALU_DEP_1) | instskip(NEXT) | instid1(VALU_DEP_1)
	v_dual_cndmask_b32 v90, v92, v90 :: v_dual_lshlrev_b32 v91, v91, v79
	v_and_b32_e32 v91, 7, v91
	s_delay_alu instid0(VALU_DEP_2) | instskip(NEXT) | instid1(VALU_DEP_2)
	v_lshl_add_u32 v90, v90, 23, 0x3b800000
	v_cndmask_b32_e32 v89, v89, v91, vcc_lo
	v_and_b32_e32 v91, 0x80000000, v93
	s_delay_alu instid0(VALU_DEP_2) | instskip(NEXT) | instid1(VALU_DEP_1)
	v_lshlrev_b32_e32 v89, 20, v89
	v_or3_b32 v89, v91, v90, v89
.LBB6_6957:                             ;   in Loop: Header=BB6_5734 Depth=3
	s_or_b32 exec_lo, exec_lo, s13
	v_and_b32_e32 v91, 0xff, v78
	s_mov_b32 s13, 0
	s_mov_b32 s31, exec_lo
                                        ; implicit-def: $sgpr17
	s_delay_alu instid0(VALU_DEP_1)
	v_cmpx_lt_i16_e32 0x7f, v91
	s_xor_b32 s31, exec_lo, s31
	s_cbranch_execnz .LBB6_8264
; %bb.6958:                             ;   in Loop: Header=BB6_5734 Depth=3
	s_or_saveexec_b32 s31, s31
	v_mov_b32_e32 v90, s17
	s_xor_b32 exec_lo, exec_lo, s31
	s_cbranch_execnz .LBB6_8267
.LBB6_6959:                             ;   in Loop: Header=BB6_5734 Depth=3
	s_or_b32 exec_lo, exec_lo, s31
	s_and_saveexec_b32 s17, s13
	s_cbranch_execz .LBB6_6961
.LBB6_6960:                             ;   in Loop: Header=BB6_5734 Depth=3
	v_bfe_u32 v90, v18, 16, 3
	v_bfe_u32 v93, v18, 19, 4
	v_lshlrev_b32_e32 v94, 24, v78
	s_delay_alu instid0(VALU_DEP_3) | instskip(NEXT) | instid1(VALU_DEP_3)
	v_clz_i32_u32_e32 v91, v90
	v_cmp_eq_u32_e32 vcc_lo, 0, v93
	s_delay_alu instid0(VALU_DEP_2) | instskip(NEXT) | instid1(VALU_DEP_1)
	v_min_u32_e32 v91, 32, v91
	v_subrev_nc_u32_e32 v92, 28, v91
	v_sub_nc_u32_e32 v91, 29, v91
	s_delay_alu instid0(VALU_DEP_1) | instskip(NEXT) | instid1(VALU_DEP_1)
	v_dual_cndmask_b32 v91, v93, v91 :: v_dual_lshlrev_b32 v92, v92, v78
	v_and_b32_e32 v92, 7, v92
	s_delay_alu instid0(VALU_DEP_2) | instskip(NEXT) | instid1(VALU_DEP_2)
	v_lshl_add_u32 v91, v91, 23, 0x3b800000
	v_cndmask_b32_e32 v90, v90, v92, vcc_lo
	v_and_b32_e32 v92, 0x80000000, v94
	s_delay_alu instid0(VALU_DEP_2) | instskip(NEXT) | instid1(VALU_DEP_1)
	v_lshlrev_b32_e32 v90, 20, v90
	v_or3_b32 v90, v92, v91, v90
.LBB6_6961:                             ;   in Loop: Header=BB6_5734 Depth=3
	s_or_b32 exec_lo, exec_lo, s17
	s_delay_alu instid0(VALU_DEP_1) | instskip(SKIP_1) | instid1(VALU_DEP_1)
	v_dual_max_f32 v90, v90, v90 :: v_dual_max_f32 v89, v89, v89
	s_mov_b32 s13, 0
	v_max_f32_e32 v89, v89, v90
	s_branch .LBB6_6963
.LBB6_6962:                             ;   in Loop: Header=BB6_5734 Depth=3
	s_mov_b32 s13, -1
                                        ; implicit-def: $vgpr89
.LBB6_6963:                             ;   in Loop: Header=BB6_5734 Depth=3
	s_delay_alu instid0(SALU_CYCLE_1)
	s_and_b32 vcc_lo, exec_lo, s13
	s_cbranch_vccz .LBB6_6973
; %bb.6964:                             ;   in Loop: Header=BB6_5734 Depth=3
	s_mov_b32 s13, 0
	s_mov_b32 s31, exec_lo
                                        ; implicit-def: $sgpr17
	v_cmpx_lt_i16_e32 0x7f, v88
	s_xor_b32 s31, exec_lo, s31
	s_cbranch_execnz .LBB6_8268
; %bb.6965:                             ;   in Loop: Header=BB6_5734 Depth=3
	s_or_saveexec_b32 s31, s31
	v_mov_b32_e32 v89, s17
	s_xor_b32 exec_lo, exec_lo, s31
	s_cbranch_execnz .LBB6_8271
.LBB6_6966:                             ;   in Loop: Header=BB6_5734 Depth=3
	s_or_b32 exec_lo, exec_lo, s31
	s_and_saveexec_b32 s17, s13
	s_cbranch_execz .LBB6_6968
.LBB6_6967:                             ;   in Loop: Header=BB6_5734 Depth=3
	v_bfe_u32 v88, v22, 16, 3
	v_bfe_u32 v91, v22, 19, 4
	s_delay_alu instid0(VALU_DEP_2) | instskip(NEXT) | instid1(VALU_DEP_2)
	v_clz_i32_u32_e32 v89, v88
	v_cmp_eq_u32_e32 vcc_lo, 0, v91
	s_delay_alu instid0(VALU_DEP_2) | instskip(NEXT) | instid1(VALU_DEP_1)
	v_min_u32_e32 v89, 32, v89
	v_subrev_nc_u32_e32 v90, 28, v89
	v_sub_nc_u32_e32 v89, 29, v89
	s_delay_alu instid0(VALU_DEP_1) | instskip(NEXT) | instid1(VALU_DEP_1)
	v_dual_cndmask_b32 v89, v91, v89 :: v_dual_lshlrev_b32 v90, v90, v79
	v_and_b32_e32 v90, 7, v90
	v_lshlrev_b32_e32 v79, 24, v79
	s_delay_alu instid0(VALU_DEP_3) | instskip(NEXT) | instid1(VALU_DEP_2)
	v_lshl_add_u32 v89, v89, 23, 0x3b800000
	v_dual_cndmask_b32 v88, v88, v90 :: v_dual_and_b32 v79, 0x80000000, v79
	s_delay_alu instid0(VALU_DEP_1) | instskip(NEXT) | instid1(VALU_DEP_1)
	v_lshlrev_b32_e32 v88, 20, v88
	v_or3_b32 v89, v79, v89, v88
.LBB6_6968:                             ;   in Loop: Header=BB6_5734 Depth=3
	s_or_b32 exec_lo, exec_lo, s17
	v_and_b32_e32 v88, 0xff, v78
	s_mov_b32 s13, 0
	s_mov_b32 s31, exec_lo
                                        ; implicit-def: $sgpr17
	s_delay_alu instid0(VALU_DEP_1)
	v_cmpx_lt_i16_e32 0x7f, v88
	s_xor_b32 s31, exec_lo, s31
	s_cbranch_execnz .LBB6_8272
; %bb.6969:                             ;   in Loop: Header=BB6_5734 Depth=3
	s_or_saveexec_b32 s31, s31
	v_mov_b32_e32 v79, s17
	s_xor_b32 exec_lo, exec_lo, s31
	s_cbranch_execnz .LBB6_8275
.LBB6_6970:                             ;   in Loop: Header=BB6_5734 Depth=3
	s_or_b32 exec_lo, exec_lo, s31
	s_and_saveexec_b32 s17, s13
	s_cbranch_execz .LBB6_6972
.LBB6_6971:                             ;   in Loop: Header=BB6_5734 Depth=3
	v_bfe_u32 v79, v18, 16, 3
	v_bfe_u32 v91, v18, 19, 4
	s_delay_alu instid0(VALU_DEP_2) | instskip(NEXT) | instid1(VALU_DEP_2)
	v_clz_i32_u32_e32 v88, v79
	v_cmp_eq_u32_e32 vcc_lo, 0, v91
	s_delay_alu instid0(VALU_DEP_2) | instskip(NEXT) | instid1(VALU_DEP_1)
	v_min_u32_e32 v88, 32, v88
	v_subrev_nc_u32_e32 v90, 28, v88
	v_sub_nc_u32_e32 v88, 29, v88
	s_delay_alu instid0(VALU_DEP_2) | instskip(SKIP_1) | instid1(VALU_DEP_2)
	v_lshlrev_b32_e32 v90, v90, v78
	v_lshlrev_b32_e32 v78, 24, v78
	v_and_b32_e32 v90, 7, v90
	s_delay_alu instid0(VALU_DEP_2) | instskip(NEXT) | instid1(VALU_DEP_2)
	v_and_b32_e32 v78, 0x80000000, v78
	v_cndmask_b32_e32 v79, v79, v90, vcc_lo
	s_delay_alu instid0(VALU_DEP_1) | instskip(NEXT) | instid1(VALU_DEP_1)
	v_dual_cndmask_b32 v88, v91, v88 :: v_dual_lshlrev_b32 v79, 20, v79
	v_lshl_add_u32 v88, v88, 23, 0x3b800000
	s_delay_alu instid0(VALU_DEP_1)
	v_or3_b32 v79, v78, v88, v79
.LBB6_6972:                             ;   in Loop: Header=BB6_5734 Depth=3
	s_or_b32 exec_lo, exec_lo, s17
	s_delay_alu instid0(VALU_DEP_1) | instskip(NEXT) | instid1(VALU_DEP_1)
	v_dual_max_f32 v78, v79, v79 :: v_dual_max_f32 v79, v89, v89
	v_min_f32_e32 v89, v79, v78
.LBB6_6973:                             ;   in Loop: Header=BB6_5734 Depth=3
	s_delay_alu instid0(VALU_DEP_1) | instskip(NEXT) | instid1(VALU_DEP_1)
	v_and_b32_e32 v78, 0x7f800000, v89
	v_cmp_ne_u32_e32 vcc_lo, 0x7f800000, v78
	v_mov_b32_e32 v78, 0x80
	s_and_saveexec_b32 s17, vcc_lo
	s_cbranch_execz .LBB6_6981
; %bb.6974:                             ;   in Loop: Header=BB6_5734 Depth=3
	v_mov_b32_e32 v78, 0
	s_mov_b32 s31, exec_lo
	v_cmpx_ne_u32_e32 0, v89
	s_cbranch_execz .LBB6_6980
; %bb.6975:                             ;   in Loop: Header=BB6_5734 Depth=3
	v_bfe_u32 v78, v89, 23, 8
	s_delay_alu instid0(VALU_DEP_1) | instskip(SKIP_1) | instid1(VALU_DEP_2)
	v_sub_nc_u32_e32 v88, 0x78, v78
	v_cmp_gt_u32_e32 vcc_lo, 0x79, v78
	v_dual_cndmask_b32 v88, 0, v88 :: v_dual_and_b32 v79, 0x7fffff, v89
	s_delay_alu instid0(VALU_DEP_1) | instskip(SKIP_2) | instid1(VALU_DEP_4)
	v_or_b32_e32 v90, 0x800000, v79
	v_cmp_eq_u32_e32 vcc_lo, 0, v78
	v_add_nc_u32_e32 v78, 0xffffff89, v78
	v_cndmask_b32_e64 v88, v88, 0x77, vcc_lo
	s_delay_alu instid0(VALU_DEP_4) | instskip(NEXT) | instid1(VALU_DEP_3)
	v_cndmask_b32_e32 v79, v90, v79, vcc_lo
	v_cndmask_b32_e64 v78, v78, 0xffffff8a, vcc_lo
	s_delay_alu instid0(VALU_DEP_3) | instskip(NEXT) | instid1(VALU_DEP_3)
	v_lshl_add_u32 v90, 0x100000, v88, -1
	v_lshrrev_b32_e32 v91, v88, v79
	v_lshlrev_b32_e64 v93, v88, 0x80000
	s_delay_alu instid0(VALU_DEP_4) | instskip(NEXT) | instid1(VALU_DEP_4)
	v_add_nc_u32_e32 v88, v88, v78
	v_and_b32_e32 v79, v90, v79
	s_delay_alu instid0(VALU_DEP_4) | instskip(NEXT) | instid1(VALU_DEP_2)
	v_bfe_u32 v92, v91, 20, 1
	v_cmp_eq_u32_e64 s13, v79, v93
	s_delay_alu instid0(VALU_DEP_2) | instskip(NEXT) | instid1(VALU_DEP_1)
	v_add_nc_u32_e32 v90, -1, v92
	v_cndmask_b32_e64 v79, 0, v90, s13
	v_lshrrev_b32_e32 v90, 23, v91
	s_mov_b32 s13, exec_lo
	s_delay_alu instid0(VALU_DEP_2) | instskip(NEXT) | instid1(VALU_DEP_2)
	v_add_nc_u32_e32 v79, v79, v91
	v_xor_b32_e32 v90, 1, v90
	s_delay_alu instid0(VALU_DEP_2) | instskip(NEXT) | instid1(VALU_DEP_1)
	v_and_b32_e32 v78, 0xfffff, v79
	v_add_nc_u32_e32 v79, v78, v91
                                        ; implicit-def: $vgpr78
	s_delay_alu instid0(VALU_DEP_3)
	v_cmpx_ne_u32_e64 v88, v90
	s_xor_b32 s13, exec_lo, s13
; %bb.6976:                             ;   in Loop: Header=BB6_5734 Depth=3
	s_delay_alu instid0(VALU_DEP_2) | instskip(SKIP_2) | instid1(VALU_DEP_2)
	v_cmp_lt_u32_e32 vcc_lo, 0xffffff, v79
	v_sub_nc_u32_e32 v78, v88, v90
	v_cndmask_b32_e64 v88, 0, 1, vcc_lo
	v_add_co_ci_u32_e32 v78, vcc_lo, 0, v78, vcc_lo
	s_delay_alu instid0(VALU_DEP_2)
	v_lshrrev_b32_e32 v79, v88, v79
; %bb.6977:                             ;   in Loop: Header=BB6_5734 Depth=3
	s_and_not1_saveexec_b32 s13, s13
; %bb.6978:                             ;   in Loop: Header=BB6_5734 Depth=3
	s_delay_alu instid0(VALU_DEP_1)
	v_bfe_u32 v78, v79, 23, 1
; %bb.6979:                             ;   in Loop: Header=BB6_5734 Depth=3
	s_or_b32 exec_lo, exec_lo, s13
	v_lshrrev_b32_e32 v79, 20, v79
	s_delay_alu instid0(VALU_DEP_2) | instskip(SKIP_2) | instid1(VALU_DEP_2)
	v_cmp_gt_i32_e32 vcc_lo, 16, v78
	v_lshrrev_b32_e32 v88, 24, v89
	v_min_i32_e32 v89, 15, v78
	v_dual_cndmask_b32 v79, 7, v79 :: v_dual_and_b32 v88, 0x80, v88
	s_delay_alu instid0(VALU_DEP_1) | instskip(SKIP_1) | instid1(VALU_DEP_2)
	v_or_b32_e32 v78, v78, v79
	v_and_b32_e32 v90, 7, v79
	v_cmp_ne_u32_e32 vcc_lo, 0, v78
	v_lshlrev_b32_e32 v89, 3, v89
	s_delay_alu instid0(VALU_DEP_1) | instskip(NEXT) | instid1(VALU_DEP_1)
	v_or3_b32 v79, v89, v88, v90
	v_cndmask_b32_e32 v78, 0, v79, vcc_lo
.LBB6_6980:                             ;   in Loop: Header=BB6_5734 Depth=3
	s_or_b32 exec_lo, exec_lo, s31
.LBB6_6981:                             ;   in Loop: Header=BB6_5734 Depth=3
	s_delay_alu instid0(SALU_CYCLE_1) | instskip(SKIP_3) | instid1(VALU_DEP_2)
	s_or_b32 exec_lo, exec_lo, s17
	v_lshrrev_b32_e32 v88, 24, v22
	v_lshrrev_b32_e32 v79, 24, v18
	s_and_not1_b32 vcc_lo, exec_lo, s16
	v_cmp_lt_i16_e64 s13, 0x7f, v88
	s_cbranch_vccnz .LBB6_6991
; %bb.6982:                             ;   in Loop: Header=BB6_5734 Depth=3
	s_mov_b32 s17, 0
                                        ; implicit-def: $sgpr31
	s_delay_alu instid0(VALU_DEP_1) | instskip(NEXT) | instid1(SALU_CYCLE_1)
	s_and_saveexec_b32 vcc_lo, s13
	s_xor_b32 s13, exec_lo, vcc_lo
	s_cbranch_execnz .LBB6_8276
; %bb.6983:                             ;   in Loop: Header=BB6_5734 Depth=3
	s_or_saveexec_b32 s13, s13
	v_mov_b32_e32 v89, s31
	s_xor_b32 exec_lo, exec_lo, s13
	s_cbranch_execnz .LBB6_8279
.LBB6_6984:                             ;   in Loop: Header=BB6_5734 Depth=3
	s_or_b32 exec_lo, exec_lo, s13
	s_and_saveexec_b32 s13, s17
	s_cbranch_execz .LBB6_6986
.LBB6_6985:                             ;   in Loop: Header=BB6_5734 Depth=3
	v_bfe_u32 v89, v22, 24, 3
	v_bfe_u32 v92, v22, 27, 4
	s_delay_alu instid0(VALU_DEP_2) | instskip(NEXT) | instid1(VALU_DEP_2)
	v_clz_i32_u32_e32 v90, v89
	v_cmp_eq_u32_e32 vcc_lo, 0, v92
	s_delay_alu instid0(VALU_DEP_2) | instskip(NEXT) | instid1(VALU_DEP_1)
	v_min_u32_e32 v90, 32, v90
	v_subrev_nc_u32_e32 v91, 28, v90
	v_sub_nc_u32_e32 v90, 29, v90
	s_delay_alu instid0(VALU_DEP_1) | instskip(NEXT) | instid1(VALU_DEP_1)
	v_dual_cndmask_b32 v90, v92, v90 :: v_dual_lshlrev_b32 v91, v91, v88
	v_and_b32_e32 v91, 7, v91
	s_delay_alu instid0(VALU_DEP_2) | instskip(NEXT) | instid1(VALU_DEP_2)
	v_lshl_add_u32 v90, v90, 23, 0x3b800000
	v_cndmask_b32_e32 v89, v89, v91, vcc_lo
	v_and_b32_e32 v91, 0x80000000, v22
	s_delay_alu instid0(VALU_DEP_2) | instskip(NEXT) | instid1(VALU_DEP_1)
	v_lshlrev_b32_e32 v89, 20, v89
	v_or3_b32 v89, v91, v90, v89
.LBB6_6986:                             ;   in Loop: Header=BB6_5734 Depth=3
	s_or_b32 exec_lo, exec_lo, s13
	s_mov_b32 s13, 0
	s_mov_b32 s31, exec_lo
                                        ; implicit-def: $sgpr17
	v_cmpx_lt_i16_e32 0x7f, v79
	s_xor_b32 s31, exec_lo, s31
	s_cbranch_execnz .LBB6_8280
; %bb.6987:                             ;   in Loop: Header=BB6_5734 Depth=3
	s_or_saveexec_b32 s31, s31
	v_mov_b32_e32 v90, s17
	s_xor_b32 exec_lo, exec_lo, s31
	s_cbranch_execnz .LBB6_8283
.LBB6_6988:                             ;   in Loop: Header=BB6_5734 Depth=3
	s_or_b32 exec_lo, exec_lo, s31
	s_and_saveexec_b32 s17, s13
	s_cbranch_execz .LBB6_6990
.LBB6_6989:                             ;   in Loop: Header=BB6_5734 Depth=3
	v_bfe_u32 v90, v18, 24, 3
	v_bfe_u32 v93, v18, 27, 4
	s_delay_alu instid0(VALU_DEP_2) | instskip(NEXT) | instid1(VALU_DEP_2)
	v_clz_i32_u32_e32 v91, v90
	v_cmp_eq_u32_e32 vcc_lo, 0, v93
	s_delay_alu instid0(VALU_DEP_2) | instskip(NEXT) | instid1(VALU_DEP_1)
	v_min_u32_e32 v91, 32, v91
	v_subrev_nc_u32_e32 v92, 28, v91
	v_sub_nc_u32_e32 v91, 29, v91
	s_delay_alu instid0(VALU_DEP_2) | instskip(NEXT) | instid1(VALU_DEP_1)
	v_lshlrev_b32_e32 v92, v92, v79
	v_dual_cndmask_b32 v91, v93, v91 :: v_dual_and_b32 v92, 7, v92
	s_delay_alu instid0(VALU_DEP_1) | instskip(NEXT) | instid1(VALU_DEP_2)
	v_lshl_add_u32 v91, v91, 23, 0x3b800000
	v_cndmask_b32_e32 v90, v90, v92, vcc_lo
	v_and_b32_e32 v92, 0x80000000, v18
	s_delay_alu instid0(VALU_DEP_2) | instskip(NEXT) | instid1(VALU_DEP_1)
	v_lshlrev_b32_e32 v90, 20, v90
	v_or3_b32 v90, v92, v91, v90
.LBB6_6990:                             ;   in Loop: Header=BB6_5734 Depth=3
	s_or_b32 exec_lo, exec_lo, s17
	s_delay_alu instid0(VALU_DEP_1) | instskip(SKIP_1) | instid1(VALU_DEP_1)
	v_dual_max_f32 v90, v90, v90 :: v_dual_max_f32 v89, v89, v89
	s_mov_b32 s13, 0
	v_max_f32_e32 v89, v89, v90
	s_branch .LBB6_6992
.LBB6_6991:                             ;   in Loop: Header=BB6_5734 Depth=3
	s_mov_b32 s13, -1
                                        ; implicit-def: $vgpr89
.LBB6_6992:                             ;   in Loop: Header=BB6_5734 Depth=3
	s_delay_alu instid0(SALU_CYCLE_1)
	s_and_b32 vcc_lo, exec_lo, s13
	s_cbranch_vccz .LBB6_7002
; %bb.6993:                             ;   in Loop: Header=BB6_5734 Depth=3
	s_mov_b32 s13, 0
	s_mov_b32 s31, exec_lo
                                        ; implicit-def: $sgpr17
	v_cmpx_lt_i16_e32 0x7f, v88
	s_xor_b32 s31, exec_lo, s31
	s_cbranch_execnz .LBB6_8284
; %bb.6994:                             ;   in Loop: Header=BB6_5734 Depth=3
	s_or_saveexec_b32 s31, s31
	v_mov_b32_e32 v89, s17
	s_xor_b32 exec_lo, exec_lo, s31
	s_cbranch_execnz .LBB6_8287
.LBB6_6995:                             ;   in Loop: Header=BB6_5734 Depth=3
	s_or_b32 exec_lo, exec_lo, s31
	s_and_saveexec_b32 s17, s13
	s_cbranch_execz .LBB6_6997
.LBB6_6996:                             ;   in Loop: Header=BB6_5734 Depth=3
	v_bfe_u32 v89, v22, 24, 3
	s_delay_alu instid0(VALU_DEP_1) | instskip(NEXT) | instid1(VALU_DEP_1)
	v_clz_i32_u32_e32 v90, v89
	v_min_u32_e32 v90, 32, v90
	s_delay_alu instid0(VALU_DEP_1) | instskip(SKIP_1) | instid1(VALU_DEP_2)
	v_subrev_nc_u32_e32 v91, 28, v90
	v_sub_nc_u32_e32 v90, 29, v90
	v_lshlrev_b32_e32 v88, v91, v88
	v_bfe_u32 v91, v22, 27, 4
	v_and_b32_e32 v22, 0x80000000, v22
	s_delay_alu instid0(VALU_DEP_3) | instskip(NEXT) | instid1(VALU_DEP_3)
	v_and_b32_e32 v88, 7, v88
	v_cmp_eq_u32_e32 vcc_lo, 0, v91
	v_cndmask_b32_e32 v90, v91, v90, vcc_lo
	s_delay_alu instid0(VALU_DEP_3) | instskip(NEXT) | instid1(VALU_DEP_2)
	v_cndmask_b32_e32 v88, v89, v88, vcc_lo
	v_lshl_add_u32 v89, v90, 23, 0x3b800000
	s_delay_alu instid0(VALU_DEP_2) | instskip(NEXT) | instid1(VALU_DEP_1)
	v_lshlrev_b32_e32 v88, 20, v88
	v_or3_b32 v89, v22, v89, v88
.LBB6_6997:                             ;   in Loop: Header=BB6_5734 Depth=3
	s_or_b32 exec_lo, exec_lo, s17
	s_mov_b32 s13, 0
	s_mov_b32 s31, exec_lo
                                        ; implicit-def: $sgpr17
	v_cmpx_lt_i16_e32 0x7f, v79
	s_xor_b32 s31, exec_lo, s31
	s_cbranch_execnz .LBB6_8288
; %bb.6998:                             ;   in Loop: Header=BB6_5734 Depth=3
	s_or_saveexec_b32 s31, s31
	v_mov_b32_e32 v22, s17
	s_xor_b32 exec_lo, exec_lo, s31
	s_cbranch_execnz .LBB6_8291
.LBB6_6999:                             ;   in Loop: Header=BB6_5734 Depth=3
	s_or_b32 exec_lo, exec_lo, s31
	s_and_saveexec_b32 s17, s13
	s_cbranch_execz .LBB6_7001
.LBB6_7000:                             ;   in Loop: Header=BB6_5734 Depth=3
	v_bfe_u32 v22, v18, 24, 3
	s_delay_alu instid0(VALU_DEP_1) | instskip(NEXT) | instid1(VALU_DEP_1)
	v_clz_i32_u32_e32 v88, v22
	v_min_u32_e32 v88, 32, v88
	s_delay_alu instid0(VALU_DEP_1) | instskip(SKIP_1) | instid1(VALU_DEP_2)
	v_subrev_nc_u32_e32 v90, 28, v88
	v_sub_nc_u32_e32 v88, 29, v88
	v_lshlrev_b32_e32 v79, v90, v79
	v_bfe_u32 v90, v18, 27, 4
	v_and_b32_e32 v18, 0x80000000, v18
	s_delay_alu instid0(VALU_DEP_2) | instskip(NEXT) | instid1(VALU_DEP_4)
	v_cmp_eq_u32_e32 vcc_lo, 0, v90
	v_dual_cndmask_b32 v88, v90, v88 :: v_dual_and_b32 v79, 7, v79
	s_delay_alu instid0(VALU_DEP_1) | instskip(NEXT) | instid1(VALU_DEP_2)
	v_cndmask_b32_e32 v22, v22, v79, vcc_lo
	v_lshl_add_u32 v79, v88, 23, 0x3b800000
	s_delay_alu instid0(VALU_DEP_2) | instskip(NEXT) | instid1(VALU_DEP_1)
	v_lshlrev_b32_e32 v22, 20, v22
	v_or3_b32 v22, v18, v79, v22
.LBB6_7001:                             ;   in Loop: Header=BB6_5734 Depth=3
	s_or_b32 exec_lo, exec_lo, s17
	s_delay_alu instid0(VALU_DEP_1) | instskip(SKIP_1) | instid1(VALU_DEP_1)
	v_max_f32_e32 v18, v22, v22
	v_max_f32_e32 v22, v89, v89
	v_min_f32_e32 v89, v22, v18
.LBB6_7002:                             ;   in Loop: Header=BB6_5734 Depth=3
	s_delay_alu instid0(VALU_DEP_1) | instskip(NEXT) | instid1(VALU_DEP_1)
	v_and_b32_e32 v18, 0x7f800000, v89
	v_cmp_ne_u32_e32 vcc_lo, 0x7f800000, v18
	v_mov_b32_e32 v18, 0x80
	s_and_saveexec_b32 s17, vcc_lo
	s_cbranch_execz .LBB6_7010
; %bb.7003:                             ;   in Loop: Header=BB6_5734 Depth=3
	v_mov_b32_e32 v18, 0
	s_mov_b32 s31, exec_lo
	v_cmpx_ne_u32_e32 0, v89
	s_cbranch_execz .LBB6_7009
; %bb.7004:                             ;   in Loop: Header=BB6_5734 Depth=3
	v_bfe_u32 v18, v89, 23, 8
	s_delay_alu instid0(VALU_DEP_1) | instskip(SKIP_1) | instid1(VALU_DEP_2)
	v_sub_nc_u32_e32 v79, 0x78, v18
	v_cmp_gt_u32_e32 vcc_lo, 0x79, v18
	v_dual_cndmask_b32 v79, 0, v79 :: v_dual_and_b32 v22, 0x7fffff, v89
	s_delay_alu instid0(VALU_DEP_1) | instskip(SKIP_2) | instid1(VALU_DEP_4)
	v_or_b32_e32 v88, 0x800000, v22
	v_cmp_eq_u32_e32 vcc_lo, 0, v18
	v_add_nc_u32_e32 v18, 0xffffff89, v18
	v_cndmask_b32_e64 v79, v79, 0x77, vcc_lo
	s_delay_alu instid0(VALU_DEP_4) | instskip(NEXT) | instid1(VALU_DEP_3)
	v_cndmask_b32_e32 v22, v88, v22, vcc_lo
	v_cndmask_b32_e64 v18, v18, 0xffffff8a, vcc_lo
	s_delay_alu instid0(VALU_DEP_3) | instskip(NEXT) | instid1(VALU_DEP_3)
	v_lshl_add_u32 v88, 0x100000, v79, -1
	v_lshrrev_b32_e32 v90, v79, v22
	v_lshlrev_b32_e64 v92, v79, 0x80000
	s_delay_alu instid0(VALU_DEP_4) | instskip(NEXT) | instid1(VALU_DEP_4)
	v_add_nc_u32_e32 v79, v79, v18
	v_and_b32_e32 v22, v88, v22
	s_delay_alu instid0(VALU_DEP_4) | instskip(NEXT) | instid1(VALU_DEP_2)
	v_bfe_u32 v91, v90, 20, 1
	v_cmp_eq_u32_e64 s13, v22, v92
	s_delay_alu instid0(VALU_DEP_2) | instskip(NEXT) | instid1(VALU_DEP_1)
	v_add_nc_u32_e32 v88, -1, v91
	v_cndmask_b32_e64 v22, 0, v88, s13
	v_lshrrev_b32_e32 v88, 23, v90
	s_mov_b32 s13, exec_lo
	s_delay_alu instid0(VALU_DEP_2) | instskip(NEXT) | instid1(VALU_DEP_2)
	v_add_nc_u32_e32 v22, v22, v90
	v_xor_b32_e32 v88, 1, v88
	s_delay_alu instid0(VALU_DEP_2) | instskip(NEXT) | instid1(VALU_DEP_1)
	v_and_b32_e32 v18, 0xfffff, v22
	v_add_nc_u32_e32 v22, v18, v90
                                        ; implicit-def: $vgpr18
	s_delay_alu instid0(VALU_DEP_3)
	v_cmpx_ne_u32_e64 v79, v88
	s_xor_b32 s13, exec_lo, s13
; %bb.7005:                             ;   in Loop: Header=BB6_5734 Depth=3
	s_delay_alu instid0(VALU_DEP_2) | instskip(SKIP_2) | instid1(VALU_DEP_2)
	v_cmp_lt_u32_e32 vcc_lo, 0xffffff, v22
	v_sub_nc_u32_e32 v18, v79, v88
	v_cndmask_b32_e64 v79, 0, 1, vcc_lo
	v_add_co_ci_u32_e32 v18, vcc_lo, 0, v18, vcc_lo
	s_delay_alu instid0(VALU_DEP_2)
	v_lshrrev_b32_e32 v22, v79, v22
; %bb.7006:                             ;   in Loop: Header=BB6_5734 Depth=3
	s_and_not1_saveexec_b32 s13, s13
; %bb.7007:                             ;   in Loop: Header=BB6_5734 Depth=3
	s_delay_alu instid0(VALU_DEP_1)
	v_bfe_u32 v18, v22, 23, 1
; %bb.7008:                             ;   in Loop: Header=BB6_5734 Depth=3
	s_or_b32 exec_lo, exec_lo, s13
	v_lshrrev_b32_e32 v22, 20, v22
	s_delay_alu instid0(VALU_DEP_2) | instskip(SKIP_2) | instid1(VALU_DEP_2)
	v_cmp_gt_i32_e32 vcc_lo, 16, v18
	v_lshrrev_b32_e32 v79, 24, v89
	v_min_i32_e32 v88, 15, v18
	v_dual_cndmask_b32 v22, 7, v22 :: v_dual_and_b32 v79, 0x80, v79
	s_delay_alu instid0(VALU_DEP_2) | instskip(NEXT) | instid1(VALU_DEP_2)
	v_lshlrev_b32_e32 v88, 3, v88
	v_and_b32_e32 v89, 7, v22
	v_or_b32_e32 v18, v18, v22
	s_delay_alu instid0(VALU_DEP_2) | instskip(NEXT) | instid1(VALU_DEP_2)
	v_or3_b32 v22, v88, v79, v89
	v_cmp_ne_u32_e32 vcc_lo, 0, v18
	s_delay_alu instid0(VALU_DEP_2)
	v_cndmask_b32_e32 v18, 0, v22, vcc_lo
.LBB6_7009:                             ;   in Loop: Header=BB6_5734 Depth=3
	s_or_b32 exec_lo, exec_lo, s31
.LBB6_7010:                             ;   in Loop: Header=BB6_5734 Depth=3
	s_delay_alu instid0(SALU_CYCLE_1) | instskip(SKIP_2) | instid1(VALU_DEP_1)
	s_or_b32 exec_lo, exec_lo, s17
	v_and_b32_e32 v22, 0xff, v23
	s_and_not1_b32 vcc_lo, exec_lo, s16
	v_cmp_lt_i16_e64 s13, 0x7f, v22
	s_cbranch_vccnz .LBB6_7020
; %bb.7011:                             ;   in Loop: Header=BB6_5734 Depth=3
	s_mov_b32 s17, 0
                                        ; implicit-def: $sgpr31
	s_delay_alu instid0(VALU_DEP_1) | instskip(NEXT) | instid1(SALU_CYCLE_1)
	s_and_saveexec_b32 vcc_lo, s13
	s_xor_b32 s13, exec_lo, vcc_lo
	s_cbranch_execnz .LBB6_8292
; %bb.7012:                             ;   in Loop: Header=BB6_5734 Depth=3
	s_or_saveexec_b32 s13, s13
	v_mov_b32_e32 v79, s31
	s_xor_b32 exec_lo, exec_lo, s13
	s_cbranch_execnz .LBB6_8295
.LBB6_7013:                             ;   in Loop: Header=BB6_5734 Depth=3
	s_or_b32 exec_lo, exec_lo, s13
	s_and_saveexec_b32 s13, s17
	s_cbranch_execz .LBB6_7015
.LBB6_7014:                             ;   in Loop: Header=BB6_5734 Depth=3
	v_bfe_u32 v90, v23, 3, 4
	v_lshlrev_b32_e32 v91, 24, v23
	s_delay_alu instid0(VALU_DEP_2) | instskip(SKIP_1) | instid1(VALU_DEP_1)
	v_cmp_eq_u32_e32 vcc_lo, 0, v90
	v_and_b32_e32 v79, 7, v23
	v_clz_i32_u32_e32 v88, v79
	s_delay_alu instid0(VALU_DEP_1) | instskip(NEXT) | instid1(VALU_DEP_1)
	v_min_u32_e32 v88, 32, v88
	v_subrev_nc_u32_e32 v89, 28, v88
	v_sub_nc_u32_e32 v88, 29, v88
	s_delay_alu instid0(VALU_DEP_1) | instskip(NEXT) | instid1(VALU_DEP_1)
	v_dual_cndmask_b32 v88, v90, v88 :: v_dual_lshlrev_b32 v89, v89, v23
	v_and_b32_e32 v89, 7, v89
	s_delay_alu instid0(VALU_DEP_2) | instskip(NEXT) | instid1(VALU_DEP_2)
	v_lshl_add_u32 v88, v88, 23, 0x3b800000
	v_cndmask_b32_e32 v79, v79, v89, vcc_lo
	v_and_b32_e32 v89, 0x80000000, v91
	s_delay_alu instid0(VALU_DEP_2) | instskip(NEXT) | instid1(VALU_DEP_1)
	v_lshlrev_b32_e32 v79, 20, v79
	v_or3_b32 v79, v89, v88, v79
.LBB6_7015:                             ;   in Loop: Header=BB6_5734 Depth=3
	s_or_b32 exec_lo, exec_lo, s13
	v_and_b32_e32 v89, 0xff, v19
	s_mov_b32 s13, 0
	s_mov_b32 s31, exec_lo
                                        ; implicit-def: $sgpr17
	s_delay_alu instid0(VALU_DEP_1)
	v_cmpx_lt_i16_e32 0x7f, v89
	s_xor_b32 s31, exec_lo, s31
	s_cbranch_execnz .LBB6_8296
; %bb.7016:                             ;   in Loop: Header=BB6_5734 Depth=3
	s_or_saveexec_b32 s31, s31
	v_mov_b32_e32 v88, s17
	s_xor_b32 exec_lo, exec_lo, s31
	s_cbranch_execnz .LBB6_8299
.LBB6_7017:                             ;   in Loop: Header=BB6_5734 Depth=3
	s_or_b32 exec_lo, exec_lo, s31
	s_and_saveexec_b32 s17, s13
	s_cbranch_execz .LBB6_7019
.LBB6_7018:                             ;   in Loop: Header=BB6_5734 Depth=3
	v_bfe_u32 v91, v19, 3, 4
	v_lshlrev_b32_e32 v92, 24, v19
	s_delay_alu instid0(VALU_DEP_2) | instskip(SKIP_1) | instid1(VALU_DEP_1)
	v_cmp_eq_u32_e32 vcc_lo, 0, v91
	v_and_b32_e32 v88, 7, v19
	v_clz_i32_u32_e32 v89, v88
	s_delay_alu instid0(VALU_DEP_1) | instskip(NEXT) | instid1(VALU_DEP_1)
	v_min_u32_e32 v89, 32, v89
	v_subrev_nc_u32_e32 v90, 28, v89
	v_sub_nc_u32_e32 v89, 29, v89
	s_delay_alu instid0(VALU_DEP_1) | instskip(NEXT) | instid1(VALU_DEP_1)
	v_dual_cndmask_b32 v89, v91, v89 :: v_dual_lshlrev_b32 v90, v90, v19
	v_and_b32_e32 v90, 7, v90
	s_delay_alu instid0(VALU_DEP_2) | instskip(NEXT) | instid1(VALU_DEP_2)
	v_lshl_add_u32 v89, v89, 23, 0x3b800000
	v_cndmask_b32_e32 v88, v88, v90, vcc_lo
	v_and_b32_e32 v90, 0x80000000, v92
	s_delay_alu instid0(VALU_DEP_2) | instskip(NEXT) | instid1(VALU_DEP_1)
	v_lshlrev_b32_e32 v88, 20, v88
	v_or3_b32 v88, v90, v89, v88
.LBB6_7019:                             ;   in Loop: Header=BB6_5734 Depth=3
	s_or_b32 exec_lo, exec_lo, s17
	s_delay_alu instid0(VALU_DEP_1) | instskip(SKIP_1) | instid1(VALU_DEP_1)
	v_dual_max_f32 v88, v88, v88 :: v_dual_max_f32 v79, v79, v79
	s_mov_b32 s13, 0
	v_max_f32_e32 v79, v79, v88
	s_branch .LBB6_7021
.LBB6_7020:                             ;   in Loop: Header=BB6_5734 Depth=3
	s_mov_b32 s13, -1
                                        ; implicit-def: $vgpr79
.LBB6_7021:                             ;   in Loop: Header=BB6_5734 Depth=3
	s_delay_alu instid0(SALU_CYCLE_1)
	s_and_b32 vcc_lo, exec_lo, s13
	s_cbranch_vccz .LBB6_7031
; %bb.7022:                             ;   in Loop: Header=BB6_5734 Depth=3
	s_mov_b32 s13, 0
	s_mov_b32 s31, exec_lo
                                        ; implicit-def: $sgpr17
	v_cmpx_lt_i16_e32 0x7f, v22
	s_xor_b32 s31, exec_lo, s31
	s_cbranch_execnz .LBB6_8300
; %bb.7023:                             ;   in Loop: Header=BB6_5734 Depth=3
	s_or_saveexec_b32 s31, s31
	v_mov_b32_e32 v79, s17
	s_xor_b32 exec_lo, exec_lo, s31
	s_cbranch_execnz .LBB6_8303
.LBB6_7024:                             ;   in Loop: Header=BB6_5734 Depth=3
	s_or_b32 exec_lo, exec_lo, s31
	s_and_saveexec_b32 s17, s13
	s_cbranch_execz .LBB6_7026
.LBB6_7025:                             ;   in Loop: Header=BB6_5734 Depth=3
	v_and_b32_e32 v22, 7, v23
	v_bfe_u32 v89, v23, 3, 4
	v_lshlrev_b32_e32 v90, 24, v23
	s_delay_alu instid0(VALU_DEP_3) | instskip(NEXT) | instid1(VALU_DEP_3)
	v_clz_i32_u32_e32 v79, v22
	v_cmp_eq_u32_e32 vcc_lo, 0, v89
	s_delay_alu instid0(VALU_DEP_2) | instskip(NEXT) | instid1(VALU_DEP_1)
	v_min_u32_e32 v79, 32, v79
	v_subrev_nc_u32_e32 v88, 28, v79
	v_sub_nc_u32_e32 v79, 29, v79
	s_delay_alu instid0(VALU_DEP_2) | instskip(NEXT) | instid1(VALU_DEP_1)
	v_lshlrev_b32_e32 v88, v88, v23
	v_dual_cndmask_b32 v79, v89, v79 :: v_dual_and_b32 v88, 7, v88
	s_delay_alu instid0(VALU_DEP_1) | instskip(NEXT) | instid1(VALU_DEP_2)
	v_lshl_add_u32 v79, v79, 23, 0x3b800000
	v_cndmask_b32_e32 v22, v22, v88, vcc_lo
	v_and_b32_e32 v88, 0x80000000, v90
	s_delay_alu instid0(VALU_DEP_2) | instskip(NEXT) | instid1(VALU_DEP_1)
	v_lshlrev_b32_e32 v22, 20, v22
	v_or3_b32 v79, v88, v79, v22
.LBB6_7026:                             ;   in Loop: Header=BB6_5734 Depth=3
	s_or_b32 exec_lo, exec_lo, s17
	v_and_b32_e32 v88, 0xff, v19
	s_mov_b32 s13, 0
	s_mov_b32 s31, exec_lo
                                        ; implicit-def: $sgpr17
	s_delay_alu instid0(VALU_DEP_1)
	v_cmpx_lt_i16_e32 0x7f, v88
	s_xor_b32 s31, exec_lo, s31
	s_cbranch_execnz .LBB6_8304
; %bb.7027:                             ;   in Loop: Header=BB6_5734 Depth=3
	s_or_saveexec_b32 s31, s31
	v_mov_b32_e32 v22, s17
	s_xor_b32 exec_lo, exec_lo, s31
	s_cbranch_execnz .LBB6_8307
.LBB6_7028:                             ;   in Loop: Header=BB6_5734 Depth=3
	s_or_b32 exec_lo, exec_lo, s31
	s_and_saveexec_b32 s17, s13
	s_cbranch_execz .LBB6_7030
.LBB6_7029:                             ;   in Loop: Header=BB6_5734 Depth=3
	v_and_b32_e32 v22, 7, v19
	v_bfe_u32 v90, v19, 3, 4
	s_delay_alu instid0(VALU_DEP_2) | instskip(NEXT) | instid1(VALU_DEP_2)
	v_clz_i32_u32_e32 v88, v22
	v_cmp_eq_u32_e32 vcc_lo, 0, v90
	s_delay_alu instid0(VALU_DEP_2) | instskip(NEXT) | instid1(VALU_DEP_1)
	v_min_u32_e32 v88, 32, v88
	v_subrev_nc_u32_e32 v89, 28, v88
	v_sub_nc_u32_e32 v88, 29, v88
	s_delay_alu instid0(VALU_DEP_1) | instskip(NEXT) | instid1(VALU_DEP_1)
	v_dual_cndmask_b32 v88, v90, v88 :: v_dual_lshlrev_b32 v89, v89, v19
	v_and_b32_e32 v89, 7, v89
	v_lshlrev_b32_e32 v91, 24, v19
	s_delay_alu instid0(VALU_DEP_3) | instskip(NEXT) | instid1(VALU_DEP_2)
	v_lshl_add_u32 v88, v88, 23, 0x3b800000
	v_dual_cndmask_b32 v22, v22, v89 :: v_dual_and_b32 v89, 0x80000000, v91
	s_delay_alu instid0(VALU_DEP_1) | instskip(NEXT) | instid1(VALU_DEP_1)
	v_lshlrev_b32_e32 v22, 20, v22
	v_or3_b32 v22, v89, v88, v22
.LBB6_7030:                             ;   in Loop: Header=BB6_5734 Depth=3
	s_or_b32 exec_lo, exec_lo, s17
	s_delay_alu instid0(VALU_DEP_1) | instskip(NEXT) | instid1(VALU_DEP_1)
	v_dual_max_f32 v22, v22, v22 :: v_dual_max_f32 v79, v79, v79
	v_min_f32_e32 v79, v79, v22
.LBB6_7031:                             ;   in Loop: Header=BB6_5734 Depth=3
	s_delay_alu instid0(VALU_DEP_1) | instskip(NEXT) | instid1(VALU_DEP_1)
	v_and_b32_e32 v22, 0x7f800000, v79
	v_cmp_ne_u32_e32 vcc_lo, 0x7f800000, v22
	v_mov_b32_e32 v22, 0x80
	s_and_saveexec_b32 s17, vcc_lo
	s_cbranch_execz .LBB6_7039
; %bb.7032:                             ;   in Loop: Header=BB6_5734 Depth=3
	v_mov_b32_e32 v22, 0
	s_mov_b32 s31, exec_lo
	v_cmpx_ne_u32_e32 0, v79
	s_cbranch_execz .LBB6_7038
; %bb.7033:                             ;   in Loop: Header=BB6_5734 Depth=3
	v_bfe_u32 v22, v79, 23, 8
	s_delay_alu instid0(VALU_DEP_1) | instskip(SKIP_1) | instid1(VALU_DEP_2)
	v_sub_nc_u32_e32 v89, 0x78, v22
	v_cmp_gt_u32_e32 vcc_lo, 0x79, v22
	v_dual_cndmask_b32 v89, 0, v89 :: v_dual_and_b32 v88, 0x7fffff, v79
	s_delay_alu instid0(VALU_DEP_1) | instskip(SKIP_2) | instid1(VALU_DEP_4)
	v_or_b32_e32 v90, 0x800000, v88
	v_cmp_eq_u32_e32 vcc_lo, 0, v22
	v_add_nc_u32_e32 v22, 0xffffff89, v22
	v_cndmask_b32_e64 v89, v89, 0x77, vcc_lo
	s_delay_alu instid0(VALU_DEP_2) | instskip(SKIP_1) | instid1(VALU_DEP_3)
	v_cndmask_b32_e64 v22, v22, 0xffffff8a, vcc_lo
	v_cndmask_b32_e32 v88, v90, v88, vcc_lo
	v_lshl_add_u32 v90, 0x100000, v89, -1
	v_lshlrev_b32_e64 v93, v89, 0x80000
	s_delay_alu instid0(VALU_DEP_3) | instskip(SKIP_1) | instid1(VALU_DEP_4)
	v_lshrrev_b32_e32 v91, v89, v88
	v_add_nc_u32_e32 v89, v89, v22
	v_and_b32_e32 v88, v90, v88
	s_delay_alu instid0(VALU_DEP_3) | instskip(NEXT) | instid1(VALU_DEP_2)
	v_bfe_u32 v92, v91, 20, 1
	v_cmp_eq_u32_e64 s13, v88, v93
	s_delay_alu instid0(VALU_DEP_2) | instskip(NEXT) | instid1(VALU_DEP_1)
	v_add_nc_u32_e32 v90, -1, v92
	v_cndmask_b32_e64 v88, 0, v90, s13
	v_lshrrev_b32_e32 v90, 23, v91
	s_mov_b32 s13, exec_lo
	s_delay_alu instid0(VALU_DEP_2) | instskip(NEXT) | instid1(VALU_DEP_2)
	v_add_nc_u32_e32 v88, v88, v91
	v_xor_b32_e32 v90, 1, v90
	s_delay_alu instid0(VALU_DEP_2) | instskip(NEXT) | instid1(VALU_DEP_1)
	v_and_b32_e32 v22, 0xfffff, v88
	v_add_nc_u32_e32 v88, v22, v91
                                        ; implicit-def: $vgpr22
	s_delay_alu instid0(VALU_DEP_3)
	v_cmpx_ne_u32_e64 v89, v90
	s_xor_b32 s13, exec_lo, s13
; %bb.7034:                             ;   in Loop: Header=BB6_5734 Depth=3
	s_delay_alu instid0(VALU_DEP_2) | instskip(SKIP_2) | instid1(VALU_DEP_2)
	v_cmp_lt_u32_e32 vcc_lo, 0xffffff, v88
	v_sub_nc_u32_e32 v22, v89, v90
	v_cndmask_b32_e64 v89, 0, 1, vcc_lo
	v_add_co_ci_u32_e32 v22, vcc_lo, 0, v22, vcc_lo
	s_delay_alu instid0(VALU_DEP_2)
	v_lshrrev_b32_e32 v88, v89, v88
; %bb.7035:                             ;   in Loop: Header=BB6_5734 Depth=3
	s_and_not1_saveexec_b32 s13, s13
; %bb.7036:                             ;   in Loop: Header=BB6_5734 Depth=3
	s_delay_alu instid0(VALU_DEP_1)
	v_bfe_u32 v22, v88, 23, 1
; %bb.7037:                             ;   in Loop: Header=BB6_5734 Depth=3
	s_or_b32 exec_lo, exec_lo, s13
	v_lshrrev_b32_e32 v88, 20, v88
	s_delay_alu instid0(VALU_DEP_2) | instskip(SKIP_2) | instid1(VALU_DEP_2)
	v_cmp_gt_i32_e32 vcc_lo, 16, v22
	v_lshrrev_b32_e32 v79, 24, v79
	v_min_i32_e32 v89, 15, v22
	v_dual_cndmask_b32 v88, 7, v88 :: v_dual_and_b32 v79, 0x80, v79
	s_delay_alu instid0(VALU_DEP_1) | instskip(SKIP_1) | instid1(VALU_DEP_2)
	v_or_b32_e32 v22, v22, v88
	v_and_b32_e32 v90, 7, v88
	v_cmp_ne_u32_e32 vcc_lo, 0, v22
	v_lshlrev_b32_e32 v89, 3, v89
	s_delay_alu instid0(VALU_DEP_1) | instskip(NEXT) | instid1(VALU_DEP_1)
	v_or3_b32 v79, v89, v79, v90
	v_cndmask_b32_e32 v22, 0, v79, vcc_lo
.LBB6_7038:                             ;   in Loop: Header=BB6_5734 Depth=3
	s_or_b32 exec_lo, exec_lo, s31
.LBB6_7039:                             ;   in Loop: Header=BB6_5734 Depth=3
	s_delay_alu instid0(SALU_CYCLE_1) | instskip(SKIP_3) | instid1(VALU_DEP_2)
	s_or_b32 exec_lo, exec_lo, s17
	v_lshrrev_b16 v88, 8, v23
	v_lshrrev_b16 v79, 8, v19
	s_and_not1_b32 vcc_lo, exec_lo, s16
	v_cmp_lt_i16_e64 s13, 0x7f, v88
	s_cbranch_vccnz .LBB6_7049
; %bb.7040:                             ;   in Loop: Header=BB6_5734 Depth=3
	s_mov_b32 s17, 0
                                        ; implicit-def: $sgpr31
	s_delay_alu instid0(VALU_DEP_1) | instskip(NEXT) | instid1(SALU_CYCLE_1)
	s_and_saveexec_b32 vcc_lo, s13
	s_xor_b32 s13, exec_lo, vcc_lo
	s_cbranch_execnz .LBB6_8308
; %bb.7041:                             ;   in Loop: Header=BB6_5734 Depth=3
	s_or_saveexec_b32 s13, s13
	v_mov_b32_e32 v89, s31
	s_xor_b32 exec_lo, exec_lo, s13
	s_cbranch_execnz .LBB6_8311
.LBB6_7042:                             ;   in Loop: Header=BB6_5734 Depth=3
	s_or_b32 exec_lo, exec_lo, s13
	s_and_saveexec_b32 s13, s17
	s_cbranch_execz .LBB6_7044
.LBB6_7043:                             ;   in Loop: Header=BB6_5734 Depth=3
	v_and_b32_e32 v89, 0xffff, v88
	s_delay_alu instid0(VALU_DEP_1) | instskip(NEXT) | instid1(VALU_DEP_1)
	v_and_b32_e32 v90, 7, v89
	v_clz_i32_u32_e32 v91, v90
	s_delay_alu instid0(VALU_DEP_1) | instskip(NEXT) | instid1(VALU_DEP_1)
	v_min_u32_e32 v91, 32, v91
	v_subrev_nc_u32_e32 v92, 28, v91
	v_sub_nc_u32_e32 v91, 29, v91
	s_delay_alu instid0(VALU_DEP_2) | instskip(SKIP_1) | instid1(VALU_DEP_2)
	v_lshlrev_b32_e32 v92, v92, v89
	v_bfe_u32 v89, v89, 3, 4
	v_and_b32_e32 v92, 7, v92
	s_delay_alu instid0(VALU_DEP_2) | instskip(SKIP_1) | instid1(VALU_DEP_3)
	v_cmp_eq_u32_e32 vcc_lo, 0, v89
	v_cndmask_b32_e32 v89, v89, v91, vcc_lo
	v_dual_cndmask_b32 v90, v90, v92 :: v_dual_lshlrev_b32 v93, 16, v23
	s_delay_alu instid0(VALU_DEP_2) | instskip(NEXT) | instid1(VALU_DEP_2)
	v_lshl_add_u32 v89, v89, 23, 0x3b800000
	v_and_b32_e32 v91, 0x80000000, v93
	s_delay_alu instid0(VALU_DEP_3) | instskip(NEXT) | instid1(VALU_DEP_1)
	v_lshlrev_b32_e32 v90, 20, v90
	v_or3_b32 v89, v91, v89, v90
.LBB6_7044:                             ;   in Loop: Header=BB6_5734 Depth=3
	s_or_b32 exec_lo, exec_lo, s13
	s_mov_b32 s13, 0
	s_mov_b32 s31, exec_lo
                                        ; implicit-def: $sgpr17
	v_cmpx_lt_i16_e32 0x7f, v79
	s_xor_b32 s31, exec_lo, s31
	s_cbranch_execnz .LBB6_8312
; %bb.7045:                             ;   in Loop: Header=BB6_5734 Depth=3
	s_or_saveexec_b32 s31, s31
	v_mov_b32_e32 v90, s17
	s_xor_b32 exec_lo, exec_lo, s31
	s_cbranch_execnz .LBB6_8315
.LBB6_7046:                             ;   in Loop: Header=BB6_5734 Depth=3
	s_or_b32 exec_lo, exec_lo, s31
	s_and_saveexec_b32 s17, s13
	s_cbranch_execz .LBB6_7048
.LBB6_7047:                             ;   in Loop: Header=BB6_5734 Depth=3
	v_and_b32_e32 v90, 0xffff, v79
	v_lshlrev_b32_e32 v94, 16, v19
	s_delay_alu instid0(VALU_DEP_2) | instskip(NEXT) | instid1(VALU_DEP_1)
	v_and_b32_e32 v91, 7, v90
	v_clz_i32_u32_e32 v92, v91
	s_delay_alu instid0(VALU_DEP_1) | instskip(NEXT) | instid1(VALU_DEP_1)
	v_min_u32_e32 v92, 32, v92
	v_subrev_nc_u32_e32 v93, 28, v92
	v_sub_nc_u32_e32 v92, 29, v92
	s_delay_alu instid0(VALU_DEP_2) | instskip(SKIP_1) | instid1(VALU_DEP_2)
	v_lshlrev_b32_e32 v93, v93, v90
	v_bfe_u32 v90, v90, 3, 4
	v_and_b32_e32 v93, 7, v93
	s_delay_alu instid0(VALU_DEP_2) | instskip(NEXT) | instid1(VALU_DEP_2)
	v_cmp_eq_u32_e32 vcc_lo, 0, v90
	v_dual_cndmask_b32 v90, v90, v92 :: v_dual_cndmask_b32 v91, v91, v93
	v_and_b32_e32 v92, 0x80000000, v94
	s_delay_alu instid0(VALU_DEP_2) | instskip(NEXT) | instid1(VALU_DEP_3)
	v_lshl_add_u32 v90, v90, 23, 0x3b800000
	v_lshlrev_b32_e32 v91, 20, v91
	s_delay_alu instid0(VALU_DEP_1)
	v_or3_b32 v90, v92, v90, v91
.LBB6_7048:                             ;   in Loop: Header=BB6_5734 Depth=3
	s_or_b32 exec_lo, exec_lo, s17
	s_delay_alu instid0(VALU_DEP_1) | instskip(SKIP_1) | instid1(VALU_DEP_1)
	v_dual_max_f32 v90, v90, v90 :: v_dual_max_f32 v89, v89, v89
	s_mov_b32 s13, 0
	v_max_f32_e32 v89, v89, v90
	s_branch .LBB6_7050
.LBB6_7049:                             ;   in Loop: Header=BB6_5734 Depth=3
	s_mov_b32 s13, -1
                                        ; implicit-def: $vgpr89
.LBB6_7050:                             ;   in Loop: Header=BB6_5734 Depth=3
	s_delay_alu instid0(SALU_CYCLE_1)
	s_and_b32 vcc_lo, exec_lo, s13
	s_cbranch_vccz .LBB6_7060
; %bb.7051:                             ;   in Loop: Header=BB6_5734 Depth=3
	s_mov_b32 s13, 0
	s_mov_b32 s31, exec_lo
                                        ; implicit-def: $sgpr17
	v_cmpx_lt_i16_e32 0x7f, v88
	s_xor_b32 s31, exec_lo, s31
	s_cbranch_execnz .LBB6_8316
; %bb.7052:                             ;   in Loop: Header=BB6_5734 Depth=3
	s_or_saveexec_b32 s31, s31
	v_mov_b32_e32 v89, s17
	s_xor_b32 exec_lo, exec_lo, s31
	s_cbranch_execnz .LBB6_8319
.LBB6_7053:                             ;   in Loop: Header=BB6_5734 Depth=3
	s_or_b32 exec_lo, exec_lo, s31
	s_and_saveexec_b32 s17, s13
	s_cbranch_execz .LBB6_7055
.LBB6_7054:                             ;   in Loop: Header=BB6_5734 Depth=3
	v_and_b32_e32 v88, 0xffff, v88
	v_lshlrev_b32_e32 v92, 16, v23
	s_delay_alu instid0(VALU_DEP_2) | instskip(NEXT) | instid1(VALU_DEP_1)
	v_and_b32_e32 v89, 7, v88
	v_clz_i32_u32_e32 v90, v89
	s_delay_alu instid0(VALU_DEP_1) | instskip(NEXT) | instid1(VALU_DEP_1)
	v_min_u32_e32 v90, 32, v90
	v_subrev_nc_u32_e32 v91, 28, v90
	v_sub_nc_u32_e32 v90, 29, v90
	s_delay_alu instid0(VALU_DEP_2) | instskip(SKIP_1) | instid1(VALU_DEP_2)
	v_lshlrev_b32_e32 v91, v91, v88
	v_bfe_u32 v88, v88, 3, 4
	v_and_b32_e32 v91, 7, v91
	s_delay_alu instid0(VALU_DEP_2) | instskip(NEXT) | instid1(VALU_DEP_2)
	v_cmp_eq_u32_e32 vcc_lo, 0, v88
	v_dual_cndmask_b32 v88, v88, v90 :: v_dual_cndmask_b32 v89, v89, v91
	v_and_b32_e32 v90, 0x80000000, v92
	s_delay_alu instid0(VALU_DEP_2) | instskip(NEXT) | instid1(VALU_DEP_3)
	v_lshl_add_u32 v88, v88, 23, 0x3b800000
	v_lshlrev_b32_e32 v89, 20, v89
	s_delay_alu instid0(VALU_DEP_1)
	v_or3_b32 v89, v90, v88, v89
.LBB6_7055:                             ;   in Loop: Header=BB6_5734 Depth=3
	s_or_b32 exec_lo, exec_lo, s17
	s_mov_b32 s13, 0
	s_mov_b32 s31, exec_lo
                                        ; implicit-def: $sgpr17
	v_cmpx_lt_i16_e32 0x7f, v79
	s_xor_b32 s31, exec_lo, s31
	s_cbranch_execnz .LBB6_8320
; %bb.7056:                             ;   in Loop: Header=BB6_5734 Depth=3
	s_or_saveexec_b32 s31, s31
	v_mov_b32_e32 v88, s17
	s_xor_b32 exec_lo, exec_lo, s31
	s_cbranch_execnz .LBB6_8323
.LBB6_7057:                             ;   in Loop: Header=BB6_5734 Depth=3
	s_or_b32 exec_lo, exec_lo, s31
	s_and_saveexec_b32 s17, s13
	s_cbranch_execz .LBB6_7059
.LBB6_7058:                             ;   in Loop: Header=BB6_5734 Depth=3
	v_and_b32_e32 v79, 0xffff, v79
	v_lshlrev_b32_e32 v92, 16, v19
	s_delay_alu instid0(VALU_DEP_2) | instskip(NEXT) | instid1(VALU_DEP_1)
	v_and_b32_e32 v88, 7, v79
	v_clz_i32_u32_e32 v90, v88
	s_delay_alu instid0(VALU_DEP_1) | instskip(NEXT) | instid1(VALU_DEP_1)
	v_min_u32_e32 v90, 32, v90
	v_subrev_nc_u32_e32 v91, 28, v90
	v_sub_nc_u32_e32 v90, 29, v90
	s_delay_alu instid0(VALU_DEP_2) | instskip(SKIP_1) | instid1(VALU_DEP_2)
	v_lshlrev_b32_e32 v91, v91, v79
	v_bfe_u32 v79, v79, 3, 4
	v_and_b32_e32 v91, 7, v91
	s_delay_alu instid0(VALU_DEP_2) | instskip(NEXT) | instid1(VALU_DEP_2)
	v_cmp_eq_u32_e32 vcc_lo, 0, v79
	v_dual_cndmask_b32 v79, v79, v90 :: v_dual_cndmask_b32 v88, v88, v91
	v_and_b32_e32 v90, 0x80000000, v92
	s_delay_alu instid0(VALU_DEP_2) | instskip(NEXT) | instid1(VALU_DEP_3)
	v_lshl_add_u32 v79, v79, 23, 0x3b800000
	v_lshlrev_b32_e32 v88, 20, v88
	s_delay_alu instid0(VALU_DEP_1)
	v_or3_b32 v88, v90, v79, v88
.LBB6_7059:                             ;   in Loop: Header=BB6_5734 Depth=3
	s_or_b32 exec_lo, exec_lo, s17
	s_delay_alu instid0(VALU_DEP_1) | instskip(NEXT) | instid1(VALU_DEP_1)
	v_dual_max_f32 v79, v88, v88 :: v_dual_max_f32 v88, v89, v89
	v_min_f32_e32 v89, v88, v79
.LBB6_7060:                             ;   in Loop: Header=BB6_5734 Depth=3
	s_delay_alu instid0(VALU_DEP_1) | instskip(NEXT) | instid1(VALU_DEP_1)
	v_and_b32_e32 v79, 0x7f800000, v89
	v_cmp_ne_u32_e32 vcc_lo, 0x7f800000, v79
	v_mov_b32_e32 v79, 0x80
	s_and_saveexec_b32 s17, vcc_lo
	s_cbranch_execz .LBB6_7068
; %bb.7061:                             ;   in Loop: Header=BB6_5734 Depth=3
	v_mov_b32_e32 v79, 0
	s_mov_b32 s31, exec_lo
	v_cmpx_ne_u32_e32 0, v89
	s_cbranch_execz .LBB6_7067
; %bb.7062:                             ;   in Loop: Header=BB6_5734 Depth=3
	v_bfe_u32 v79, v89, 23, 8
	v_and_b32_e32 v88, 0x7fffff, v89
	s_delay_alu instid0(VALU_DEP_2) | instskip(SKIP_1) | instid1(VALU_DEP_3)
	v_sub_nc_u32_e32 v90, 0x78, v79
	v_cmp_gt_u32_e32 vcc_lo, 0x79, v79
	v_or_b32_e32 v91, 0x800000, v88
	s_delay_alu instid0(VALU_DEP_3) | instskip(SKIP_2) | instid1(VALU_DEP_3)
	v_cndmask_b32_e32 v90, 0, v90, vcc_lo
	v_cmp_eq_u32_e32 vcc_lo, 0, v79
	v_add_nc_u32_e32 v79, 0xffffff89, v79
	v_cndmask_b32_e64 v90, v90, 0x77, vcc_lo
	v_cndmask_b32_e32 v88, v91, v88, vcc_lo
	s_delay_alu instid0(VALU_DEP_3) | instskip(NEXT) | instid1(VALU_DEP_3)
	v_cndmask_b32_e64 v79, v79, 0xffffff8a, vcc_lo
	v_lshl_add_u32 v91, 0x100000, v90, -1
	s_delay_alu instid0(VALU_DEP_3) | instskip(SKIP_1) | instid1(VALU_DEP_4)
	v_lshrrev_b32_e32 v92, v90, v88
	v_lshlrev_b32_e64 v94, v90, 0x80000
	v_add_nc_u32_e32 v90, v90, v79
	s_delay_alu instid0(VALU_DEP_4) | instskip(NEXT) | instid1(VALU_DEP_4)
	v_and_b32_e32 v88, v91, v88
	v_bfe_u32 v93, v92, 20, 1
	s_delay_alu instid0(VALU_DEP_2) | instskip(NEXT) | instid1(VALU_DEP_2)
	v_cmp_eq_u32_e64 s13, v88, v94
	v_add_nc_u32_e32 v91, -1, v93
	s_delay_alu instid0(VALU_DEP_1) | instskip(SKIP_2) | instid1(VALU_DEP_2)
	v_cndmask_b32_e64 v88, 0, v91, s13
	v_lshrrev_b32_e32 v91, 23, v92
	s_mov_b32 s13, exec_lo
	v_add_nc_u32_e32 v88, v88, v92
	s_delay_alu instid0(VALU_DEP_2) | instskip(NEXT) | instid1(VALU_DEP_2)
	v_xor_b32_e32 v91, 1, v91
	v_and_b32_e32 v79, 0xfffff, v88
	s_delay_alu instid0(VALU_DEP_1) | instskip(NEXT) | instid1(VALU_DEP_3)
	v_add_nc_u32_e32 v88, v79, v92
                                        ; implicit-def: $vgpr79
	v_cmpx_ne_u32_e64 v90, v91
	s_xor_b32 s13, exec_lo, s13
; %bb.7063:                             ;   in Loop: Header=BB6_5734 Depth=3
	s_delay_alu instid0(VALU_DEP_2) | instskip(SKIP_2) | instid1(VALU_DEP_2)
	v_cmp_lt_u32_e32 vcc_lo, 0xffffff, v88
	v_sub_nc_u32_e32 v79, v90, v91
	v_cndmask_b32_e64 v90, 0, 1, vcc_lo
	v_add_co_ci_u32_e32 v79, vcc_lo, 0, v79, vcc_lo
	s_delay_alu instid0(VALU_DEP_2)
	v_lshrrev_b32_e32 v88, v90, v88
; %bb.7064:                             ;   in Loop: Header=BB6_5734 Depth=3
	s_and_not1_saveexec_b32 s13, s13
; %bb.7065:                             ;   in Loop: Header=BB6_5734 Depth=3
	s_delay_alu instid0(VALU_DEP_1)
	v_bfe_u32 v79, v88, 23, 1
; %bb.7066:                             ;   in Loop: Header=BB6_5734 Depth=3
	s_or_b32 exec_lo, exec_lo, s13
	v_lshrrev_b32_e32 v88, 20, v88
	s_delay_alu instid0(VALU_DEP_2) | instskip(SKIP_2) | instid1(VALU_DEP_2)
	v_cmp_gt_i32_e32 vcc_lo, 16, v79
	v_lshrrev_b32_e32 v89, 24, v89
	v_min_i32_e32 v90, 15, v79
	v_dual_cndmask_b32 v88, 7, v88 :: v_dual_and_b32 v89, 0x80, v89
	s_delay_alu instid0(VALU_DEP_1) | instskip(SKIP_1) | instid1(VALU_DEP_2)
	v_or_b32_e32 v79, v79, v88
	v_and_b32_e32 v91, 7, v88
	v_cmp_ne_u32_e32 vcc_lo, 0, v79
	v_lshlrev_b32_e32 v90, 3, v90
	s_delay_alu instid0(VALU_DEP_1) | instskip(NEXT) | instid1(VALU_DEP_1)
	v_or3_b32 v88, v90, v89, v91
	v_cndmask_b32_e32 v79, 0, v88, vcc_lo
.LBB6_7067:                             ;   in Loop: Header=BB6_5734 Depth=3
	s_or_b32 exec_lo, exec_lo, s31
.LBB6_7068:                             ;   in Loop: Header=BB6_5734 Depth=3
	s_delay_alu instid0(SALU_CYCLE_1) | instskip(SKIP_3) | instid1(VALU_DEP_2)
	s_or_b32 exec_lo, exec_lo, s17
	v_lshrrev_b32_e32 v89, 16, v23
	v_lshrrev_b32_e32 v88, 16, v19
	s_and_not1_b32 vcc_lo, exec_lo, s16
	v_and_b32_e32 v90, 0xff, v89
	s_delay_alu instid0(VALU_DEP_1)
	v_cmp_lt_i16_e64 s13, 0x7f, v90
	s_cbranch_vccnz .LBB6_7078
; %bb.7069:                             ;   in Loop: Header=BB6_5734 Depth=3
	s_mov_b32 s17, 0
                                        ; implicit-def: $sgpr31
	s_delay_alu instid0(VALU_DEP_1) | instskip(NEXT) | instid1(SALU_CYCLE_1)
	s_and_saveexec_b32 vcc_lo, s13
	s_xor_b32 s13, exec_lo, vcc_lo
	s_cbranch_execnz .LBB6_8324
; %bb.7070:                             ;   in Loop: Header=BB6_5734 Depth=3
	s_or_saveexec_b32 s13, s13
	v_mov_b32_e32 v91, s31
	s_xor_b32 exec_lo, exec_lo, s13
	s_cbranch_execnz .LBB6_8327
.LBB6_7071:                             ;   in Loop: Header=BB6_5734 Depth=3
	s_or_b32 exec_lo, exec_lo, s13
	s_and_saveexec_b32 s13, s17
	s_cbranch_execz .LBB6_7073
.LBB6_7072:                             ;   in Loop: Header=BB6_5734 Depth=3
	v_bfe_u32 v91, v23, 16, 3
	v_bfe_u32 v94, v23, 19, 4
	v_lshlrev_b32_e32 v95, 24, v89
	s_delay_alu instid0(VALU_DEP_3) | instskip(NEXT) | instid1(VALU_DEP_3)
	v_clz_i32_u32_e32 v92, v91
	v_cmp_eq_u32_e32 vcc_lo, 0, v94
	s_delay_alu instid0(VALU_DEP_2) | instskip(NEXT) | instid1(VALU_DEP_1)
	v_min_u32_e32 v92, 32, v92
	v_subrev_nc_u32_e32 v93, 28, v92
	v_sub_nc_u32_e32 v92, 29, v92
	s_delay_alu instid0(VALU_DEP_1) | instskip(NEXT) | instid1(VALU_DEP_1)
	v_dual_cndmask_b32 v92, v94, v92 :: v_dual_lshlrev_b32 v93, v93, v89
	v_and_b32_e32 v93, 7, v93
	s_delay_alu instid0(VALU_DEP_2) | instskip(NEXT) | instid1(VALU_DEP_2)
	v_lshl_add_u32 v92, v92, 23, 0x3b800000
	v_cndmask_b32_e32 v91, v91, v93, vcc_lo
	v_and_b32_e32 v93, 0x80000000, v95
	s_delay_alu instid0(VALU_DEP_2) | instskip(NEXT) | instid1(VALU_DEP_1)
	v_lshlrev_b32_e32 v91, 20, v91
	v_or3_b32 v91, v93, v92, v91
.LBB6_7073:                             ;   in Loop: Header=BB6_5734 Depth=3
	s_or_b32 exec_lo, exec_lo, s13
	v_and_b32_e32 v93, 0xff, v88
	s_mov_b32 s13, 0
	s_mov_b32 s31, exec_lo
                                        ; implicit-def: $sgpr17
	s_delay_alu instid0(VALU_DEP_1)
	v_cmpx_lt_i16_e32 0x7f, v93
	s_xor_b32 s31, exec_lo, s31
	s_cbranch_execnz .LBB6_8328
; %bb.7074:                             ;   in Loop: Header=BB6_5734 Depth=3
	s_or_saveexec_b32 s31, s31
	v_mov_b32_e32 v92, s17
	s_xor_b32 exec_lo, exec_lo, s31
	s_cbranch_execnz .LBB6_8331
.LBB6_7075:                             ;   in Loop: Header=BB6_5734 Depth=3
	s_or_b32 exec_lo, exec_lo, s31
	s_and_saveexec_b32 s17, s13
	s_cbranch_execz .LBB6_7077
.LBB6_7076:                             ;   in Loop: Header=BB6_5734 Depth=3
	v_bfe_u32 v92, v19, 16, 3
	v_bfe_u32 v95, v19, 19, 4
	v_lshlrev_b32_e32 v104, 24, v88
	s_delay_alu instid0(VALU_DEP_3) | instskip(NEXT) | instid1(VALU_DEP_3)
	v_clz_i32_u32_e32 v93, v92
	v_cmp_eq_u32_e32 vcc_lo, 0, v95
	s_delay_alu instid0(VALU_DEP_2) | instskip(NEXT) | instid1(VALU_DEP_1)
	v_min_u32_e32 v93, 32, v93
	v_subrev_nc_u32_e32 v94, 28, v93
	v_sub_nc_u32_e32 v93, 29, v93
	s_delay_alu instid0(VALU_DEP_1) | instskip(NEXT) | instid1(VALU_DEP_1)
	v_dual_cndmask_b32 v93, v95, v93 :: v_dual_lshlrev_b32 v94, v94, v88
	v_and_b32_e32 v94, 7, v94
	s_delay_alu instid0(VALU_DEP_2) | instskip(NEXT) | instid1(VALU_DEP_2)
	v_lshl_add_u32 v93, v93, 23, 0x3b800000
	v_cndmask_b32_e32 v92, v92, v94, vcc_lo
	v_and_b32_e32 v94, 0x80000000, v104
	s_delay_alu instid0(VALU_DEP_2) | instskip(NEXT) | instid1(VALU_DEP_1)
	v_lshlrev_b32_e32 v92, 20, v92
	v_or3_b32 v92, v94, v93, v92
.LBB6_7077:                             ;   in Loop: Header=BB6_5734 Depth=3
	s_or_b32 exec_lo, exec_lo, s17
	s_delay_alu instid0(VALU_DEP_1) | instskip(SKIP_1) | instid1(VALU_DEP_1)
	v_dual_max_f32 v92, v92, v92 :: v_dual_max_f32 v91, v91, v91
	s_mov_b32 s13, 0
	v_max_f32_e32 v91, v91, v92
	s_branch .LBB6_7079
.LBB6_7078:                             ;   in Loop: Header=BB6_5734 Depth=3
	s_mov_b32 s13, -1
                                        ; implicit-def: $vgpr91
.LBB6_7079:                             ;   in Loop: Header=BB6_5734 Depth=3
	s_delay_alu instid0(SALU_CYCLE_1)
	s_and_b32 vcc_lo, exec_lo, s13
	s_cbranch_vccz .LBB6_7089
; %bb.7080:                             ;   in Loop: Header=BB6_5734 Depth=3
	s_mov_b32 s13, 0
	s_mov_b32 s31, exec_lo
                                        ; implicit-def: $sgpr17
	v_cmpx_lt_i16_e32 0x7f, v90
	s_xor_b32 s31, exec_lo, s31
	s_cbranch_execnz .LBB6_8332
; %bb.7081:                             ;   in Loop: Header=BB6_5734 Depth=3
	s_or_saveexec_b32 s31, s31
	v_mov_b32_e32 v91, s17
	s_xor_b32 exec_lo, exec_lo, s31
	s_cbranch_execnz .LBB6_8335
.LBB6_7082:                             ;   in Loop: Header=BB6_5734 Depth=3
	s_or_b32 exec_lo, exec_lo, s31
	s_and_saveexec_b32 s17, s13
	s_cbranch_execz .LBB6_7084
.LBB6_7083:                             ;   in Loop: Header=BB6_5734 Depth=3
	v_bfe_u32 v90, v23, 16, 3
	v_bfe_u32 v93, v23, 19, 4
	s_delay_alu instid0(VALU_DEP_2) | instskip(NEXT) | instid1(VALU_DEP_2)
	v_clz_i32_u32_e32 v91, v90
	v_cmp_eq_u32_e32 vcc_lo, 0, v93
	s_delay_alu instid0(VALU_DEP_2) | instskip(NEXT) | instid1(VALU_DEP_1)
	v_min_u32_e32 v91, 32, v91
	v_subrev_nc_u32_e32 v92, 28, v91
	v_sub_nc_u32_e32 v91, 29, v91
	s_delay_alu instid0(VALU_DEP_1) | instskip(NEXT) | instid1(VALU_DEP_1)
	v_dual_cndmask_b32 v91, v93, v91 :: v_dual_lshlrev_b32 v92, v92, v89
	v_and_b32_e32 v92, 7, v92
	v_lshlrev_b32_e32 v89, 24, v89
	s_delay_alu instid0(VALU_DEP_3) | instskip(NEXT) | instid1(VALU_DEP_2)
	v_lshl_add_u32 v91, v91, 23, 0x3b800000
	v_dual_cndmask_b32 v90, v90, v92 :: v_dual_and_b32 v89, 0x80000000, v89
	s_delay_alu instid0(VALU_DEP_1) | instskip(NEXT) | instid1(VALU_DEP_1)
	v_lshlrev_b32_e32 v90, 20, v90
	v_or3_b32 v91, v89, v91, v90
.LBB6_7084:                             ;   in Loop: Header=BB6_5734 Depth=3
	s_or_b32 exec_lo, exec_lo, s17
	v_and_b32_e32 v90, 0xff, v88
	s_mov_b32 s13, 0
	s_mov_b32 s31, exec_lo
                                        ; implicit-def: $sgpr17
	s_delay_alu instid0(VALU_DEP_1)
	v_cmpx_lt_i16_e32 0x7f, v90
	s_xor_b32 s31, exec_lo, s31
	s_cbranch_execnz .LBB6_8336
; %bb.7085:                             ;   in Loop: Header=BB6_5734 Depth=3
	s_or_saveexec_b32 s31, s31
	v_mov_b32_e32 v89, s17
	s_xor_b32 exec_lo, exec_lo, s31
	s_cbranch_execnz .LBB6_8339
.LBB6_7086:                             ;   in Loop: Header=BB6_5734 Depth=3
	s_or_b32 exec_lo, exec_lo, s31
	s_and_saveexec_b32 s17, s13
	s_cbranch_execz .LBB6_7088
.LBB6_7087:                             ;   in Loop: Header=BB6_5734 Depth=3
	v_bfe_u32 v89, v19, 16, 3
	v_bfe_u32 v93, v19, 19, 4
	s_delay_alu instid0(VALU_DEP_2) | instskip(NEXT) | instid1(VALU_DEP_2)
	v_clz_i32_u32_e32 v90, v89
	v_cmp_eq_u32_e32 vcc_lo, 0, v93
	s_delay_alu instid0(VALU_DEP_2) | instskip(NEXT) | instid1(VALU_DEP_1)
	v_min_u32_e32 v90, 32, v90
	v_subrev_nc_u32_e32 v92, 28, v90
	v_sub_nc_u32_e32 v90, 29, v90
	s_delay_alu instid0(VALU_DEP_2) | instskip(SKIP_1) | instid1(VALU_DEP_2)
	v_lshlrev_b32_e32 v92, v92, v88
	v_lshlrev_b32_e32 v88, 24, v88
	v_and_b32_e32 v92, 7, v92
	s_delay_alu instid0(VALU_DEP_2) | instskip(NEXT) | instid1(VALU_DEP_2)
	v_and_b32_e32 v88, 0x80000000, v88
	v_cndmask_b32_e32 v89, v89, v92, vcc_lo
	s_delay_alu instid0(VALU_DEP_1) | instskip(NEXT) | instid1(VALU_DEP_1)
	v_dual_cndmask_b32 v90, v93, v90 :: v_dual_lshlrev_b32 v89, 20, v89
	v_lshl_add_u32 v90, v90, 23, 0x3b800000
	s_delay_alu instid0(VALU_DEP_1)
	v_or3_b32 v89, v88, v90, v89
.LBB6_7088:                             ;   in Loop: Header=BB6_5734 Depth=3
	s_or_b32 exec_lo, exec_lo, s17
	s_delay_alu instid0(VALU_DEP_1) | instskip(NEXT) | instid1(VALU_DEP_1)
	v_dual_max_f32 v88, v89, v89 :: v_dual_max_f32 v89, v91, v91
	v_min_f32_e32 v91, v89, v88
.LBB6_7089:                             ;   in Loop: Header=BB6_5734 Depth=3
	s_delay_alu instid0(VALU_DEP_1) | instskip(NEXT) | instid1(VALU_DEP_1)
	v_and_b32_e32 v88, 0x7f800000, v91
	v_cmp_ne_u32_e32 vcc_lo, 0x7f800000, v88
	v_mov_b32_e32 v88, 0x80
	s_and_saveexec_b32 s17, vcc_lo
	s_cbranch_execz .LBB6_7097
; %bb.7090:                             ;   in Loop: Header=BB6_5734 Depth=3
	v_mov_b32_e32 v88, 0
	s_mov_b32 s31, exec_lo
	v_cmpx_ne_u32_e32 0, v91
	s_cbranch_execz .LBB6_7096
; %bb.7091:                             ;   in Loop: Header=BB6_5734 Depth=3
	v_bfe_u32 v88, v91, 23, 8
	s_delay_alu instid0(VALU_DEP_1) | instskip(SKIP_1) | instid1(VALU_DEP_2)
	v_sub_nc_u32_e32 v90, 0x78, v88
	v_cmp_gt_u32_e32 vcc_lo, 0x79, v88
	v_dual_cndmask_b32 v90, 0, v90 :: v_dual_and_b32 v89, 0x7fffff, v91
	s_delay_alu instid0(VALU_DEP_1) | instskip(SKIP_2) | instid1(VALU_DEP_4)
	v_or_b32_e32 v92, 0x800000, v89
	v_cmp_eq_u32_e32 vcc_lo, 0, v88
	v_add_nc_u32_e32 v88, 0xffffff89, v88
	v_cndmask_b32_e64 v90, v90, 0x77, vcc_lo
	s_delay_alu instid0(VALU_DEP_4) | instskip(NEXT) | instid1(VALU_DEP_3)
	v_cndmask_b32_e32 v89, v92, v89, vcc_lo
	v_cndmask_b32_e64 v88, v88, 0xffffff8a, vcc_lo
	s_delay_alu instid0(VALU_DEP_3) | instskip(NEXT) | instid1(VALU_DEP_3)
	v_lshl_add_u32 v92, 0x100000, v90, -1
	v_lshrrev_b32_e32 v93, v90, v89
	v_lshlrev_b32_e64 v95, v90, 0x80000
	s_delay_alu instid0(VALU_DEP_4) | instskip(NEXT) | instid1(VALU_DEP_4)
	v_add_nc_u32_e32 v90, v90, v88
	v_and_b32_e32 v89, v92, v89
	s_delay_alu instid0(VALU_DEP_4) | instskip(NEXT) | instid1(VALU_DEP_2)
	v_bfe_u32 v94, v93, 20, 1
	v_cmp_eq_u32_e64 s13, v89, v95
	s_delay_alu instid0(VALU_DEP_2) | instskip(NEXT) | instid1(VALU_DEP_1)
	v_add_nc_u32_e32 v92, -1, v94
	v_cndmask_b32_e64 v89, 0, v92, s13
	v_lshrrev_b32_e32 v92, 23, v93
	s_mov_b32 s13, exec_lo
	s_delay_alu instid0(VALU_DEP_2) | instskip(NEXT) | instid1(VALU_DEP_2)
	v_add_nc_u32_e32 v89, v89, v93
	v_xor_b32_e32 v92, 1, v92
	s_delay_alu instid0(VALU_DEP_2) | instskip(NEXT) | instid1(VALU_DEP_1)
	v_and_b32_e32 v88, 0xfffff, v89
	v_add_nc_u32_e32 v89, v88, v93
                                        ; implicit-def: $vgpr88
	s_delay_alu instid0(VALU_DEP_3)
	v_cmpx_ne_u32_e64 v90, v92
	s_xor_b32 s13, exec_lo, s13
; %bb.7092:                             ;   in Loop: Header=BB6_5734 Depth=3
	s_delay_alu instid0(VALU_DEP_2) | instskip(SKIP_2) | instid1(VALU_DEP_2)
	v_cmp_lt_u32_e32 vcc_lo, 0xffffff, v89
	v_sub_nc_u32_e32 v88, v90, v92
	v_cndmask_b32_e64 v90, 0, 1, vcc_lo
	v_add_co_ci_u32_e32 v88, vcc_lo, 0, v88, vcc_lo
	s_delay_alu instid0(VALU_DEP_2)
	v_lshrrev_b32_e32 v89, v90, v89
; %bb.7093:                             ;   in Loop: Header=BB6_5734 Depth=3
	s_and_not1_saveexec_b32 s13, s13
; %bb.7094:                             ;   in Loop: Header=BB6_5734 Depth=3
	s_delay_alu instid0(VALU_DEP_1)
	v_bfe_u32 v88, v89, 23, 1
; %bb.7095:                             ;   in Loop: Header=BB6_5734 Depth=3
	s_or_b32 exec_lo, exec_lo, s13
	v_lshrrev_b32_e32 v89, 20, v89
	s_delay_alu instid0(VALU_DEP_2) | instskip(SKIP_2) | instid1(VALU_DEP_2)
	v_cmp_gt_i32_e32 vcc_lo, 16, v88
	v_min_i32_e32 v90, 15, v88
	v_lshrrev_b32_e32 v91, 24, v91
	v_dual_cndmask_b32 v89, 7, v89 :: v_dual_lshlrev_b32 v90, 3, v90
	s_delay_alu instid0(VALU_DEP_1) | instskip(SKIP_1) | instid1(VALU_DEP_3)
	v_or_b32_e32 v88, v88, v89
	v_and_b32_e32 v92, 7, v89
	v_and_b32_e32 v90, 0xf8, v90
	s_delay_alu instid0(VALU_DEP_3) | instskip(SKIP_1) | instid1(VALU_DEP_1)
	v_cmp_ne_u32_e32 vcc_lo, 0, v88
	v_and_b32_e32 v91, 0x80, v91
	v_or3_b32 v89, v90, v91, v92
	s_delay_alu instid0(VALU_DEP_1)
	v_cndmask_b32_e32 v88, 0, v89, vcc_lo
.LBB6_7096:                             ;   in Loop: Header=BB6_5734 Depth=3
	s_or_b32 exec_lo, exec_lo, s31
.LBB6_7097:                             ;   in Loop: Header=BB6_5734 Depth=3
	s_delay_alu instid0(SALU_CYCLE_1) | instskip(SKIP_3) | instid1(VALU_DEP_2)
	s_or_b32 exec_lo, exec_lo, s17
	v_lshrrev_b32_e32 v90, 24, v23
	v_lshrrev_b32_e32 v89, 24, v19
	s_and_not1_b32 vcc_lo, exec_lo, s16
	v_cmp_lt_i16_e64 s13, 0x7f, v90
	s_cbranch_vccnz .LBB6_7107
; %bb.7098:                             ;   in Loop: Header=BB6_5734 Depth=3
	s_mov_b32 s17, 0
                                        ; implicit-def: $sgpr31
	s_delay_alu instid0(VALU_DEP_1) | instskip(NEXT) | instid1(SALU_CYCLE_1)
	s_and_saveexec_b32 vcc_lo, s13
	s_xor_b32 s13, exec_lo, vcc_lo
	s_cbranch_execnz .LBB6_8340
; %bb.7099:                             ;   in Loop: Header=BB6_5734 Depth=3
	s_or_saveexec_b32 s13, s13
	v_mov_b32_e32 v91, s31
	s_xor_b32 exec_lo, exec_lo, s13
	s_cbranch_execnz .LBB6_8343
.LBB6_7100:                             ;   in Loop: Header=BB6_5734 Depth=3
	s_or_b32 exec_lo, exec_lo, s13
	s_and_saveexec_b32 s13, s17
	s_cbranch_execz .LBB6_7102
.LBB6_7101:                             ;   in Loop: Header=BB6_5734 Depth=3
	v_bfe_u32 v91, v23, 24, 3
	v_bfe_u32 v94, v23, 27, 4
	s_delay_alu instid0(VALU_DEP_2) | instskip(NEXT) | instid1(VALU_DEP_2)
	v_clz_i32_u32_e32 v92, v91
	v_cmp_eq_u32_e32 vcc_lo, 0, v94
	s_delay_alu instid0(VALU_DEP_2) | instskip(NEXT) | instid1(VALU_DEP_1)
	v_min_u32_e32 v92, 32, v92
	v_subrev_nc_u32_e32 v93, 28, v92
	v_sub_nc_u32_e32 v92, 29, v92
	s_delay_alu instid0(VALU_DEP_1) | instskip(NEXT) | instid1(VALU_DEP_1)
	v_dual_cndmask_b32 v92, v94, v92 :: v_dual_lshlrev_b32 v93, v93, v90
	v_and_b32_e32 v93, 7, v93
	s_delay_alu instid0(VALU_DEP_2) | instskip(NEXT) | instid1(VALU_DEP_2)
	v_lshl_add_u32 v92, v92, 23, 0x3b800000
	v_cndmask_b32_e32 v91, v91, v93, vcc_lo
	v_and_b32_e32 v93, 0x80000000, v23
	s_delay_alu instid0(VALU_DEP_2) | instskip(NEXT) | instid1(VALU_DEP_1)
	v_lshlrev_b32_e32 v91, 20, v91
	v_or3_b32 v91, v93, v92, v91
.LBB6_7102:                             ;   in Loop: Header=BB6_5734 Depth=3
	s_or_b32 exec_lo, exec_lo, s13
	s_mov_b32 s13, 0
	s_mov_b32 s31, exec_lo
                                        ; implicit-def: $sgpr17
	v_cmpx_lt_i16_e32 0x7f, v89
	s_xor_b32 s31, exec_lo, s31
	s_cbranch_execnz .LBB6_8344
; %bb.7103:                             ;   in Loop: Header=BB6_5734 Depth=3
	s_or_saveexec_b32 s31, s31
	v_mov_b32_e32 v92, s17
	s_xor_b32 exec_lo, exec_lo, s31
	s_cbranch_execnz .LBB6_8347
.LBB6_7104:                             ;   in Loop: Header=BB6_5734 Depth=3
	s_or_b32 exec_lo, exec_lo, s31
	s_and_saveexec_b32 s17, s13
	s_cbranch_execz .LBB6_7106
.LBB6_7105:                             ;   in Loop: Header=BB6_5734 Depth=3
	v_bfe_u32 v92, v19, 24, 3
	v_bfe_u32 v95, v19, 27, 4
	s_delay_alu instid0(VALU_DEP_2) | instskip(NEXT) | instid1(VALU_DEP_2)
	v_clz_i32_u32_e32 v93, v92
	v_cmp_eq_u32_e32 vcc_lo, 0, v95
	s_delay_alu instid0(VALU_DEP_2) | instskip(NEXT) | instid1(VALU_DEP_1)
	v_min_u32_e32 v93, 32, v93
	v_subrev_nc_u32_e32 v94, 28, v93
	v_sub_nc_u32_e32 v93, 29, v93
	s_delay_alu instid0(VALU_DEP_2) | instskip(NEXT) | instid1(VALU_DEP_1)
	v_lshlrev_b32_e32 v94, v94, v89
	v_dual_cndmask_b32 v93, v95, v93 :: v_dual_and_b32 v94, 7, v94
	s_delay_alu instid0(VALU_DEP_1) | instskip(NEXT) | instid1(VALU_DEP_2)
	v_lshl_add_u32 v93, v93, 23, 0x3b800000
	v_cndmask_b32_e32 v92, v92, v94, vcc_lo
	v_and_b32_e32 v94, 0x80000000, v19
	s_delay_alu instid0(VALU_DEP_2) | instskip(NEXT) | instid1(VALU_DEP_1)
	v_lshlrev_b32_e32 v92, 20, v92
	v_or3_b32 v92, v94, v93, v92
.LBB6_7106:                             ;   in Loop: Header=BB6_5734 Depth=3
	s_or_b32 exec_lo, exec_lo, s17
	s_delay_alu instid0(VALU_DEP_1) | instskip(SKIP_1) | instid1(VALU_DEP_1)
	v_dual_max_f32 v92, v92, v92 :: v_dual_max_f32 v91, v91, v91
	s_mov_b32 s13, 0
	v_max_f32_e32 v91, v91, v92
	s_branch .LBB6_7108
.LBB6_7107:                             ;   in Loop: Header=BB6_5734 Depth=3
	s_mov_b32 s13, -1
                                        ; implicit-def: $vgpr91
.LBB6_7108:                             ;   in Loop: Header=BB6_5734 Depth=3
	s_delay_alu instid0(SALU_CYCLE_1)
	s_and_b32 vcc_lo, exec_lo, s13
	s_cbranch_vccz .LBB6_7118
; %bb.7109:                             ;   in Loop: Header=BB6_5734 Depth=3
	s_mov_b32 s13, 0
	s_mov_b32 s31, exec_lo
                                        ; implicit-def: $sgpr17
	v_cmpx_lt_i16_e32 0x7f, v90
	s_xor_b32 s31, exec_lo, s31
	s_cbranch_execnz .LBB6_8348
; %bb.7110:                             ;   in Loop: Header=BB6_5734 Depth=3
	s_or_saveexec_b32 s31, s31
	v_mov_b32_e32 v91, s17
	s_xor_b32 exec_lo, exec_lo, s31
	s_cbranch_execnz .LBB6_8351
.LBB6_7111:                             ;   in Loop: Header=BB6_5734 Depth=3
	s_or_b32 exec_lo, exec_lo, s31
	s_and_saveexec_b32 s17, s13
	s_cbranch_execz .LBB6_7113
.LBB6_7112:                             ;   in Loop: Header=BB6_5734 Depth=3
	v_bfe_u32 v91, v23, 24, 3
	s_delay_alu instid0(VALU_DEP_1) | instskip(NEXT) | instid1(VALU_DEP_1)
	v_clz_i32_u32_e32 v92, v91
	v_min_u32_e32 v92, 32, v92
	s_delay_alu instid0(VALU_DEP_1) | instskip(SKIP_1) | instid1(VALU_DEP_2)
	v_subrev_nc_u32_e32 v93, 28, v92
	v_sub_nc_u32_e32 v92, 29, v92
	v_lshlrev_b32_e32 v90, v93, v90
	v_bfe_u32 v93, v23, 27, 4
	v_and_b32_e32 v23, 0x80000000, v23
	s_delay_alu instid0(VALU_DEP_3) | instskip(NEXT) | instid1(VALU_DEP_3)
	v_and_b32_e32 v90, 7, v90
	v_cmp_eq_u32_e32 vcc_lo, 0, v93
	v_cndmask_b32_e32 v92, v93, v92, vcc_lo
	s_delay_alu instid0(VALU_DEP_3) | instskip(NEXT) | instid1(VALU_DEP_2)
	v_cndmask_b32_e32 v90, v91, v90, vcc_lo
	v_lshl_add_u32 v91, v92, 23, 0x3b800000
	s_delay_alu instid0(VALU_DEP_2) | instskip(NEXT) | instid1(VALU_DEP_1)
	v_lshlrev_b32_e32 v90, 20, v90
	v_or3_b32 v91, v23, v91, v90
.LBB6_7113:                             ;   in Loop: Header=BB6_5734 Depth=3
	s_or_b32 exec_lo, exec_lo, s17
	s_mov_b32 s13, 0
	s_mov_b32 s31, exec_lo
                                        ; implicit-def: $sgpr17
	v_cmpx_lt_i16_e32 0x7f, v89
	s_xor_b32 s31, exec_lo, s31
	s_cbranch_execnz .LBB6_8352
; %bb.7114:                             ;   in Loop: Header=BB6_5734 Depth=3
	s_or_saveexec_b32 s31, s31
	v_mov_b32_e32 v23, s17
	s_xor_b32 exec_lo, exec_lo, s31
	s_cbranch_execnz .LBB6_8355
.LBB6_7115:                             ;   in Loop: Header=BB6_5734 Depth=3
	s_or_b32 exec_lo, exec_lo, s31
	s_and_saveexec_b32 s17, s13
	s_cbranch_execz .LBB6_7117
.LBB6_7116:                             ;   in Loop: Header=BB6_5734 Depth=3
	v_bfe_u32 v23, v19, 24, 3
	s_delay_alu instid0(VALU_DEP_1) | instskip(NEXT) | instid1(VALU_DEP_1)
	v_clz_i32_u32_e32 v90, v23
	v_min_u32_e32 v90, 32, v90
	s_delay_alu instid0(VALU_DEP_1) | instskip(SKIP_1) | instid1(VALU_DEP_2)
	v_subrev_nc_u32_e32 v92, 28, v90
	v_sub_nc_u32_e32 v90, 29, v90
	v_lshlrev_b32_e32 v89, v92, v89
	v_bfe_u32 v92, v19, 27, 4
	v_and_b32_e32 v19, 0x80000000, v19
	s_delay_alu instid0(VALU_DEP_2) | instskip(NEXT) | instid1(VALU_DEP_4)
	v_cmp_eq_u32_e32 vcc_lo, 0, v92
	v_dual_cndmask_b32 v90, v92, v90 :: v_dual_and_b32 v89, 7, v89
	s_delay_alu instid0(VALU_DEP_1) | instskip(NEXT) | instid1(VALU_DEP_2)
	v_cndmask_b32_e32 v23, v23, v89, vcc_lo
	v_lshl_add_u32 v89, v90, 23, 0x3b800000
	s_delay_alu instid0(VALU_DEP_2) | instskip(NEXT) | instid1(VALU_DEP_1)
	v_lshlrev_b32_e32 v23, 20, v23
	v_or3_b32 v23, v19, v89, v23
.LBB6_7117:                             ;   in Loop: Header=BB6_5734 Depth=3
	s_or_b32 exec_lo, exec_lo, s17
	s_delay_alu instid0(VALU_DEP_1) | instskip(SKIP_1) | instid1(VALU_DEP_1)
	v_max_f32_e32 v19, v23, v23
	v_max_f32_e32 v23, v91, v91
	v_min_f32_e32 v91, v23, v19
.LBB6_7118:                             ;   in Loop: Header=BB6_5734 Depth=3
	s_delay_alu instid0(VALU_DEP_1) | instskip(NEXT) | instid1(VALU_DEP_1)
	v_and_b32_e32 v19, 0x7f800000, v91
	v_cmp_ne_u32_e32 vcc_lo, 0x7f800000, v19
	v_mov_b32_e32 v19, 0x8000
	s_and_saveexec_b32 s17, vcc_lo
	s_cbranch_execz .LBB6_7126
; %bb.7119:                             ;   in Loop: Header=BB6_5734 Depth=3
	v_mov_b32_e32 v19, 0
	s_mov_b32 s31, exec_lo
	v_cmpx_ne_u32_e32 0, v91
	s_cbranch_execz .LBB6_7125
; %bb.7120:                             ;   in Loop: Header=BB6_5734 Depth=3
	v_bfe_u32 v19, v91, 23, 8
	v_and_b32_e32 v23, 0x7fffff, v91
	s_delay_alu instid0(VALU_DEP_2) | instskip(SKIP_1) | instid1(VALU_DEP_3)
	v_sub_nc_u32_e32 v89, 0x78, v19
	v_cmp_gt_u32_e32 vcc_lo, 0x79, v19
	v_or_b32_e32 v90, 0x800000, v23
	s_delay_alu instid0(VALU_DEP_3) | instskip(SKIP_2) | instid1(VALU_DEP_3)
	v_cndmask_b32_e32 v89, 0, v89, vcc_lo
	v_cmp_eq_u32_e32 vcc_lo, 0, v19
	v_add_nc_u32_e32 v19, 0xffffff89, v19
	v_cndmask_b32_e64 v89, v89, 0x77, vcc_lo
	v_cndmask_b32_e32 v23, v90, v23, vcc_lo
	s_delay_alu instid0(VALU_DEP_3) | instskip(NEXT) | instid1(VALU_DEP_3)
	v_cndmask_b32_e64 v19, v19, 0xffffff8a, vcc_lo
	v_lshl_add_u32 v90, 0x100000, v89, -1
	s_delay_alu instid0(VALU_DEP_3) | instskip(SKIP_1) | instid1(VALU_DEP_4)
	v_lshrrev_b32_e32 v92, v89, v23
	v_lshlrev_b32_e64 v94, v89, 0x80000
	v_add_nc_u32_e32 v89, v89, v19
	s_delay_alu instid0(VALU_DEP_4) | instskip(NEXT) | instid1(VALU_DEP_4)
	v_and_b32_e32 v23, v90, v23
	v_bfe_u32 v93, v92, 20, 1
	s_delay_alu instid0(VALU_DEP_2) | instskip(NEXT) | instid1(VALU_DEP_2)
	v_cmp_eq_u32_e64 s13, v23, v94
	v_add_nc_u32_e32 v90, -1, v93
	s_delay_alu instid0(VALU_DEP_1) | instskip(SKIP_2) | instid1(VALU_DEP_2)
	v_cndmask_b32_e64 v23, 0, v90, s13
	v_lshrrev_b32_e32 v90, 23, v92
	s_mov_b32 s13, exec_lo
	v_add_nc_u32_e32 v23, v23, v92
	s_delay_alu instid0(VALU_DEP_2) | instskip(NEXT) | instid1(VALU_DEP_2)
	v_xor_b32_e32 v90, 1, v90
	v_and_b32_e32 v19, 0xfffff, v23
	s_delay_alu instid0(VALU_DEP_1) | instskip(NEXT) | instid1(VALU_DEP_3)
	v_add_nc_u32_e32 v23, v19, v92
                                        ; implicit-def: $vgpr19
	v_cmpx_ne_u32_e64 v89, v90
	s_xor_b32 s13, exec_lo, s13
; %bb.7121:                             ;   in Loop: Header=BB6_5734 Depth=3
	s_delay_alu instid0(VALU_DEP_2) | instskip(SKIP_2) | instid1(VALU_DEP_2)
	v_cmp_lt_u32_e32 vcc_lo, 0xffffff, v23
	v_sub_nc_u32_e32 v19, v89, v90
	v_cndmask_b32_e64 v89, 0, 1, vcc_lo
	v_add_co_ci_u32_e32 v19, vcc_lo, 0, v19, vcc_lo
	s_delay_alu instid0(VALU_DEP_2)
	v_lshrrev_b32_e32 v23, v89, v23
; %bb.7122:                             ;   in Loop: Header=BB6_5734 Depth=3
	s_and_not1_saveexec_b32 s13, s13
; %bb.7123:                             ;   in Loop: Header=BB6_5734 Depth=3
	s_delay_alu instid0(VALU_DEP_1)
	v_bfe_u32 v19, v23, 23, 1
; %bb.7124:                             ;   in Loop: Header=BB6_5734 Depth=3
	s_or_b32 exec_lo, exec_lo, s13
	v_lshrrev_b32_e32 v23, 20, v23
	s_delay_alu instid0(VALU_DEP_2) | instskip(SKIP_2) | instid1(VALU_DEP_3)
	v_min_i32_e32 v89, 15, v19
	v_cmp_gt_i32_e32 vcc_lo, 16, v19
	v_lshrrev_b32_e32 v90, 24, v91
	v_lshlrev_b32_e32 v89, 3, v89
	s_delay_alu instid0(VALU_DEP_2) | instskip(NEXT) | instid1(VALU_DEP_2)
	v_dual_cndmask_b32 v23, 7, v23 :: v_dual_and_b32 v90, 0x80, v90
	v_and_b32_e32 v89, 0xf8, v89
	s_delay_alu instid0(VALU_DEP_2) | instskip(SKIP_1) | instid1(VALU_DEP_2)
	v_and_b32_e32 v91, 7, v23
	v_or_b32_e32 v19, v19, v23
	v_or3_b32 v89, v90, v89, v91
	s_delay_alu instid0(VALU_DEP_2) | instskip(NEXT) | instid1(VALU_DEP_2)
	v_cmp_ne_u32_e32 vcc_lo, 0, v19
	v_lshlrev_b32_e32 v23, 8, v89
	s_delay_alu instid0(VALU_DEP_1)
	v_cndmask_b32_e32 v19, 0, v23, vcc_lo
.LBB6_7125:                             ;   in Loop: Header=BB6_5734 Depth=3
	s_or_b32 exec_lo, exec_lo, s31
.LBB6_7126:                             ;   in Loop: Header=BB6_5734 Depth=3
	s_delay_alu instid0(SALU_CYCLE_1) | instskip(SKIP_2) | instid1(VALU_DEP_1)
	s_or_b32 exec_lo, exec_lo, s17
	v_and_b32_e32 v23, 0xff, v12
	s_and_not1_b32 vcc_lo, exec_lo, s16
	v_cmp_lt_i16_e64 s13, 0x7f, v23
	s_cbranch_vccnz .LBB6_7136
; %bb.7127:                             ;   in Loop: Header=BB6_5734 Depth=3
	s_mov_b32 s17, 0
                                        ; implicit-def: $sgpr31
	s_delay_alu instid0(VALU_DEP_1) | instskip(NEXT) | instid1(SALU_CYCLE_1)
	s_and_saveexec_b32 vcc_lo, s13
	s_xor_b32 s13, exec_lo, vcc_lo
	s_cbranch_execnz .LBB6_8356
; %bb.7128:                             ;   in Loop: Header=BB6_5734 Depth=3
	s_or_saveexec_b32 s13, s13
	v_mov_b32_e32 v89, s31
	s_xor_b32 exec_lo, exec_lo, s13
	s_cbranch_execnz .LBB6_8359
.LBB6_7129:                             ;   in Loop: Header=BB6_5734 Depth=3
	s_or_b32 exec_lo, exec_lo, s13
	s_and_saveexec_b32 s13, s17
	s_cbranch_execz .LBB6_7131
.LBB6_7130:                             ;   in Loop: Header=BB6_5734 Depth=3
	v_bfe_u32 v92, v12, 3, 4
	v_lshlrev_b32_e32 v93, 24, v12
	s_delay_alu instid0(VALU_DEP_2) | instskip(SKIP_1) | instid1(VALU_DEP_1)
	v_cmp_eq_u32_e32 vcc_lo, 0, v92
	v_and_b32_e32 v89, 7, v12
	v_clz_i32_u32_e32 v90, v89
	s_delay_alu instid0(VALU_DEP_1) | instskip(NEXT) | instid1(VALU_DEP_1)
	v_min_u32_e32 v90, 32, v90
	v_subrev_nc_u32_e32 v91, 28, v90
	v_sub_nc_u32_e32 v90, 29, v90
	s_delay_alu instid0(VALU_DEP_1) | instskip(NEXT) | instid1(VALU_DEP_1)
	v_dual_cndmask_b32 v90, v92, v90 :: v_dual_lshlrev_b32 v91, v91, v12
	v_and_b32_e32 v91, 7, v91
	s_delay_alu instid0(VALU_DEP_2) | instskip(NEXT) | instid1(VALU_DEP_2)
	v_lshl_add_u32 v90, v90, 23, 0x3b800000
	v_cndmask_b32_e32 v89, v89, v91, vcc_lo
	v_and_b32_e32 v91, 0x80000000, v93
	s_delay_alu instid0(VALU_DEP_2) | instskip(NEXT) | instid1(VALU_DEP_1)
	v_lshlrev_b32_e32 v89, 20, v89
	v_or3_b32 v89, v91, v90, v89
.LBB6_7131:                             ;   in Loop: Header=BB6_5734 Depth=3
	s_or_b32 exec_lo, exec_lo, s13
	s_waitcnt vmcnt(0)
	v_and_b32_e32 v91, 0xff, v8
	s_mov_b32 s13, 0
	s_mov_b32 s31, exec_lo
                                        ; implicit-def: $sgpr17
	s_delay_alu instid0(VALU_DEP_1)
	v_cmpx_lt_i16_e32 0x7f, v91
	s_xor_b32 s31, exec_lo, s31
	s_cbranch_execnz .LBB6_8360
; %bb.7132:                             ;   in Loop: Header=BB6_5734 Depth=3
	s_or_saveexec_b32 s31, s31
	v_mov_b32_e32 v90, s17
	s_xor_b32 exec_lo, exec_lo, s31
	s_cbranch_execnz .LBB6_8363
.LBB6_7133:                             ;   in Loop: Header=BB6_5734 Depth=3
	s_or_b32 exec_lo, exec_lo, s31
	s_and_saveexec_b32 s17, s13
	s_cbranch_execz .LBB6_7135
.LBB6_7134:                             ;   in Loop: Header=BB6_5734 Depth=3
	v_bfe_u32 v93, v8, 3, 4
	v_lshlrev_b32_e32 v94, 24, v8
	s_delay_alu instid0(VALU_DEP_2) | instskip(SKIP_1) | instid1(VALU_DEP_1)
	v_cmp_eq_u32_e32 vcc_lo, 0, v93
	v_and_b32_e32 v90, 7, v8
	v_clz_i32_u32_e32 v91, v90
	s_delay_alu instid0(VALU_DEP_1) | instskip(NEXT) | instid1(VALU_DEP_1)
	v_min_u32_e32 v91, 32, v91
	v_subrev_nc_u32_e32 v92, 28, v91
	v_sub_nc_u32_e32 v91, 29, v91
	s_delay_alu instid0(VALU_DEP_1) | instskip(NEXT) | instid1(VALU_DEP_1)
	v_dual_cndmask_b32 v91, v93, v91 :: v_dual_lshlrev_b32 v92, v92, v8
	v_and_b32_e32 v92, 7, v92
	s_delay_alu instid0(VALU_DEP_2) | instskip(NEXT) | instid1(VALU_DEP_2)
	v_lshl_add_u32 v91, v91, 23, 0x3b800000
	v_cndmask_b32_e32 v90, v90, v92, vcc_lo
	v_and_b32_e32 v92, 0x80000000, v94
	s_delay_alu instid0(VALU_DEP_2) | instskip(NEXT) | instid1(VALU_DEP_1)
	v_lshlrev_b32_e32 v90, 20, v90
	v_or3_b32 v90, v92, v91, v90
.LBB6_7135:                             ;   in Loop: Header=BB6_5734 Depth=3
	s_or_b32 exec_lo, exec_lo, s17
	s_delay_alu instid0(VALU_DEP_1) | instskip(SKIP_1) | instid1(VALU_DEP_1)
	v_dual_max_f32 v90, v90, v90 :: v_dual_max_f32 v89, v89, v89
	s_mov_b32 s13, 0
	v_max_f32_e32 v89, v89, v90
	s_branch .LBB6_7137
.LBB6_7136:                             ;   in Loop: Header=BB6_5734 Depth=3
	s_mov_b32 s13, -1
                                        ; implicit-def: $vgpr89
.LBB6_7137:                             ;   in Loop: Header=BB6_5734 Depth=3
	s_delay_alu instid0(SALU_CYCLE_1)
	s_and_b32 vcc_lo, exec_lo, s13
	s_cbranch_vccz .LBB6_7147
; %bb.7138:                             ;   in Loop: Header=BB6_5734 Depth=3
	s_mov_b32 s13, 0
	s_mov_b32 s31, exec_lo
                                        ; implicit-def: $sgpr17
	v_cmpx_lt_i16_e32 0x7f, v23
	s_xor_b32 s31, exec_lo, s31
	s_cbranch_execnz .LBB6_8364
; %bb.7139:                             ;   in Loop: Header=BB6_5734 Depth=3
	s_or_saveexec_b32 s31, s31
	v_mov_b32_e32 v89, s17
	s_xor_b32 exec_lo, exec_lo, s31
	s_cbranch_execnz .LBB6_8367
.LBB6_7140:                             ;   in Loop: Header=BB6_5734 Depth=3
	s_or_b32 exec_lo, exec_lo, s31
	s_and_saveexec_b32 s17, s13
	s_cbranch_execz .LBB6_7142
.LBB6_7141:                             ;   in Loop: Header=BB6_5734 Depth=3
	v_and_b32_e32 v23, 7, v12
	v_bfe_u32 v91, v12, 3, 4
	s_delay_alu instid0(VALU_DEP_2) | instskip(NEXT) | instid1(VALU_DEP_2)
	v_clz_i32_u32_e32 v89, v23
	v_cmp_eq_u32_e32 vcc_lo, 0, v91
	s_delay_alu instid0(VALU_DEP_2) | instskip(NEXT) | instid1(VALU_DEP_1)
	v_min_u32_e32 v89, 32, v89
	v_subrev_nc_u32_e32 v90, 28, v89
	v_sub_nc_u32_e32 v89, 29, v89
	s_delay_alu instid0(VALU_DEP_1) | instskip(NEXT) | instid1(VALU_DEP_1)
	v_dual_cndmask_b32 v89, v91, v89 :: v_dual_lshlrev_b32 v90, v90, v12
	v_and_b32_e32 v90, 7, v90
	v_lshlrev_b32_e32 v92, 24, v12
	s_delay_alu instid0(VALU_DEP_3) | instskip(NEXT) | instid1(VALU_DEP_2)
	v_lshl_add_u32 v89, v89, 23, 0x3b800000
	v_dual_cndmask_b32 v23, v23, v90 :: v_dual_and_b32 v90, 0x80000000, v92
	s_delay_alu instid0(VALU_DEP_1) | instskip(NEXT) | instid1(VALU_DEP_1)
	v_lshlrev_b32_e32 v23, 20, v23
	v_or3_b32 v89, v90, v89, v23
.LBB6_7142:                             ;   in Loop: Header=BB6_5734 Depth=3
	s_or_b32 exec_lo, exec_lo, s17
	s_waitcnt vmcnt(0)
	v_and_b32_e32 v90, 0xff, v8
	s_mov_b32 s13, 0
	s_mov_b32 s31, exec_lo
                                        ; implicit-def: $sgpr17
	s_delay_alu instid0(VALU_DEP_1)
	v_cmpx_lt_i16_e32 0x7f, v90
	s_xor_b32 s31, exec_lo, s31
	s_cbranch_execnz .LBB6_8368
; %bb.7143:                             ;   in Loop: Header=BB6_5734 Depth=3
	s_or_saveexec_b32 s31, s31
	v_mov_b32_e32 v23, s17
	s_xor_b32 exec_lo, exec_lo, s31
	s_cbranch_execnz .LBB6_8371
.LBB6_7144:                             ;   in Loop: Header=BB6_5734 Depth=3
	s_or_b32 exec_lo, exec_lo, s31
	s_and_saveexec_b32 s17, s13
	s_cbranch_execz .LBB6_7146
.LBB6_7145:                             ;   in Loop: Header=BB6_5734 Depth=3
	v_bfe_u32 v92, v8, 3, 4
	v_lshlrev_b32_e32 v93, 24, v8
	s_delay_alu instid0(VALU_DEP_2) | instskip(SKIP_1) | instid1(VALU_DEP_1)
	v_cmp_eq_u32_e32 vcc_lo, 0, v92
	v_and_b32_e32 v23, 7, v8
	v_clz_i32_u32_e32 v90, v23
	s_delay_alu instid0(VALU_DEP_1) | instskip(NEXT) | instid1(VALU_DEP_1)
	v_min_u32_e32 v90, 32, v90
	v_subrev_nc_u32_e32 v91, 28, v90
	v_sub_nc_u32_e32 v90, 29, v90
	s_delay_alu instid0(VALU_DEP_1) | instskip(NEXT) | instid1(VALU_DEP_1)
	v_dual_cndmask_b32 v90, v92, v90 :: v_dual_lshlrev_b32 v91, v91, v8
	v_and_b32_e32 v91, 7, v91
	s_delay_alu instid0(VALU_DEP_2) | instskip(NEXT) | instid1(VALU_DEP_2)
	v_lshl_add_u32 v90, v90, 23, 0x3b800000
	v_cndmask_b32_e32 v23, v23, v91, vcc_lo
	v_and_b32_e32 v91, 0x80000000, v93
	s_delay_alu instid0(VALU_DEP_2) | instskip(NEXT) | instid1(VALU_DEP_1)
	v_lshlrev_b32_e32 v23, 20, v23
	v_or3_b32 v23, v91, v90, v23
.LBB6_7146:                             ;   in Loop: Header=BB6_5734 Depth=3
	s_or_b32 exec_lo, exec_lo, s17
	s_delay_alu instid0(VALU_DEP_1) | instskip(SKIP_1) | instid1(VALU_DEP_1)
	v_max_f32_e32 v23, v23, v23
	v_max_f32_e32 v89, v89, v89
	v_min_f32_e32 v89, v89, v23
.LBB6_7147:                             ;   in Loop: Header=BB6_5734 Depth=3
	s_delay_alu instid0(VALU_DEP_1) | instskip(NEXT) | instid1(VALU_DEP_1)
	v_and_b32_e32 v23, 0x7f800000, v89
	v_cmp_ne_u32_e32 vcc_lo, 0x7f800000, v23
	v_mov_b32_e32 v23, 0x80
	s_and_saveexec_b32 s17, vcc_lo
	s_cbranch_execz .LBB6_7155
; %bb.7148:                             ;   in Loop: Header=BB6_5734 Depth=3
	v_mov_b32_e32 v23, 0
	s_mov_b32 s31, exec_lo
	v_cmpx_ne_u32_e32 0, v89
	s_cbranch_execz .LBB6_7154
; %bb.7149:                             ;   in Loop: Header=BB6_5734 Depth=3
	v_bfe_u32 v23, v89, 23, 8
	s_delay_alu instid0(VALU_DEP_1) | instskip(SKIP_1) | instid1(VALU_DEP_2)
	v_sub_nc_u32_e32 v91, 0x78, v23
	v_cmp_gt_u32_e32 vcc_lo, 0x79, v23
	v_dual_cndmask_b32 v91, 0, v91 :: v_dual_and_b32 v90, 0x7fffff, v89
	s_delay_alu instid0(VALU_DEP_1) | instskip(SKIP_2) | instid1(VALU_DEP_4)
	v_or_b32_e32 v92, 0x800000, v90
	v_cmp_eq_u32_e32 vcc_lo, 0, v23
	v_add_nc_u32_e32 v23, 0xffffff89, v23
	v_cndmask_b32_e64 v91, v91, 0x77, vcc_lo
	s_delay_alu instid0(VALU_DEP_4) | instskip(NEXT) | instid1(VALU_DEP_3)
	v_cndmask_b32_e32 v90, v92, v90, vcc_lo
	v_cndmask_b32_e64 v23, v23, 0xffffff8a, vcc_lo
	s_delay_alu instid0(VALU_DEP_3) | instskip(NEXT) | instid1(VALU_DEP_3)
	v_lshl_add_u32 v92, 0x100000, v91, -1
	v_lshrrev_b32_e32 v93, v91, v90
	v_lshlrev_b32_e64 v95, v91, 0x80000
	s_delay_alu instid0(VALU_DEP_4) | instskip(NEXT) | instid1(VALU_DEP_4)
	v_add_nc_u32_e32 v91, v91, v23
	v_and_b32_e32 v90, v92, v90
	s_delay_alu instid0(VALU_DEP_4) | instskip(NEXT) | instid1(VALU_DEP_2)
	v_bfe_u32 v94, v93, 20, 1
	v_cmp_eq_u32_e64 s13, v90, v95
	s_delay_alu instid0(VALU_DEP_2) | instskip(NEXT) | instid1(VALU_DEP_1)
	v_add_nc_u32_e32 v92, -1, v94
	v_cndmask_b32_e64 v90, 0, v92, s13
	v_lshrrev_b32_e32 v92, 23, v93
	s_mov_b32 s13, exec_lo
	s_delay_alu instid0(VALU_DEP_2) | instskip(NEXT) | instid1(VALU_DEP_2)
	v_add_nc_u32_e32 v90, v90, v93
	v_xor_b32_e32 v92, 1, v92
	s_delay_alu instid0(VALU_DEP_2) | instskip(NEXT) | instid1(VALU_DEP_1)
	v_and_b32_e32 v23, 0xfffff, v90
	v_add_nc_u32_e32 v90, v23, v93
                                        ; implicit-def: $vgpr23
	s_delay_alu instid0(VALU_DEP_3)
	v_cmpx_ne_u32_e64 v91, v92
	s_xor_b32 s13, exec_lo, s13
; %bb.7150:                             ;   in Loop: Header=BB6_5734 Depth=3
	s_delay_alu instid0(VALU_DEP_2) | instskip(SKIP_2) | instid1(VALU_DEP_2)
	v_cmp_lt_u32_e32 vcc_lo, 0xffffff, v90
	v_sub_nc_u32_e32 v23, v91, v92
	v_cndmask_b32_e64 v91, 0, 1, vcc_lo
	v_add_co_ci_u32_e32 v23, vcc_lo, 0, v23, vcc_lo
	s_delay_alu instid0(VALU_DEP_2)
	v_lshrrev_b32_e32 v90, v91, v90
; %bb.7151:                             ;   in Loop: Header=BB6_5734 Depth=3
	s_and_not1_saveexec_b32 s13, s13
; %bb.7152:                             ;   in Loop: Header=BB6_5734 Depth=3
	s_delay_alu instid0(VALU_DEP_1)
	v_bfe_u32 v23, v90, 23, 1
; %bb.7153:                             ;   in Loop: Header=BB6_5734 Depth=3
	s_or_b32 exec_lo, exec_lo, s13
	v_lshrrev_b32_e32 v90, 20, v90
	s_delay_alu instid0(VALU_DEP_2) | instskip(SKIP_2) | instid1(VALU_DEP_2)
	v_cmp_gt_i32_e32 vcc_lo, 16, v23
	v_lshrrev_b32_e32 v89, 24, v89
	v_min_i32_e32 v91, 15, v23
	v_dual_cndmask_b32 v90, 7, v90 :: v_dual_and_b32 v89, 0x80, v89
	s_delay_alu instid0(VALU_DEP_2) | instskip(NEXT) | instid1(VALU_DEP_2)
	v_lshlrev_b32_e32 v91, 3, v91
	v_or_b32_e32 v23, v23, v90
	s_delay_alu instid0(VALU_DEP_1) | instskip(SKIP_1) | instid1(VALU_DEP_1)
	v_cmp_ne_u32_e32 vcc_lo, 0, v23
	v_and_b32_e32 v92, 7, v90
	v_or3_b32 v89, v91, v89, v92
	s_delay_alu instid0(VALU_DEP_1)
	v_cndmask_b32_e32 v23, 0, v89, vcc_lo
.LBB6_7154:                             ;   in Loop: Header=BB6_5734 Depth=3
	s_or_b32 exec_lo, exec_lo, s31
.LBB6_7155:                             ;   in Loop: Header=BB6_5734 Depth=3
	s_delay_alu instid0(SALU_CYCLE_1) | instskip(SKIP_4) | instid1(VALU_DEP_2)
	s_or_b32 exec_lo, exec_lo, s17
	v_lshrrev_b16 v90, 8, v12
	s_waitcnt vmcnt(0)
	v_lshrrev_b16 v89, 8, v8
	s_and_not1_b32 vcc_lo, exec_lo, s16
	v_cmp_lt_i16_e64 s13, 0x7f, v90
	s_cbranch_vccnz .LBB6_7165
; %bb.7156:                             ;   in Loop: Header=BB6_5734 Depth=3
	s_mov_b32 s17, 0
                                        ; implicit-def: $sgpr31
	s_delay_alu instid0(VALU_DEP_1) | instskip(NEXT) | instid1(SALU_CYCLE_1)
	s_and_saveexec_b32 vcc_lo, s13
	s_xor_b32 s13, exec_lo, vcc_lo
	s_cbranch_execnz .LBB6_8372
; %bb.7157:                             ;   in Loop: Header=BB6_5734 Depth=3
	s_or_saveexec_b32 s13, s13
	v_mov_b32_e32 v91, s31
	s_xor_b32 exec_lo, exec_lo, s13
	s_cbranch_execnz .LBB6_8375
.LBB6_7158:                             ;   in Loop: Header=BB6_5734 Depth=3
	s_or_b32 exec_lo, exec_lo, s13
	s_and_saveexec_b32 s13, s17
	s_cbranch_execz .LBB6_7160
.LBB6_7159:                             ;   in Loop: Header=BB6_5734 Depth=3
	v_and_b32_e32 v91, 0xffff, v90
	s_delay_alu instid0(VALU_DEP_1) | instskip(NEXT) | instid1(VALU_DEP_1)
	v_and_b32_e32 v92, 7, v91
	v_clz_i32_u32_e32 v93, v92
	s_delay_alu instid0(VALU_DEP_1) | instskip(NEXT) | instid1(VALU_DEP_1)
	v_min_u32_e32 v93, 32, v93
	v_subrev_nc_u32_e32 v94, 28, v93
	v_sub_nc_u32_e32 v93, 29, v93
	s_delay_alu instid0(VALU_DEP_2) | instskip(SKIP_1) | instid1(VALU_DEP_2)
	v_lshlrev_b32_e32 v94, v94, v91
	v_bfe_u32 v91, v91, 3, 4
	v_and_b32_e32 v94, 7, v94
	s_delay_alu instid0(VALU_DEP_2) | instskip(SKIP_1) | instid1(VALU_DEP_3)
	v_cmp_eq_u32_e32 vcc_lo, 0, v91
	v_cndmask_b32_e32 v91, v91, v93, vcc_lo
	v_dual_cndmask_b32 v92, v92, v94 :: v_dual_lshlrev_b32 v95, 16, v12
	s_delay_alu instid0(VALU_DEP_2) | instskip(NEXT) | instid1(VALU_DEP_2)
	v_lshl_add_u32 v91, v91, 23, 0x3b800000
	v_and_b32_e32 v93, 0x80000000, v95
	s_delay_alu instid0(VALU_DEP_3) | instskip(NEXT) | instid1(VALU_DEP_1)
	v_lshlrev_b32_e32 v92, 20, v92
	v_or3_b32 v91, v93, v91, v92
.LBB6_7160:                             ;   in Loop: Header=BB6_5734 Depth=3
	s_or_b32 exec_lo, exec_lo, s13
	s_mov_b32 s13, 0
	s_mov_b32 s31, exec_lo
                                        ; implicit-def: $sgpr17
	v_cmpx_lt_i16_e32 0x7f, v89
	s_xor_b32 s31, exec_lo, s31
	s_cbranch_execnz .LBB6_8376
; %bb.7161:                             ;   in Loop: Header=BB6_5734 Depth=3
	s_or_saveexec_b32 s31, s31
	v_mov_b32_e32 v92, s17
	s_xor_b32 exec_lo, exec_lo, s31
	s_cbranch_execnz .LBB6_8379
.LBB6_7162:                             ;   in Loop: Header=BB6_5734 Depth=3
	s_or_b32 exec_lo, exec_lo, s31
	s_and_saveexec_b32 s17, s13
	s_cbranch_execz .LBB6_7164
.LBB6_7163:                             ;   in Loop: Header=BB6_5734 Depth=3
	v_and_b32_e32 v92, 0xffff, v89
	v_lshlrev_b32_e32 v104, 16, v8
	s_delay_alu instid0(VALU_DEP_2) | instskip(NEXT) | instid1(VALU_DEP_1)
	v_and_b32_e32 v93, 7, v92
	v_clz_i32_u32_e32 v94, v93
	s_delay_alu instid0(VALU_DEP_1) | instskip(NEXT) | instid1(VALU_DEP_1)
	v_min_u32_e32 v94, 32, v94
	v_subrev_nc_u32_e32 v95, 28, v94
	v_sub_nc_u32_e32 v94, 29, v94
	s_delay_alu instid0(VALU_DEP_2) | instskip(SKIP_1) | instid1(VALU_DEP_2)
	v_lshlrev_b32_e32 v95, v95, v92
	v_bfe_u32 v92, v92, 3, 4
	v_and_b32_e32 v95, 7, v95
	s_delay_alu instid0(VALU_DEP_2) | instskip(NEXT) | instid1(VALU_DEP_2)
	v_cmp_eq_u32_e32 vcc_lo, 0, v92
	v_dual_cndmask_b32 v92, v92, v94 :: v_dual_cndmask_b32 v93, v93, v95
	v_and_b32_e32 v94, 0x80000000, v104
	s_delay_alu instid0(VALU_DEP_2) | instskip(NEXT) | instid1(VALU_DEP_3)
	v_lshl_add_u32 v92, v92, 23, 0x3b800000
	v_lshlrev_b32_e32 v93, 20, v93
	s_delay_alu instid0(VALU_DEP_1)
	v_or3_b32 v92, v94, v92, v93
.LBB6_7164:                             ;   in Loop: Header=BB6_5734 Depth=3
	s_or_b32 exec_lo, exec_lo, s17
	s_delay_alu instid0(VALU_DEP_1) | instskip(SKIP_1) | instid1(VALU_DEP_1)
	v_dual_max_f32 v92, v92, v92 :: v_dual_max_f32 v91, v91, v91
	s_mov_b32 s13, 0
	v_max_f32_e32 v91, v91, v92
	s_branch .LBB6_7166
.LBB6_7165:                             ;   in Loop: Header=BB6_5734 Depth=3
	s_mov_b32 s13, -1
                                        ; implicit-def: $vgpr91
.LBB6_7166:                             ;   in Loop: Header=BB6_5734 Depth=3
	s_delay_alu instid0(SALU_CYCLE_1)
	s_and_b32 vcc_lo, exec_lo, s13
	s_cbranch_vccz .LBB6_7176
; %bb.7167:                             ;   in Loop: Header=BB6_5734 Depth=3
	s_mov_b32 s13, 0
	s_mov_b32 s31, exec_lo
                                        ; implicit-def: $sgpr17
	v_cmpx_lt_i16_e32 0x7f, v90
	s_xor_b32 s31, exec_lo, s31
	s_cbranch_execnz .LBB6_8380
; %bb.7168:                             ;   in Loop: Header=BB6_5734 Depth=3
	s_or_saveexec_b32 s31, s31
	v_mov_b32_e32 v91, s17
	s_xor_b32 exec_lo, exec_lo, s31
	s_cbranch_execnz .LBB6_8383
.LBB6_7169:                             ;   in Loop: Header=BB6_5734 Depth=3
	s_or_b32 exec_lo, exec_lo, s31
	s_and_saveexec_b32 s17, s13
	s_cbranch_execz .LBB6_7171
.LBB6_7170:                             ;   in Loop: Header=BB6_5734 Depth=3
	v_and_b32_e32 v90, 0xffff, v90
	v_lshlrev_b32_e32 v94, 16, v12
	s_delay_alu instid0(VALU_DEP_2) | instskip(NEXT) | instid1(VALU_DEP_1)
	v_and_b32_e32 v91, 7, v90
	v_clz_i32_u32_e32 v92, v91
	s_delay_alu instid0(VALU_DEP_1) | instskip(NEXT) | instid1(VALU_DEP_1)
	v_min_u32_e32 v92, 32, v92
	v_subrev_nc_u32_e32 v93, 28, v92
	v_sub_nc_u32_e32 v92, 29, v92
	s_delay_alu instid0(VALU_DEP_2) | instskip(SKIP_1) | instid1(VALU_DEP_2)
	v_lshlrev_b32_e32 v93, v93, v90
	v_bfe_u32 v90, v90, 3, 4
	v_and_b32_e32 v93, 7, v93
	s_delay_alu instid0(VALU_DEP_2) | instskip(NEXT) | instid1(VALU_DEP_2)
	v_cmp_eq_u32_e32 vcc_lo, 0, v90
	v_dual_cndmask_b32 v90, v90, v92 :: v_dual_cndmask_b32 v91, v91, v93
	v_and_b32_e32 v92, 0x80000000, v94
	s_delay_alu instid0(VALU_DEP_2) | instskip(NEXT) | instid1(VALU_DEP_3)
	v_lshl_add_u32 v90, v90, 23, 0x3b800000
	v_lshlrev_b32_e32 v91, 20, v91
	s_delay_alu instid0(VALU_DEP_1)
	v_or3_b32 v91, v92, v90, v91
.LBB6_7171:                             ;   in Loop: Header=BB6_5734 Depth=3
	s_or_b32 exec_lo, exec_lo, s17
	s_mov_b32 s13, 0
	s_mov_b32 s31, exec_lo
                                        ; implicit-def: $sgpr17
	v_cmpx_lt_i16_e32 0x7f, v89
	s_xor_b32 s31, exec_lo, s31
	s_cbranch_execnz .LBB6_8384
; %bb.7172:                             ;   in Loop: Header=BB6_5734 Depth=3
	s_or_saveexec_b32 s31, s31
	v_mov_b32_e32 v90, s17
	s_xor_b32 exec_lo, exec_lo, s31
	s_cbranch_execnz .LBB6_8387
.LBB6_7173:                             ;   in Loop: Header=BB6_5734 Depth=3
	s_or_b32 exec_lo, exec_lo, s31
	s_and_saveexec_b32 s17, s13
	s_cbranch_execz .LBB6_7175
.LBB6_7174:                             ;   in Loop: Header=BB6_5734 Depth=3
	v_and_b32_e32 v89, 0xffff, v89
	v_lshlrev_b32_e32 v94, 16, v8
	s_delay_alu instid0(VALU_DEP_2) | instskip(NEXT) | instid1(VALU_DEP_1)
	v_and_b32_e32 v90, 7, v89
	v_clz_i32_u32_e32 v92, v90
	s_delay_alu instid0(VALU_DEP_1) | instskip(NEXT) | instid1(VALU_DEP_1)
	v_min_u32_e32 v92, 32, v92
	v_subrev_nc_u32_e32 v93, 28, v92
	v_sub_nc_u32_e32 v92, 29, v92
	s_delay_alu instid0(VALU_DEP_2) | instskip(SKIP_1) | instid1(VALU_DEP_2)
	v_lshlrev_b32_e32 v93, v93, v89
	v_bfe_u32 v89, v89, 3, 4
	v_and_b32_e32 v93, 7, v93
	s_delay_alu instid0(VALU_DEP_2) | instskip(NEXT) | instid1(VALU_DEP_2)
	v_cmp_eq_u32_e32 vcc_lo, 0, v89
	v_dual_cndmask_b32 v89, v89, v92 :: v_dual_cndmask_b32 v90, v90, v93
	v_and_b32_e32 v92, 0x80000000, v94
	s_delay_alu instid0(VALU_DEP_2) | instskip(NEXT) | instid1(VALU_DEP_3)
	v_lshl_add_u32 v89, v89, 23, 0x3b800000
	v_lshlrev_b32_e32 v90, 20, v90
	s_delay_alu instid0(VALU_DEP_1)
	v_or3_b32 v90, v92, v89, v90
.LBB6_7175:                             ;   in Loop: Header=BB6_5734 Depth=3
	s_or_b32 exec_lo, exec_lo, s17
	s_delay_alu instid0(VALU_DEP_1) | instskip(NEXT) | instid1(VALU_DEP_1)
	v_dual_max_f32 v89, v90, v90 :: v_dual_max_f32 v90, v91, v91
	v_min_f32_e32 v91, v90, v89
.LBB6_7176:                             ;   in Loop: Header=BB6_5734 Depth=3
	s_delay_alu instid0(VALU_DEP_1) | instskip(NEXT) | instid1(VALU_DEP_1)
	v_and_b32_e32 v89, 0x7f800000, v91
	v_cmp_ne_u32_e32 vcc_lo, 0x7f800000, v89
	v_mov_b32_e32 v89, 0x80
	s_and_saveexec_b32 s17, vcc_lo
	s_cbranch_execz .LBB6_7184
; %bb.7177:                             ;   in Loop: Header=BB6_5734 Depth=3
	v_mov_b32_e32 v89, 0
	s_mov_b32 s31, exec_lo
	v_cmpx_ne_u32_e32 0, v91
	s_cbranch_execz .LBB6_7183
; %bb.7178:                             ;   in Loop: Header=BB6_5734 Depth=3
	v_bfe_u32 v89, v91, 23, 8
	v_and_b32_e32 v90, 0x7fffff, v91
	s_delay_alu instid0(VALU_DEP_2) | instskip(SKIP_1) | instid1(VALU_DEP_3)
	v_sub_nc_u32_e32 v92, 0x78, v89
	v_cmp_gt_u32_e32 vcc_lo, 0x79, v89
	v_or_b32_e32 v93, 0x800000, v90
	s_delay_alu instid0(VALU_DEP_3) | instskip(SKIP_2) | instid1(VALU_DEP_3)
	v_cndmask_b32_e32 v92, 0, v92, vcc_lo
	v_cmp_eq_u32_e32 vcc_lo, 0, v89
	v_add_nc_u32_e32 v89, 0xffffff89, v89
	v_cndmask_b32_e64 v92, v92, 0x77, vcc_lo
	v_cndmask_b32_e32 v90, v93, v90, vcc_lo
	s_delay_alu instid0(VALU_DEP_3) | instskip(NEXT) | instid1(VALU_DEP_3)
	v_cndmask_b32_e64 v89, v89, 0xffffff8a, vcc_lo
	v_lshl_add_u32 v93, 0x100000, v92, -1
	s_delay_alu instid0(VALU_DEP_3) | instskip(SKIP_1) | instid1(VALU_DEP_4)
	v_lshrrev_b32_e32 v94, v92, v90
	v_lshlrev_b32_e64 v104, v92, 0x80000
	v_add_nc_u32_e32 v92, v92, v89
	s_delay_alu instid0(VALU_DEP_4) | instskip(NEXT) | instid1(VALU_DEP_4)
	v_and_b32_e32 v90, v93, v90
	v_bfe_u32 v95, v94, 20, 1
	s_delay_alu instid0(VALU_DEP_2) | instskip(NEXT) | instid1(VALU_DEP_2)
	v_cmp_eq_u32_e64 s13, v90, v104
	v_add_nc_u32_e32 v93, -1, v95
	s_delay_alu instid0(VALU_DEP_1) | instskip(SKIP_2) | instid1(VALU_DEP_2)
	v_cndmask_b32_e64 v90, 0, v93, s13
	v_lshrrev_b32_e32 v93, 23, v94
	s_mov_b32 s13, exec_lo
	v_add_nc_u32_e32 v90, v90, v94
	s_delay_alu instid0(VALU_DEP_2) | instskip(NEXT) | instid1(VALU_DEP_2)
	v_xor_b32_e32 v93, 1, v93
	v_and_b32_e32 v89, 0xfffff, v90
	s_delay_alu instid0(VALU_DEP_1) | instskip(NEXT) | instid1(VALU_DEP_3)
	v_add_nc_u32_e32 v90, v89, v94
                                        ; implicit-def: $vgpr89
	v_cmpx_ne_u32_e64 v92, v93
	s_xor_b32 s13, exec_lo, s13
; %bb.7179:                             ;   in Loop: Header=BB6_5734 Depth=3
	s_delay_alu instid0(VALU_DEP_2) | instskip(SKIP_2) | instid1(VALU_DEP_2)
	v_cmp_lt_u32_e32 vcc_lo, 0xffffff, v90
	v_sub_nc_u32_e32 v89, v92, v93
	v_cndmask_b32_e64 v92, 0, 1, vcc_lo
	v_add_co_ci_u32_e32 v89, vcc_lo, 0, v89, vcc_lo
	s_delay_alu instid0(VALU_DEP_2)
	v_lshrrev_b32_e32 v90, v92, v90
; %bb.7180:                             ;   in Loop: Header=BB6_5734 Depth=3
	s_and_not1_saveexec_b32 s13, s13
; %bb.7181:                             ;   in Loop: Header=BB6_5734 Depth=3
	s_delay_alu instid0(VALU_DEP_1)
	v_bfe_u32 v89, v90, 23, 1
; %bb.7182:                             ;   in Loop: Header=BB6_5734 Depth=3
	s_or_b32 exec_lo, exec_lo, s13
	v_lshrrev_b32_e32 v90, 20, v90
	s_delay_alu instid0(VALU_DEP_2) | instskip(SKIP_2) | instid1(VALU_DEP_2)
	v_cmp_gt_i32_e32 vcc_lo, 16, v89
	v_lshrrev_b32_e32 v91, 24, v91
	v_min_i32_e32 v92, 15, v89
	v_dual_cndmask_b32 v90, 7, v90 :: v_dual_and_b32 v91, 0x80, v91
	s_delay_alu instid0(VALU_DEP_1) | instskip(SKIP_1) | instid1(VALU_DEP_2)
	v_or_b32_e32 v89, v89, v90
	v_and_b32_e32 v93, 7, v90
	v_cmp_ne_u32_e32 vcc_lo, 0, v89
	v_lshlrev_b32_e32 v92, 3, v92
	s_delay_alu instid0(VALU_DEP_1) | instskip(NEXT) | instid1(VALU_DEP_1)
	v_or3_b32 v90, v92, v91, v93
	v_cndmask_b32_e32 v89, 0, v90, vcc_lo
.LBB6_7183:                             ;   in Loop: Header=BB6_5734 Depth=3
	s_or_b32 exec_lo, exec_lo, s31
.LBB6_7184:                             ;   in Loop: Header=BB6_5734 Depth=3
	s_delay_alu instid0(SALU_CYCLE_1) | instskip(SKIP_3) | instid1(VALU_DEP_2)
	s_or_b32 exec_lo, exec_lo, s17
	v_lshrrev_b32_e32 v91, 16, v12
	v_lshrrev_b32_e32 v90, 16, v8
	s_and_not1_b32 vcc_lo, exec_lo, s16
	v_and_b32_e32 v92, 0xff, v91
	s_delay_alu instid0(VALU_DEP_1)
	v_cmp_lt_i16_e64 s13, 0x7f, v92
	s_cbranch_vccnz .LBB6_7194
; %bb.7185:                             ;   in Loop: Header=BB6_5734 Depth=3
	s_mov_b32 s17, 0
                                        ; implicit-def: $sgpr31
	s_delay_alu instid0(VALU_DEP_1) | instskip(NEXT) | instid1(SALU_CYCLE_1)
	s_and_saveexec_b32 vcc_lo, s13
	s_xor_b32 s13, exec_lo, vcc_lo
	s_cbranch_execnz .LBB6_8388
; %bb.7186:                             ;   in Loop: Header=BB6_5734 Depth=3
	s_or_saveexec_b32 s13, s13
	v_mov_b32_e32 v93, s31
	s_xor_b32 exec_lo, exec_lo, s13
	s_cbranch_execnz .LBB6_8391
.LBB6_7187:                             ;   in Loop: Header=BB6_5734 Depth=3
	s_or_b32 exec_lo, exec_lo, s13
	s_and_saveexec_b32 s13, s17
	s_cbranch_execz .LBB6_7189
.LBB6_7188:                             ;   in Loop: Header=BB6_5734 Depth=3
	v_bfe_u32 v93, v12, 16, 3
	v_bfe_u32 v104, v12, 19, 4
	v_lshlrev_b32_e32 v105, 24, v91
	s_delay_alu instid0(VALU_DEP_3) | instskip(NEXT) | instid1(VALU_DEP_3)
	v_clz_i32_u32_e32 v94, v93
	v_cmp_eq_u32_e32 vcc_lo, 0, v104
	s_delay_alu instid0(VALU_DEP_2) | instskip(NEXT) | instid1(VALU_DEP_1)
	v_min_u32_e32 v94, 32, v94
	v_subrev_nc_u32_e32 v95, 28, v94
	v_sub_nc_u32_e32 v94, 29, v94
	s_delay_alu instid0(VALU_DEP_1) | instskip(NEXT) | instid1(VALU_DEP_1)
	v_dual_cndmask_b32 v94, v104, v94 :: v_dual_lshlrev_b32 v95, v95, v91
	v_and_b32_e32 v95, 7, v95
	s_delay_alu instid0(VALU_DEP_2) | instskip(NEXT) | instid1(VALU_DEP_2)
	v_lshl_add_u32 v94, v94, 23, 0x3b800000
	v_cndmask_b32_e32 v93, v93, v95, vcc_lo
	v_and_b32_e32 v95, 0x80000000, v105
	s_delay_alu instid0(VALU_DEP_2) | instskip(NEXT) | instid1(VALU_DEP_1)
	v_lshlrev_b32_e32 v93, 20, v93
	v_or3_b32 v93, v95, v94, v93
.LBB6_7189:                             ;   in Loop: Header=BB6_5734 Depth=3
	s_or_b32 exec_lo, exec_lo, s13
	v_and_b32_e32 v95, 0xff, v90
	s_mov_b32 s13, 0
	s_mov_b32 s31, exec_lo
                                        ; implicit-def: $sgpr17
	s_delay_alu instid0(VALU_DEP_1)
	v_cmpx_lt_i16_e32 0x7f, v95
	s_xor_b32 s31, exec_lo, s31
	s_cbranch_execnz .LBB6_8392
; %bb.7190:                             ;   in Loop: Header=BB6_5734 Depth=3
	s_or_saveexec_b32 s31, s31
	v_mov_b32_e32 v94, s17
	s_xor_b32 exec_lo, exec_lo, s31
	s_cbranch_execnz .LBB6_8395
.LBB6_7191:                             ;   in Loop: Header=BB6_5734 Depth=3
	s_or_b32 exec_lo, exec_lo, s31
	s_and_saveexec_b32 s17, s13
	s_cbranch_execz .LBB6_7193
.LBB6_7192:                             ;   in Loop: Header=BB6_5734 Depth=3
	v_bfe_u32 v94, v8, 16, 3
	v_bfe_u32 v105, v8, 19, 4
	v_lshlrev_b32_e32 v106, 24, v90
	s_delay_alu instid0(VALU_DEP_3) | instskip(NEXT) | instid1(VALU_DEP_3)
	v_clz_i32_u32_e32 v95, v94
	v_cmp_eq_u32_e32 vcc_lo, 0, v105
	s_delay_alu instid0(VALU_DEP_2) | instskip(NEXT) | instid1(VALU_DEP_1)
	v_min_u32_e32 v95, 32, v95
	v_subrev_nc_u32_e32 v104, 28, v95
	v_sub_nc_u32_e32 v95, 29, v95
	s_delay_alu instid0(VALU_DEP_1) | instskip(NEXT) | instid1(VALU_DEP_1)
	v_dual_cndmask_b32 v95, v105, v95 :: v_dual_lshlrev_b32 v104, v104, v90
	v_and_b32_e32 v104, 7, v104
	s_delay_alu instid0(VALU_DEP_2) | instskip(NEXT) | instid1(VALU_DEP_2)
	v_lshl_add_u32 v95, v95, 23, 0x3b800000
	v_cndmask_b32_e32 v94, v94, v104, vcc_lo
	v_and_b32_e32 v104, 0x80000000, v106
	s_delay_alu instid0(VALU_DEP_2) | instskip(NEXT) | instid1(VALU_DEP_1)
	v_lshlrev_b32_e32 v94, 20, v94
	v_or3_b32 v94, v104, v95, v94
.LBB6_7193:                             ;   in Loop: Header=BB6_5734 Depth=3
	s_or_b32 exec_lo, exec_lo, s17
	s_delay_alu instid0(VALU_DEP_1) | instskip(SKIP_1) | instid1(VALU_DEP_1)
	v_dual_max_f32 v94, v94, v94 :: v_dual_max_f32 v93, v93, v93
	s_mov_b32 s13, 0
	v_max_f32_e32 v93, v93, v94
	s_branch .LBB6_7195
.LBB6_7194:                             ;   in Loop: Header=BB6_5734 Depth=3
	s_mov_b32 s13, -1
                                        ; implicit-def: $vgpr93
.LBB6_7195:                             ;   in Loop: Header=BB6_5734 Depth=3
	s_delay_alu instid0(SALU_CYCLE_1)
	s_and_b32 vcc_lo, exec_lo, s13
	s_cbranch_vccz .LBB6_7205
; %bb.7196:                             ;   in Loop: Header=BB6_5734 Depth=3
	s_mov_b32 s13, 0
	s_mov_b32 s31, exec_lo
                                        ; implicit-def: $sgpr17
	v_cmpx_lt_i16_e32 0x7f, v92
	s_xor_b32 s31, exec_lo, s31
	s_cbranch_execnz .LBB6_8396
; %bb.7197:                             ;   in Loop: Header=BB6_5734 Depth=3
	s_or_saveexec_b32 s31, s31
	v_mov_b32_e32 v93, s17
	s_xor_b32 exec_lo, exec_lo, s31
	s_cbranch_execnz .LBB6_8399
.LBB6_7198:                             ;   in Loop: Header=BB6_5734 Depth=3
	s_or_b32 exec_lo, exec_lo, s31
	s_and_saveexec_b32 s17, s13
	s_cbranch_execz .LBB6_7200
.LBB6_7199:                             ;   in Loop: Header=BB6_5734 Depth=3
	v_bfe_u32 v92, v12, 16, 3
	v_bfe_u32 v95, v12, 19, 4
	s_delay_alu instid0(VALU_DEP_2) | instskip(NEXT) | instid1(VALU_DEP_2)
	v_clz_i32_u32_e32 v93, v92
	v_cmp_eq_u32_e32 vcc_lo, 0, v95
	s_delay_alu instid0(VALU_DEP_2) | instskip(NEXT) | instid1(VALU_DEP_1)
	v_min_u32_e32 v93, 32, v93
	v_subrev_nc_u32_e32 v94, 28, v93
	v_sub_nc_u32_e32 v93, 29, v93
	s_delay_alu instid0(VALU_DEP_1) | instskip(NEXT) | instid1(VALU_DEP_1)
	v_dual_cndmask_b32 v93, v95, v93 :: v_dual_lshlrev_b32 v94, v94, v91
	v_and_b32_e32 v94, 7, v94
	v_lshlrev_b32_e32 v91, 24, v91
	s_delay_alu instid0(VALU_DEP_3) | instskip(NEXT) | instid1(VALU_DEP_2)
	v_lshl_add_u32 v93, v93, 23, 0x3b800000
	v_dual_cndmask_b32 v92, v92, v94 :: v_dual_and_b32 v91, 0x80000000, v91
	s_delay_alu instid0(VALU_DEP_1) | instskip(NEXT) | instid1(VALU_DEP_1)
	v_lshlrev_b32_e32 v92, 20, v92
	v_or3_b32 v93, v91, v93, v92
.LBB6_7200:                             ;   in Loop: Header=BB6_5734 Depth=3
	s_or_b32 exec_lo, exec_lo, s17
	v_and_b32_e32 v92, 0xff, v90
	s_mov_b32 s13, 0
	s_mov_b32 s31, exec_lo
                                        ; implicit-def: $sgpr17
	s_delay_alu instid0(VALU_DEP_1)
	v_cmpx_lt_i16_e32 0x7f, v92
	s_xor_b32 s31, exec_lo, s31
	s_cbranch_execnz .LBB6_8400
; %bb.7201:                             ;   in Loop: Header=BB6_5734 Depth=3
	s_or_saveexec_b32 s31, s31
	v_mov_b32_e32 v91, s17
	s_xor_b32 exec_lo, exec_lo, s31
	s_cbranch_execnz .LBB6_8403
.LBB6_7202:                             ;   in Loop: Header=BB6_5734 Depth=3
	s_or_b32 exec_lo, exec_lo, s31
	s_and_saveexec_b32 s17, s13
	s_cbranch_execz .LBB6_7204
.LBB6_7203:                             ;   in Loop: Header=BB6_5734 Depth=3
	v_bfe_u32 v91, v8, 16, 3
	v_bfe_u32 v95, v8, 19, 4
	s_delay_alu instid0(VALU_DEP_2) | instskip(NEXT) | instid1(VALU_DEP_2)
	v_clz_i32_u32_e32 v92, v91
	v_cmp_eq_u32_e32 vcc_lo, 0, v95
	s_delay_alu instid0(VALU_DEP_2) | instskip(NEXT) | instid1(VALU_DEP_1)
	v_min_u32_e32 v92, 32, v92
	v_subrev_nc_u32_e32 v94, 28, v92
	v_sub_nc_u32_e32 v92, 29, v92
	s_delay_alu instid0(VALU_DEP_2) | instskip(SKIP_1) | instid1(VALU_DEP_2)
	v_lshlrev_b32_e32 v94, v94, v90
	v_lshlrev_b32_e32 v90, 24, v90
	v_and_b32_e32 v94, 7, v94
	s_delay_alu instid0(VALU_DEP_2) | instskip(NEXT) | instid1(VALU_DEP_2)
	v_and_b32_e32 v90, 0x80000000, v90
	v_cndmask_b32_e32 v91, v91, v94, vcc_lo
	s_delay_alu instid0(VALU_DEP_1) | instskip(NEXT) | instid1(VALU_DEP_1)
	v_dual_cndmask_b32 v92, v95, v92 :: v_dual_lshlrev_b32 v91, 20, v91
	v_lshl_add_u32 v92, v92, 23, 0x3b800000
	s_delay_alu instid0(VALU_DEP_1)
	v_or3_b32 v91, v90, v92, v91
.LBB6_7204:                             ;   in Loop: Header=BB6_5734 Depth=3
	s_or_b32 exec_lo, exec_lo, s17
	s_delay_alu instid0(VALU_DEP_1) | instskip(NEXT) | instid1(VALU_DEP_1)
	v_dual_max_f32 v90, v91, v91 :: v_dual_max_f32 v91, v93, v93
	v_min_f32_e32 v93, v91, v90
.LBB6_7205:                             ;   in Loop: Header=BB6_5734 Depth=3
	s_delay_alu instid0(VALU_DEP_1) | instskip(NEXT) | instid1(VALU_DEP_1)
	v_and_b32_e32 v90, 0x7f800000, v93
	v_cmp_ne_u32_e32 vcc_lo, 0x7f800000, v90
	v_mov_b32_e32 v90, 0x80
	s_and_saveexec_b32 s17, vcc_lo
	s_cbranch_execz .LBB6_7213
; %bb.7206:                             ;   in Loop: Header=BB6_5734 Depth=3
	v_mov_b32_e32 v90, 0
	s_mov_b32 s31, exec_lo
	v_cmpx_ne_u32_e32 0, v93
	s_cbranch_execz .LBB6_7212
; %bb.7207:                             ;   in Loop: Header=BB6_5734 Depth=3
	v_bfe_u32 v90, v93, 23, 8
	s_delay_alu instid0(VALU_DEP_1) | instskip(SKIP_1) | instid1(VALU_DEP_2)
	v_sub_nc_u32_e32 v92, 0x78, v90
	v_cmp_gt_u32_e32 vcc_lo, 0x79, v90
	v_dual_cndmask_b32 v92, 0, v92 :: v_dual_and_b32 v91, 0x7fffff, v93
	s_delay_alu instid0(VALU_DEP_1) | instskip(SKIP_2) | instid1(VALU_DEP_4)
	v_or_b32_e32 v94, 0x800000, v91
	v_cmp_eq_u32_e32 vcc_lo, 0, v90
	v_add_nc_u32_e32 v90, 0xffffff89, v90
	v_cndmask_b32_e64 v92, v92, 0x77, vcc_lo
	s_delay_alu instid0(VALU_DEP_4) | instskip(NEXT) | instid1(VALU_DEP_3)
	v_cndmask_b32_e32 v91, v94, v91, vcc_lo
	v_cndmask_b32_e64 v90, v90, 0xffffff8a, vcc_lo
	s_delay_alu instid0(VALU_DEP_3) | instskip(NEXT) | instid1(VALU_DEP_3)
	v_lshl_add_u32 v94, 0x100000, v92, -1
	v_lshrrev_b32_e32 v95, v92, v91
	v_lshlrev_b32_e64 v105, v92, 0x80000
	s_delay_alu instid0(VALU_DEP_4) | instskip(NEXT) | instid1(VALU_DEP_4)
	v_add_nc_u32_e32 v92, v92, v90
	v_and_b32_e32 v91, v94, v91
	s_delay_alu instid0(VALU_DEP_4) | instskip(NEXT) | instid1(VALU_DEP_2)
	v_bfe_u32 v104, v95, 20, 1
	v_cmp_eq_u32_e64 s13, v91, v105
	s_delay_alu instid0(VALU_DEP_2) | instskip(NEXT) | instid1(VALU_DEP_1)
	v_add_nc_u32_e32 v94, -1, v104
	v_cndmask_b32_e64 v91, 0, v94, s13
	v_lshrrev_b32_e32 v94, 23, v95
	s_mov_b32 s13, exec_lo
	s_delay_alu instid0(VALU_DEP_2) | instskip(NEXT) | instid1(VALU_DEP_2)
	v_add_nc_u32_e32 v91, v91, v95
	v_xor_b32_e32 v94, 1, v94
	s_delay_alu instid0(VALU_DEP_2) | instskip(NEXT) | instid1(VALU_DEP_1)
	v_and_b32_e32 v90, 0xfffff, v91
	v_add_nc_u32_e32 v91, v90, v95
                                        ; implicit-def: $vgpr90
	s_delay_alu instid0(VALU_DEP_3)
	v_cmpx_ne_u32_e64 v92, v94
	s_xor_b32 s13, exec_lo, s13
; %bb.7208:                             ;   in Loop: Header=BB6_5734 Depth=3
	s_delay_alu instid0(VALU_DEP_2) | instskip(SKIP_2) | instid1(VALU_DEP_2)
	v_cmp_lt_u32_e32 vcc_lo, 0xffffff, v91
	v_sub_nc_u32_e32 v90, v92, v94
	v_cndmask_b32_e64 v92, 0, 1, vcc_lo
	v_add_co_ci_u32_e32 v90, vcc_lo, 0, v90, vcc_lo
	s_delay_alu instid0(VALU_DEP_2)
	v_lshrrev_b32_e32 v91, v92, v91
; %bb.7209:                             ;   in Loop: Header=BB6_5734 Depth=3
	s_and_not1_saveexec_b32 s13, s13
; %bb.7210:                             ;   in Loop: Header=BB6_5734 Depth=3
	s_delay_alu instid0(VALU_DEP_1)
	v_bfe_u32 v90, v91, 23, 1
; %bb.7211:                             ;   in Loop: Header=BB6_5734 Depth=3
	s_or_b32 exec_lo, exec_lo, s13
	v_lshrrev_b32_e32 v91, 20, v91
	s_delay_alu instid0(VALU_DEP_2) | instskip(SKIP_2) | instid1(VALU_DEP_2)
	v_cmp_gt_i32_e32 vcc_lo, 16, v90
	v_lshrrev_b32_e32 v92, 24, v93
	v_min_i32_e32 v93, 15, v90
	v_dual_cndmask_b32 v91, 7, v91 :: v_dual_and_b32 v92, 0x80, v92
	s_delay_alu instid0(VALU_DEP_1) | instskip(SKIP_1) | instid1(VALU_DEP_2)
	v_or_b32_e32 v90, v90, v91
	v_and_b32_e32 v94, 7, v91
	v_cmp_ne_u32_e32 vcc_lo, 0, v90
	v_lshlrev_b32_e32 v93, 3, v93
	s_delay_alu instid0(VALU_DEP_1) | instskip(NEXT) | instid1(VALU_DEP_1)
	v_or3_b32 v91, v93, v92, v94
	v_cndmask_b32_e32 v90, 0, v91, vcc_lo
.LBB6_7212:                             ;   in Loop: Header=BB6_5734 Depth=3
	s_or_b32 exec_lo, exec_lo, s31
.LBB6_7213:                             ;   in Loop: Header=BB6_5734 Depth=3
	s_delay_alu instid0(SALU_CYCLE_1) | instskip(SKIP_3) | instid1(VALU_DEP_2)
	s_or_b32 exec_lo, exec_lo, s17
	v_lshrrev_b32_e32 v92, 24, v12
	v_lshrrev_b32_e32 v91, 24, v8
	s_and_not1_b32 vcc_lo, exec_lo, s16
	v_cmp_lt_i16_e64 s13, 0x7f, v92
	s_cbranch_vccnz .LBB6_7223
; %bb.7214:                             ;   in Loop: Header=BB6_5734 Depth=3
	s_mov_b32 s17, 0
                                        ; implicit-def: $sgpr31
	s_delay_alu instid0(VALU_DEP_1) | instskip(NEXT) | instid1(SALU_CYCLE_1)
	s_and_saveexec_b32 vcc_lo, s13
	s_xor_b32 s13, exec_lo, vcc_lo
	s_cbranch_execnz .LBB6_8404
; %bb.7215:                             ;   in Loop: Header=BB6_5734 Depth=3
	s_or_saveexec_b32 s13, s13
	v_mov_b32_e32 v93, s31
	s_xor_b32 exec_lo, exec_lo, s13
	s_cbranch_execnz .LBB6_8407
.LBB6_7216:                             ;   in Loop: Header=BB6_5734 Depth=3
	s_or_b32 exec_lo, exec_lo, s13
	s_and_saveexec_b32 s13, s17
	s_cbranch_execz .LBB6_7218
.LBB6_7217:                             ;   in Loop: Header=BB6_5734 Depth=3
	v_bfe_u32 v93, v12, 24, 3
	v_bfe_u32 v104, v12, 27, 4
	s_delay_alu instid0(VALU_DEP_2) | instskip(NEXT) | instid1(VALU_DEP_2)
	v_clz_i32_u32_e32 v94, v93
	v_cmp_eq_u32_e32 vcc_lo, 0, v104
	s_delay_alu instid0(VALU_DEP_2) | instskip(NEXT) | instid1(VALU_DEP_1)
	v_min_u32_e32 v94, 32, v94
	v_subrev_nc_u32_e32 v95, 28, v94
	v_sub_nc_u32_e32 v94, 29, v94
	s_delay_alu instid0(VALU_DEP_1) | instskip(NEXT) | instid1(VALU_DEP_1)
	v_dual_cndmask_b32 v94, v104, v94 :: v_dual_lshlrev_b32 v95, v95, v92
	v_and_b32_e32 v95, 7, v95
	s_delay_alu instid0(VALU_DEP_2) | instskip(NEXT) | instid1(VALU_DEP_2)
	v_lshl_add_u32 v94, v94, 23, 0x3b800000
	v_cndmask_b32_e32 v93, v93, v95, vcc_lo
	v_and_b32_e32 v95, 0x80000000, v12
	s_delay_alu instid0(VALU_DEP_2) | instskip(NEXT) | instid1(VALU_DEP_1)
	v_lshlrev_b32_e32 v93, 20, v93
	v_or3_b32 v93, v95, v94, v93
.LBB6_7218:                             ;   in Loop: Header=BB6_5734 Depth=3
	s_or_b32 exec_lo, exec_lo, s13
	s_mov_b32 s13, 0
	s_mov_b32 s31, exec_lo
                                        ; implicit-def: $sgpr17
	v_cmpx_lt_i16_e32 0x7f, v91
	s_xor_b32 s31, exec_lo, s31
	s_cbranch_execnz .LBB6_8408
; %bb.7219:                             ;   in Loop: Header=BB6_5734 Depth=3
	s_or_saveexec_b32 s31, s31
	v_mov_b32_e32 v94, s17
	s_xor_b32 exec_lo, exec_lo, s31
	s_cbranch_execnz .LBB6_8411
.LBB6_7220:                             ;   in Loop: Header=BB6_5734 Depth=3
	s_or_b32 exec_lo, exec_lo, s31
	s_and_saveexec_b32 s17, s13
	s_cbranch_execz .LBB6_7222
.LBB6_7221:                             ;   in Loop: Header=BB6_5734 Depth=3
	v_bfe_u32 v94, v8, 24, 3
	v_bfe_u32 v105, v8, 27, 4
	s_delay_alu instid0(VALU_DEP_2) | instskip(NEXT) | instid1(VALU_DEP_2)
	v_clz_i32_u32_e32 v95, v94
	v_cmp_eq_u32_e32 vcc_lo, 0, v105
	s_delay_alu instid0(VALU_DEP_2) | instskip(NEXT) | instid1(VALU_DEP_1)
	v_min_u32_e32 v95, 32, v95
	v_subrev_nc_u32_e32 v104, 28, v95
	v_sub_nc_u32_e32 v95, 29, v95
	s_delay_alu instid0(VALU_DEP_2) | instskip(NEXT) | instid1(VALU_DEP_1)
	v_lshlrev_b32_e32 v104, v104, v91
	v_dual_cndmask_b32 v95, v105, v95 :: v_dual_and_b32 v104, 7, v104
	s_delay_alu instid0(VALU_DEP_1) | instskip(NEXT) | instid1(VALU_DEP_2)
	v_lshl_add_u32 v95, v95, 23, 0x3b800000
	v_cndmask_b32_e32 v94, v94, v104, vcc_lo
	v_and_b32_e32 v104, 0x80000000, v8
	s_delay_alu instid0(VALU_DEP_2) | instskip(NEXT) | instid1(VALU_DEP_1)
	v_lshlrev_b32_e32 v94, 20, v94
	v_or3_b32 v94, v104, v95, v94
.LBB6_7222:                             ;   in Loop: Header=BB6_5734 Depth=3
	s_or_b32 exec_lo, exec_lo, s17
	s_delay_alu instid0(VALU_DEP_1) | instskip(SKIP_1) | instid1(VALU_DEP_1)
	v_dual_max_f32 v94, v94, v94 :: v_dual_max_f32 v93, v93, v93
	s_mov_b32 s13, 0
	v_max_f32_e32 v93, v93, v94
	s_branch .LBB6_7224
.LBB6_7223:                             ;   in Loop: Header=BB6_5734 Depth=3
	s_mov_b32 s13, -1
                                        ; implicit-def: $vgpr93
.LBB6_7224:                             ;   in Loop: Header=BB6_5734 Depth=3
	s_delay_alu instid0(SALU_CYCLE_1)
	s_and_b32 vcc_lo, exec_lo, s13
	s_cbranch_vccz .LBB6_7234
; %bb.7225:                             ;   in Loop: Header=BB6_5734 Depth=3
	s_mov_b32 s13, 0
	s_mov_b32 s31, exec_lo
                                        ; implicit-def: $sgpr17
	v_cmpx_lt_i16_e32 0x7f, v92
	s_xor_b32 s31, exec_lo, s31
	s_cbranch_execnz .LBB6_8412
; %bb.7226:                             ;   in Loop: Header=BB6_5734 Depth=3
	s_or_saveexec_b32 s31, s31
	v_mov_b32_e32 v93, s17
	s_xor_b32 exec_lo, exec_lo, s31
	s_cbranch_execnz .LBB6_8415
.LBB6_7227:                             ;   in Loop: Header=BB6_5734 Depth=3
	s_or_b32 exec_lo, exec_lo, s31
	s_and_saveexec_b32 s17, s13
	s_cbranch_execz .LBB6_7229
.LBB6_7228:                             ;   in Loop: Header=BB6_5734 Depth=3
	v_bfe_u32 v93, v12, 24, 3
	s_delay_alu instid0(VALU_DEP_1) | instskip(NEXT) | instid1(VALU_DEP_1)
	v_clz_i32_u32_e32 v94, v93
	v_min_u32_e32 v94, 32, v94
	s_delay_alu instid0(VALU_DEP_1) | instskip(SKIP_1) | instid1(VALU_DEP_2)
	v_subrev_nc_u32_e32 v95, 28, v94
	v_sub_nc_u32_e32 v94, 29, v94
	v_lshlrev_b32_e32 v92, v95, v92
	v_bfe_u32 v95, v12, 27, 4
	v_and_b32_e32 v12, 0x80000000, v12
	s_delay_alu instid0(VALU_DEP_3) | instskip(NEXT) | instid1(VALU_DEP_3)
	v_and_b32_e32 v92, 7, v92
	v_cmp_eq_u32_e32 vcc_lo, 0, v95
	v_cndmask_b32_e32 v94, v95, v94, vcc_lo
	s_delay_alu instid0(VALU_DEP_3) | instskip(NEXT) | instid1(VALU_DEP_2)
	v_cndmask_b32_e32 v92, v93, v92, vcc_lo
	v_lshl_add_u32 v93, v94, 23, 0x3b800000
	s_delay_alu instid0(VALU_DEP_2) | instskip(NEXT) | instid1(VALU_DEP_1)
	v_lshlrev_b32_e32 v92, 20, v92
	v_or3_b32 v93, v12, v93, v92
.LBB6_7229:                             ;   in Loop: Header=BB6_5734 Depth=3
	s_or_b32 exec_lo, exec_lo, s17
	s_mov_b32 s13, 0
	s_mov_b32 s31, exec_lo
                                        ; implicit-def: $sgpr17
	v_cmpx_lt_i16_e32 0x7f, v91
	s_xor_b32 s31, exec_lo, s31
	s_cbranch_execnz .LBB6_8416
; %bb.7230:                             ;   in Loop: Header=BB6_5734 Depth=3
	s_or_saveexec_b32 s31, s31
	v_mov_b32_e32 v12, s17
	s_xor_b32 exec_lo, exec_lo, s31
	s_cbranch_execnz .LBB6_8419
.LBB6_7231:                             ;   in Loop: Header=BB6_5734 Depth=3
	s_or_b32 exec_lo, exec_lo, s31
	s_and_saveexec_b32 s17, s13
	s_cbranch_execz .LBB6_7233
.LBB6_7232:                             ;   in Loop: Header=BB6_5734 Depth=3
	v_bfe_u32 v12, v8, 24, 3
	s_delay_alu instid0(VALU_DEP_1) | instskip(NEXT) | instid1(VALU_DEP_1)
	v_clz_i32_u32_e32 v92, v12
	v_min_u32_e32 v92, 32, v92
	s_delay_alu instid0(VALU_DEP_1) | instskip(SKIP_1) | instid1(VALU_DEP_2)
	v_subrev_nc_u32_e32 v94, 28, v92
	v_sub_nc_u32_e32 v92, 29, v92
	v_lshlrev_b32_e32 v91, v94, v91
	v_bfe_u32 v94, v8, 27, 4
	v_and_b32_e32 v8, 0x80000000, v8
	s_delay_alu instid0(VALU_DEP_2) | instskip(NEXT) | instid1(VALU_DEP_4)
	v_cmp_eq_u32_e32 vcc_lo, 0, v94
	v_dual_cndmask_b32 v92, v94, v92 :: v_dual_and_b32 v91, 7, v91
	s_delay_alu instid0(VALU_DEP_1) | instskip(NEXT) | instid1(VALU_DEP_2)
	v_cndmask_b32_e32 v12, v12, v91, vcc_lo
	v_lshl_add_u32 v91, v92, 23, 0x3b800000
	s_delay_alu instid0(VALU_DEP_2) | instskip(NEXT) | instid1(VALU_DEP_1)
	v_lshlrev_b32_e32 v12, 20, v12
	v_or3_b32 v12, v8, v91, v12
.LBB6_7233:                             ;   in Loop: Header=BB6_5734 Depth=3
	s_or_b32 exec_lo, exec_lo, s17
	s_delay_alu instid0(VALU_DEP_1) | instskip(SKIP_1) | instid1(VALU_DEP_1)
	v_max_f32_e32 v8, v12, v12
	v_max_f32_e32 v12, v93, v93
	v_min_f32_e32 v93, v12, v8
.LBB6_7234:                             ;   in Loop: Header=BB6_5734 Depth=3
	s_delay_alu instid0(VALU_DEP_1) | instskip(NEXT) | instid1(VALU_DEP_1)
	v_and_b32_e32 v8, 0x7f800000, v93
	v_cmp_ne_u32_e32 vcc_lo, 0x7f800000, v8
	v_mov_b32_e32 v8, 0x80
	s_and_saveexec_b32 s17, vcc_lo
	s_cbranch_execz .LBB6_7242
; %bb.7235:                             ;   in Loop: Header=BB6_5734 Depth=3
	v_mov_b32_e32 v8, 0
	s_mov_b32 s31, exec_lo
	v_cmpx_ne_u32_e32 0, v93
	s_cbranch_execz .LBB6_7241
; %bb.7236:                             ;   in Loop: Header=BB6_5734 Depth=3
	v_bfe_u32 v8, v93, 23, 8
	s_delay_alu instid0(VALU_DEP_1) | instskip(SKIP_1) | instid1(VALU_DEP_2)
	v_sub_nc_u32_e32 v91, 0x78, v8
	v_cmp_gt_u32_e32 vcc_lo, 0x79, v8
	v_dual_cndmask_b32 v91, 0, v91 :: v_dual_and_b32 v12, 0x7fffff, v93
	s_delay_alu instid0(VALU_DEP_1) | instskip(SKIP_2) | instid1(VALU_DEP_4)
	v_or_b32_e32 v92, 0x800000, v12
	v_cmp_eq_u32_e32 vcc_lo, 0, v8
	v_add_nc_u32_e32 v8, 0xffffff89, v8
	v_cndmask_b32_e64 v91, v91, 0x77, vcc_lo
	s_delay_alu instid0(VALU_DEP_4) | instskip(NEXT) | instid1(VALU_DEP_3)
	v_cndmask_b32_e32 v12, v92, v12, vcc_lo
	v_cndmask_b32_e64 v8, v8, 0xffffff8a, vcc_lo
	s_delay_alu instid0(VALU_DEP_3) | instskip(NEXT) | instid1(VALU_DEP_3)
	v_lshl_add_u32 v92, 0x100000, v91, -1
	v_lshrrev_b32_e32 v94, v91, v12
	v_lshlrev_b32_e64 v104, v91, 0x80000
	s_delay_alu instid0(VALU_DEP_4) | instskip(NEXT) | instid1(VALU_DEP_4)
	v_add_nc_u32_e32 v91, v91, v8
	v_and_b32_e32 v12, v92, v12
	s_delay_alu instid0(VALU_DEP_4) | instskip(NEXT) | instid1(VALU_DEP_2)
	v_bfe_u32 v95, v94, 20, 1
	v_cmp_eq_u32_e64 s13, v12, v104
	s_delay_alu instid0(VALU_DEP_2) | instskip(NEXT) | instid1(VALU_DEP_1)
	v_add_nc_u32_e32 v92, -1, v95
	v_cndmask_b32_e64 v12, 0, v92, s13
	v_lshrrev_b32_e32 v92, 23, v94
	s_mov_b32 s13, exec_lo
	s_delay_alu instid0(VALU_DEP_2) | instskip(NEXT) | instid1(VALU_DEP_2)
	v_add_nc_u32_e32 v12, v12, v94
	v_xor_b32_e32 v92, 1, v92
	s_delay_alu instid0(VALU_DEP_2) | instskip(NEXT) | instid1(VALU_DEP_1)
	v_and_b32_e32 v8, 0xfffff, v12
	v_add_nc_u32_e32 v12, v8, v94
                                        ; implicit-def: $vgpr8
	s_delay_alu instid0(VALU_DEP_3)
	v_cmpx_ne_u32_e64 v91, v92
	s_xor_b32 s13, exec_lo, s13
; %bb.7237:                             ;   in Loop: Header=BB6_5734 Depth=3
	s_delay_alu instid0(VALU_DEP_2) | instskip(SKIP_2) | instid1(VALU_DEP_2)
	v_cmp_lt_u32_e32 vcc_lo, 0xffffff, v12
	v_sub_nc_u32_e32 v8, v91, v92
	v_cndmask_b32_e64 v91, 0, 1, vcc_lo
	v_add_co_ci_u32_e32 v8, vcc_lo, 0, v8, vcc_lo
	s_delay_alu instid0(VALU_DEP_2)
	v_lshrrev_b32_e32 v12, v91, v12
; %bb.7238:                             ;   in Loop: Header=BB6_5734 Depth=3
	s_and_not1_saveexec_b32 s13, s13
; %bb.7239:                             ;   in Loop: Header=BB6_5734 Depth=3
	s_delay_alu instid0(VALU_DEP_1)
	v_bfe_u32 v8, v12, 23, 1
; %bb.7240:                             ;   in Loop: Header=BB6_5734 Depth=3
	s_or_b32 exec_lo, exec_lo, s13
	v_lshrrev_b32_e32 v12, 20, v12
	s_delay_alu instid0(VALU_DEP_2) | instskip(SKIP_2) | instid1(VALU_DEP_2)
	v_cmp_gt_i32_e32 vcc_lo, 16, v8
	v_lshrrev_b32_e32 v91, 24, v93
	v_min_i32_e32 v92, 15, v8
	v_dual_cndmask_b32 v12, 7, v12 :: v_dual_and_b32 v91, 0x80, v91
	s_delay_alu instid0(VALU_DEP_2) | instskip(NEXT) | instid1(VALU_DEP_2)
	v_lshlrev_b32_e32 v92, 3, v92
	v_and_b32_e32 v93, 7, v12
	v_or_b32_e32 v8, v8, v12
	s_delay_alu instid0(VALU_DEP_2) | instskip(NEXT) | instid1(VALU_DEP_2)
	v_or3_b32 v12, v92, v91, v93
	v_cmp_ne_u32_e32 vcc_lo, 0, v8
	s_delay_alu instid0(VALU_DEP_2)
	v_cndmask_b32_e32 v8, 0, v12, vcc_lo
.LBB6_7241:                             ;   in Loop: Header=BB6_5734 Depth=3
	s_or_b32 exec_lo, exec_lo, s31
.LBB6_7242:                             ;   in Loop: Header=BB6_5734 Depth=3
	s_delay_alu instid0(SALU_CYCLE_1) | instskip(SKIP_2) | instid1(VALU_DEP_1)
	s_or_b32 exec_lo, exec_lo, s17
	v_and_b32_e32 v12, 0xff, v13
	s_and_not1_b32 vcc_lo, exec_lo, s16
	v_cmp_lt_i16_e64 s13, 0x7f, v12
	s_cbranch_vccnz .LBB6_7252
; %bb.7243:                             ;   in Loop: Header=BB6_5734 Depth=3
	s_mov_b32 s17, 0
                                        ; implicit-def: $sgpr31
	s_delay_alu instid0(VALU_DEP_1) | instskip(NEXT) | instid1(SALU_CYCLE_1)
	s_and_saveexec_b32 vcc_lo, s13
	s_xor_b32 s13, exec_lo, vcc_lo
	s_cbranch_execnz .LBB6_8420
; %bb.7244:                             ;   in Loop: Header=BB6_5734 Depth=3
	s_or_saveexec_b32 s13, s13
	v_mov_b32_e32 v91, s31
	s_xor_b32 exec_lo, exec_lo, s13
	s_cbranch_execnz .LBB6_8423
.LBB6_7245:                             ;   in Loop: Header=BB6_5734 Depth=3
	s_or_b32 exec_lo, exec_lo, s13
	s_and_saveexec_b32 s13, s17
	s_cbranch_execz .LBB6_7247
.LBB6_7246:                             ;   in Loop: Header=BB6_5734 Depth=3
	v_bfe_u32 v94, v13, 3, 4
	v_lshlrev_b32_e32 v95, 24, v13
	s_delay_alu instid0(VALU_DEP_2) | instskip(SKIP_1) | instid1(VALU_DEP_1)
	v_cmp_eq_u32_e32 vcc_lo, 0, v94
	v_and_b32_e32 v91, 7, v13
	v_clz_i32_u32_e32 v92, v91
	s_delay_alu instid0(VALU_DEP_1) | instskip(NEXT) | instid1(VALU_DEP_1)
	v_min_u32_e32 v92, 32, v92
	v_subrev_nc_u32_e32 v93, 28, v92
	v_sub_nc_u32_e32 v92, 29, v92
	s_delay_alu instid0(VALU_DEP_1) | instskip(NEXT) | instid1(VALU_DEP_1)
	v_dual_cndmask_b32 v92, v94, v92 :: v_dual_lshlrev_b32 v93, v93, v13
	v_and_b32_e32 v93, 7, v93
	s_delay_alu instid0(VALU_DEP_2) | instskip(NEXT) | instid1(VALU_DEP_2)
	v_lshl_add_u32 v92, v92, 23, 0x3b800000
	v_cndmask_b32_e32 v91, v91, v93, vcc_lo
	v_and_b32_e32 v93, 0x80000000, v95
	s_delay_alu instid0(VALU_DEP_2) | instskip(NEXT) | instid1(VALU_DEP_1)
	v_lshlrev_b32_e32 v91, 20, v91
	v_or3_b32 v91, v93, v92, v91
.LBB6_7247:                             ;   in Loop: Header=BB6_5734 Depth=3
	s_or_b32 exec_lo, exec_lo, s13
	v_and_b32_e32 v93, 0xff, v9
	s_mov_b32 s13, 0
	s_mov_b32 s31, exec_lo
                                        ; implicit-def: $sgpr17
	s_delay_alu instid0(VALU_DEP_1)
	v_cmpx_lt_i16_e32 0x7f, v93
	s_xor_b32 s31, exec_lo, s31
	s_cbranch_execnz .LBB6_8424
; %bb.7248:                             ;   in Loop: Header=BB6_5734 Depth=3
	s_or_saveexec_b32 s31, s31
	v_mov_b32_e32 v92, s17
	s_xor_b32 exec_lo, exec_lo, s31
	s_cbranch_execnz .LBB6_8427
.LBB6_7249:                             ;   in Loop: Header=BB6_5734 Depth=3
	s_or_b32 exec_lo, exec_lo, s31
	s_and_saveexec_b32 s17, s13
	s_cbranch_execz .LBB6_7251
.LBB6_7250:                             ;   in Loop: Header=BB6_5734 Depth=3
	v_and_b32_e32 v92, 7, v9
	v_bfe_u32 v95, v9, 3, 4
	v_lshlrev_b32_e32 v104, 24, v9
	s_delay_alu instid0(VALU_DEP_3) | instskip(NEXT) | instid1(VALU_DEP_3)
	v_clz_i32_u32_e32 v93, v92
	v_cmp_eq_u32_e32 vcc_lo, 0, v95
	s_delay_alu instid0(VALU_DEP_2) | instskip(NEXT) | instid1(VALU_DEP_1)
	v_min_u32_e32 v93, 32, v93
	v_subrev_nc_u32_e32 v94, 28, v93
	v_sub_nc_u32_e32 v93, 29, v93
	s_delay_alu instid0(VALU_DEP_2) | instskip(NEXT) | instid1(VALU_DEP_1)
	v_lshlrev_b32_e32 v94, v94, v9
	v_dual_cndmask_b32 v93, v95, v93 :: v_dual_and_b32 v94, 7, v94
	s_delay_alu instid0(VALU_DEP_1) | instskip(NEXT) | instid1(VALU_DEP_2)
	v_lshl_add_u32 v93, v93, 23, 0x3b800000
	v_cndmask_b32_e32 v92, v92, v94, vcc_lo
	v_and_b32_e32 v94, 0x80000000, v104
	s_delay_alu instid0(VALU_DEP_2) | instskip(NEXT) | instid1(VALU_DEP_1)
	v_lshlrev_b32_e32 v92, 20, v92
	v_or3_b32 v92, v94, v93, v92
.LBB6_7251:                             ;   in Loop: Header=BB6_5734 Depth=3
	s_or_b32 exec_lo, exec_lo, s17
	s_delay_alu instid0(VALU_DEP_1) | instskip(SKIP_1) | instid1(VALU_DEP_1)
	v_dual_max_f32 v92, v92, v92 :: v_dual_max_f32 v91, v91, v91
	s_mov_b32 s13, 0
	v_max_f32_e32 v91, v91, v92
	s_branch .LBB6_7253
.LBB6_7252:                             ;   in Loop: Header=BB6_5734 Depth=3
	s_mov_b32 s13, -1
                                        ; implicit-def: $vgpr91
.LBB6_7253:                             ;   in Loop: Header=BB6_5734 Depth=3
	s_delay_alu instid0(SALU_CYCLE_1)
	s_and_b32 vcc_lo, exec_lo, s13
	s_cbranch_vccz .LBB6_7263
; %bb.7254:                             ;   in Loop: Header=BB6_5734 Depth=3
	s_mov_b32 s13, 0
	s_mov_b32 s31, exec_lo
                                        ; implicit-def: $sgpr17
	v_cmpx_lt_i16_e32 0x7f, v12
	s_xor_b32 s31, exec_lo, s31
	s_cbranch_execnz .LBB6_8428
; %bb.7255:                             ;   in Loop: Header=BB6_5734 Depth=3
	s_or_saveexec_b32 s31, s31
	v_mov_b32_e32 v91, s17
	s_xor_b32 exec_lo, exec_lo, s31
	s_cbranch_execnz .LBB6_8431
.LBB6_7256:                             ;   in Loop: Header=BB6_5734 Depth=3
	s_or_b32 exec_lo, exec_lo, s31
	s_and_saveexec_b32 s17, s13
	s_cbranch_execz .LBB6_7258
.LBB6_7257:                             ;   in Loop: Header=BB6_5734 Depth=3
	v_bfe_u32 v93, v13, 3, 4
	v_lshlrev_b32_e32 v94, 24, v13
	s_delay_alu instid0(VALU_DEP_2) | instskip(SKIP_1) | instid1(VALU_DEP_1)
	v_cmp_eq_u32_e32 vcc_lo, 0, v93
	v_and_b32_e32 v12, 7, v13
	v_clz_i32_u32_e32 v91, v12
	s_delay_alu instid0(VALU_DEP_1) | instskip(NEXT) | instid1(VALU_DEP_1)
	v_min_u32_e32 v91, 32, v91
	v_subrev_nc_u32_e32 v92, 28, v91
	v_sub_nc_u32_e32 v91, 29, v91
	s_delay_alu instid0(VALU_DEP_1) | instskip(NEXT) | instid1(VALU_DEP_1)
	v_dual_cndmask_b32 v91, v93, v91 :: v_dual_lshlrev_b32 v92, v92, v13
	v_and_b32_e32 v92, 7, v92
	s_delay_alu instid0(VALU_DEP_2) | instskip(NEXT) | instid1(VALU_DEP_2)
	v_lshl_add_u32 v91, v91, 23, 0x3b800000
	v_cndmask_b32_e32 v12, v12, v92, vcc_lo
	v_and_b32_e32 v92, 0x80000000, v94
	s_delay_alu instid0(VALU_DEP_2) | instskip(NEXT) | instid1(VALU_DEP_1)
	v_lshlrev_b32_e32 v12, 20, v12
	v_or3_b32 v91, v92, v91, v12
.LBB6_7258:                             ;   in Loop: Header=BB6_5734 Depth=3
	s_or_b32 exec_lo, exec_lo, s17
	v_and_b32_e32 v92, 0xff, v9
	s_mov_b32 s13, 0
	s_mov_b32 s31, exec_lo
                                        ; implicit-def: $sgpr17
	s_delay_alu instid0(VALU_DEP_1)
	v_cmpx_lt_i16_e32 0x7f, v92
	s_xor_b32 s31, exec_lo, s31
	s_cbranch_execnz .LBB6_8432
; %bb.7259:                             ;   in Loop: Header=BB6_5734 Depth=3
	s_or_saveexec_b32 s31, s31
	v_mov_b32_e32 v12, s17
	s_xor_b32 exec_lo, exec_lo, s31
	s_cbranch_execnz .LBB6_8435
.LBB6_7260:                             ;   in Loop: Header=BB6_5734 Depth=3
	s_or_b32 exec_lo, exec_lo, s31
	s_and_saveexec_b32 s17, s13
	s_cbranch_execz .LBB6_7262
.LBB6_7261:                             ;   in Loop: Header=BB6_5734 Depth=3
	v_and_b32_e32 v12, 7, v9
	v_bfe_u32 v94, v9, 3, 4
	v_lshlrev_b32_e32 v95, 24, v9
	s_delay_alu instid0(VALU_DEP_3) | instskip(NEXT) | instid1(VALU_DEP_3)
	v_clz_i32_u32_e32 v92, v12
	v_cmp_eq_u32_e32 vcc_lo, 0, v94
	s_delay_alu instid0(VALU_DEP_2) | instskip(NEXT) | instid1(VALU_DEP_1)
	v_min_u32_e32 v92, 32, v92
	v_subrev_nc_u32_e32 v93, 28, v92
	v_sub_nc_u32_e32 v92, 29, v92
	s_delay_alu instid0(VALU_DEP_1) | instskip(NEXT) | instid1(VALU_DEP_1)
	v_dual_cndmask_b32 v92, v94, v92 :: v_dual_lshlrev_b32 v93, v93, v9
	v_and_b32_e32 v93, 7, v93
	s_delay_alu instid0(VALU_DEP_2) | instskip(NEXT) | instid1(VALU_DEP_2)
	v_lshl_add_u32 v92, v92, 23, 0x3b800000
	v_dual_cndmask_b32 v12, v12, v93 :: v_dual_and_b32 v93, 0x80000000, v95
	s_delay_alu instid0(VALU_DEP_1) | instskip(NEXT) | instid1(VALU_DEP_1)
	v_lshlrev_b32_e32 v12, 20, v12
	v_or3_b32 v12, v93, v92, v12
.LBB6_7262:                             ;   in Loop: Header=BB6_5734 Depth=3
	s_or_b32 exec_lo, exec_lo, s17
	s_delay_alu instid0(VALU_DEP_1) | instskip(NEXT) | instid1(VALU_DEP_1)
	v_dual_max_f32 v12, v12, v12 :: v_dual_max_f32 v91, v91, v91
	v_min_f32_e32 v91, v91, v12
.LBB6_7263:                             ;   in Loop: Header=BB6_5734 Depth=3
	s_delay_alu instid0(VALU_DEP_1) | instskip(NEXT) | instid1(VALU_DEP_1)
	v_and_b32_e32 v12, 0x7f800000, v91
	v_cmp_ne_u32_e32 vcc_lo, 0x7f800000, v12
	v_mov_b32_e32 v12, 0x80
	s_and_saveexec_b32 s17, vcc_lo
	s_cbranch_execz .LBB6_7271
; %bb.7264:                             ;   in Loop: Header=BB6_5734 Depth=3
	v_mov_b32_e32 v12, 0
	s_mov_b32 s31, exec_lo
	v_cmpx_ne_u32_e32 0, v91
	s_cbranch_execz .LBB6_7270
; %bb.7265:                             ;   in Loop: Header=BB6_5734 Depth=3
	v_bfe_u32 v12, v91, 23, 8
	s_delay_alu instid0(VALU_DEP_1) | instskip(SKIP_1) | instid1(VALU_DEP_2)
	v_sub_nc_u32_e32 v93, 0x78, v12
	v_cmp_gt_u32_e32 vcc_lo, 0x79, v12
	v_dual_cndmask_b32 v93, 0, v93 :: v_dual_and_b32 v92, 0x7fffff, v91
	s_delay_alu instid0(VALU_DEP_1) | instskip(SKIP_2) | instid1(VALU_DEP_4)
	v_or_b32_e32 v94, 0x800000, v92
	v_cmp_eq_u32_e32 vcc_lo, 0, v12
	v_add_nc_u32_e32 v12, 0xffffff89, v12
	v_cndmask_b32_e64 v93, v93, 0x77, vcc_lo
	s_delay_alu instid0(VALU_DEP_4) | instskip(NEXT) | instid1(VALU_DEP_3)
	v_cndmask_b32_e32 v92, v94, v92, vcc_lo
	v_cndmask_b32_e64 v12, v12, 0xffffff8a, vcc_lo
	s_delay_alu instid0(VALU_DEP_3) | instskip(NEXT) | instid1(VALU_DEP_3)
	v_lshl_add_u32 v94, 0x100000, v93, -1
	v_lshrrev_b32_e32 v95, v93, v92
	v_lshlrev_b32_e64 v105, v93, 0x80000
	s_delay_alu instid0(VALU_DEP_4) | instskip(NEXT) | instid1(VALU_DEP_4)
	v_add_nc_u32_e32 v93, v93, v12
	v_and_b32_e32 v92, v94, v92
	s_delay_alu instid0(VALU_DEP_4) | instskip(NEXT) | instid1(VALU_DEP_2)
	v_bfe_u32 v104, v95, 20, 1
	v_cmp_eq_u32_e64 s13, v92, v105
	s_delay_alu instid0(VALU_DEP_2) | instskip(NEXT) | instid1(VALU_DEP_1)
	v_add_nc_u32_e32 v94, -1, v104
	v_cndmask_b32_e64 v92, 0, v94, s13
	v_lshrrev_b32_e32 v94, 23, v95
	s_mov_b32 s13, exec_lo
	s_delay_alu instid0(VALU_DEP_2) | instskip(NEXT) | instid1(VALU_DEP_2)
	v_add_nc_u32_e32 v92, v92, v95
	v_xor_b32_e32 v94, 1, v94
	s_delay_alu instid0(VALU_DEP_2) | instskip(NEXT) | instid1(VALU_DEP_1)
	v_and_b32_e32 v12, 0xfffff, v92
	v_add_nc_u32_e32 v92, v12, v95
                                        ; implicit-def: $vgpr12
	s_delay_alu instid0(VALU_DEP_3)
	v_cmpx_ne_u32_e64 v93, v94
	s_xor_b32 s13, exec_lo, s13
; %bb.7266:                             ;   in Loop: Header=BB6_5734 Depth=3
	s_delay_alu instid0(VALU_DEP_2) | instskip(SKIP_2) | instid1(VALU_DEP_2)
	v_cmp_lt_u32_e32 vcc_lo, 0xffffff, v92
	v_sub_nc_u32_e32 v12, v93, v94
	v_cndmask_b32_e64 v93, 0, 1, vcc_lo
	v_add_co_ci_u32_e32 v12, vcc_lo, 0, v12, vcc_lo
	s_delay_alu instid0(VALU_DEP_2)
	v_lshrrev_b32_e32 v92, v93, v92
; %bb.7267:                             ;   in Loop: Header=BB6_5734 Depth=3
	s_and_not1_saveexec_b32 s13, s13
; %bb.7268:                             ;   in Loop: Header=BB6_5734 Depth=3
	s_delay_alu instid0(VALU_DEP_1)
	v_bfe_u32 v12, v92, 23, 1
; %bb.7269:                             ;   in Loop: Header=BB6_5734 Depth=3
	s_or_b32 exec_lo, exec_lo, s13
	v_lshrrev_b32_e32 v92, 20, v92
	s_delay_alu instid0(VALU_DEP_2) | instskip(SKIP_2) | instid1(VALU_DEP_2)
	v_cmp_gt_i32_e32 vcc_lo, 16, v12
	v_lshrrev_b32_e32 v91, 24, v91
	v_min_i32_e32 v93, 15, v12
	v_dual_cndmask_b32 v92, 7, v92 :: v_dual_and_b32 v91, 0x80, v91
	s_delay_alu instid0(VALU_DEP_1) | instskip(SKIP_1) | instid1(VALU_DEP_2)
	v_or_b32_e32 v12, v12, v92
	v_and_b32_e32 v94, 7, v92
	v_cmp_ne_u32_e32 vcc_lo, 0, v12
	v_lshlrev_b32_e32 v93, 3, v93
	s_delay_alu instid0(VALU_DEP_1) | instskip(NEXT) | instid1(VALU_DEP_1)
	v_or3_b32 v91, v93, v91, v94
	v_cndmask_b32_e32 v12, 0, v91, vcc_lo
.LBB6_7270:                             ;   in Loop: Header=BB6_5734 Depth=3
	s_or_b32 exec_lo, exec_lo, s31
.LBB6_7271:                             ;   in Loop: Header=BB6_5734 Depth=3
	s_delay_alu instid0(SALU_CYCLE_1) | instskip(SKIP_3) | instid1(VALU_DEP_2)
	s_or_b32 exec_lo, exec_lo, s17
	v_lshrrev_b16 v92, 8, v13
	v_lshrrev_b16 v91, 8, v9
	s_and_not1_b32 vcc_lo, exec_lo, s16
	v_cmp_lt_i16_e64 s13, 0x7f, v92
	s_cbranch_vccnz .LBB6_7281
; %bb.7272:                             ;   in Loop: Header=BB6_5734 Depth=3
	s_mov_b32 s17, 0
                                        ; implicit-def: $sgpr31
	s_delay_alu instid0(VALU_DEP_1) | instskip(NEXT) | instid1(SALU_CYCLE_1)
	s_and_saveexec_b32 vcc_lo, s13
	s_xor_b32 s13, exec_lo, vcc_lo
	s_cbranch_execnz .LBB6_8436
; %bb.7273:                             ;   in Loop: Header=BB6_5734 Depth=3
	s_or_saveexec_b32 s13, s13
	v_mov_b32_e32 v93, s31
	s_xor_b32 exec_lo, exec_lo, s13
	s_cbranch_execnz .LBB6_8439
.LBB6_7274:                             ;   in Loop: Header=BB6_5734 Depth=3
	s_or_b32 exec_lo, exec_lo, s13
	s_and_saveexec_b32 s13, s17
	s_cbranch_execz .LBB6_7276
.LBB6_7275:                             ;   in Loop: Header=BB6_5734 Depth=3
	v_and_b32_e32 v93, 0xffff, v92
	s_delay_alu instid0(VALU_DEP_1) | instskip(NEXT) | instid1(VALU_DEP_1)
	v_and_b32_e32 v94, 7, v93
	v_clz_i32_u32_e32 v95, v94
	s_delay_alu instid0(VALU_DEP_1) | instskip(NEXT) | instid1(VALU_DEP_1)
	v_min_u32_e32 v95, 32, v95
	v_subrev_nc_u32_e32 v104, 28, v95
	v_sub_nc_u32_e32 v95, 29, v95
	s_delay_alu instid0(VALU_DEP_2) | instskip(SKIP_1) | instid1(VALU_DEP_2)
	v_lshlrev_b32_e32 v104, v104, v93
	v_bfe_u32 v93, v93, 3, 4
	v_and_b32_e32 v104, 7, v104
	s_delay_alu instid0(VALU_DEP_2) | instskip(SKIP_1) | instid1(VALU_DEP_3)
	v_cmp_eq_u32_e32 vcc_lo, 0, v93
	v_cndmask_b32_e32 v93, v93, v95, vcc_lo
	v_dual_cndmask_b32 v94, v94, v104 :: v_dual_lshlrev_b32 v105, 16, v13
	s_delay_alu instid0(VALU_DEP_2) | instskip(NEXT) | instid1(VALU_DEP_2)
	v_lshl_add_u32 v93, v93, 23, 0x3b800000
	v_and_b32_e32 v95, 0x80000000, v105
	s_delay_alu instid0(VALU_DEP_3) | instskip(NEXT) | instid1(VALU_DEP_1)
	v_lshlrev_b32_e32 v94, 20, v94
	v_or3_b32 v93, v95, v93, v94
.LBB6_7276:                             ;   in Loop: Header=BB6_5734 Depth=3
	s_or_b32 exec_lo, exec_lo, s13
	s_mov_b32 s13, 0
	s_mov_b32 s31, exec_lo
                                        ; implicit-def: $sgpr17
	v_cmpx_lt_i16_e32 0x7f, v91
	s_xor_b32 s31, exec_lo, s31
	s_cbranch_execnz .LBB6_8440
; %bb.7277:                             ;   in Loop: Header=BB6_5734 Depth=3
	s_or_saveexec_b32 s31, s31
	v_mov_b32_e32 v94, s17
	s_xor_b32 exec_lo, exec_lo, s31
	s_cbranch_execnz .LBB6_8443
.LBB6_7278:                             ;   in Loop: Header=BB6_5734 Depth=3
	s_or_b32 exec_lo, exec_lo, s31
	s_and_saveexec_b32 s17, s13
	s_cbranch_execz .LBB6_7280
.LBB6_7279:                             ;   in Loop: Header=BB6_5734 Depth=3
	v_and_b32_e32 v94, 0xffff, v91
	v_lshlrev_b32_e32 v106, 16, v9
	s_delay_alu instid0(VALU_DEP_2) | instskip(NEXT) | instid1(VALU_DEP_1)
	v_and_b32_e32 v95, 7, v94
	v_clz_i32_u32_e32 v104, v95
	s_delay_alu instid0(VALU_DEP_1) | instskip(NEXT) | instid1(VALU_DEP_1)
	v_min_u32_e32 v104, 32, v104
	v_subrev_nc_u32_e32 v105, 28, v104
	v_sub_nc_u32_e32 v104, 29, v104
	s_delay_alu instid0(VALU_DEP_2) | instskip(SKIP_1) | instid1(VALU_DEP_2)
	v_lshlrev_b32_e32 v105, v105, v94
	v_bfe_u32 v94, v94, 3, 4
	v_and_b32_e32 v105, 7, v105
	s_delay_alu instid0(VALU_DEP_2) | instskip(NEXT) | instid1(VALU_DEP_2)
	v_cmp_eq_u32_e32 vcc_lo, 0, v94
	v_dual_cndmask_b32 v94, v94, v104 :: v_dual_cndmask_b32 v95, v95, v105
	v_and_b32_e32 v104, 0x80000000, v106
	s_delay_alu instid0(VALU_DEP_2) | instskip(NEXT) | instid1(VALU_DEP_3)
	v_lshl_add_u32 v94, v94, 23, 0x3b800000
	v_lshlrev_b32_e32 v95, 20, v95
	s_delay_alu instid0(VALU_DEP_1)
	v_or3_b32 v94, v104, v94, v95
.LBB6_7280:                             ;   in Loop: Header=BB6_5734 Depth=3
	s_or_b32 exec_lo, exec_lo, s17
	s_delay_alu instid0(VALU_DEP_1) | instskip(SKIP_1) | instid1(VALU_DEP_1)
	v_dual_max_f32 v94, v94, v94 :: v_dual_max_f32 v93, v93, v93
	s_mov_b32 s13, 0
	v_max_f32_e32 v93, v93, v94
	s_branch .LBB6_7282
.LBB6_7281:                             ;   in Loop: Header=BB6_5734 Depth=3
	s_mov_b32 s13, -1
                                        ; implicit-def: $vgpr93
.LBB6_7282:                             ;   in Loop: Header=BB6_5734 Depth=3
	s_delay_alu instid0(SALU_CYCLE_1)
	s_and_b32 vcc_lo, exec_lo, s13
	s_cbranch_vccz .LBB6_7292
; %bb.7283:                             ;   in Loop: Header=BB6_5734 Depth=3
	s_mov_b32 s13, 0
	s_mov_b32 s31, exec_lo
                                        ; implicit-def: $sgpr17
	v_cmpx_lt_i16_e32 0x7f, v92
	s_xor_b32 s31, exec_lo, s31
	s_cbranch_execnz .LBB6_8444
; %bb.7284:                             ;   in Loop: Header=BB6_5734 Depth=3
	s_or_saveexec_b32 s31, s31
	v_mov_b32_e32 v93, s17
	s_xor_b32 exec_lo, exec_lo, s31
	s_cbranch_execnz .LBB6_8447
.LBB6_7285:                             ;   in Loop: Header=BB6_5734 Depth=3
	s_or_b32 exec_lo, exec_lo, s31
	s_and_saveexec_b32 s17, s13
	s_cbranch_execz .LBB6_7287
.LBB6_7286:                             ;   in Loop: Header=BB6_5734 Depth=3
	v_and_b32_e32 v92, 0xffff, v92
	v_lshlrev_b32_e32 v104, 16, v13
	s_delay_alu instid0(VALU_DEP_2) | instskip(NEXT) | instid1(VALU_DEP_1)
	v_and_b32_e32 v93, 7, v92
	v_clz_i32_u32_e32 v94, v93
	s_delay_alu instid0(VALU_DEP_1) | instskip(NEXT) | instid1(VALU_DEP_1)
	v_min_u32_e32 v94, 32, v94
	v_subrev_nc_u32_e32 v95, 28, v94
	v_sub_nc_u32_e32 v94, 29, v94
	s_delay_alu instid0(VALU_DEP_2) | instskip(SKIP_1) | instid1(VALU_DEP_2)
	v_lshlrev_b32_e32 v95, v95, v92
	v_bfe_u32 v92, v92, 3, 4
	v_and_b32_e32 v95, 7, v95
	s_delay_alu instid0(VALU_DEP_2) | instskip(NEXT) | instid1(VALU_DEP_2)
	v_cmp_eq_u32_e32 vcc_lo, 0, v92
	v_dual_cndmask_b32 v92, v92, v94 :: v_dual_cndmask_b32 v93, v93, v95
	v_and_b32_e32 v94, 0x80000000, v104
	s_delay_alu instid0(VALU_DEP_2) | instskip(NEXT) | instid1(VALU_DEP_3)
	v_lshl_add_u32 v92, v92, 23, 0x3b800000
	v_lshlrev_b32_e32 v93, 20, v93
	s_delay_alu instid0(VALU_DEP_1)
	v_or3_b32 v93, v94, v92, v93
.LBB6_7287:                             ;   in Loop: Header=BB6_5734 Depth=3
	s_or_b32 exec_lo, exec_lo, s17
	s_mov_b32 s13, 0
	s_mov_b32 s31, exec_lo
                                        ; implicit-def: $sgpr17
	v_cmpx_lt_i16_e32 0x7f, v91
	s_xor_b32 s31, exec_lo, s31
	s_cbranch_execnz .LBB6_8448
; %bb.7288:                             ;   in Loop: Header=BB6_5734 Depth=3
	s_or_saveexec_b32 s31, s31
	v_mov_b32_e32 v92, s17
	s_xor_b32 exec_lo, exec_lo, s31
	s_cbranch_execnz .LBB6_8451
.LBB6_7289:                             ;   in Loop: Header=BB6_5734 Depth=3
	s_or_b32 exec_lo, exec_lo, s31
	s_and_saveexec_b32 s17, s13
	s_cbranch_execz .LBB6_7291
.LBB6_7290:                             ;   in Loop: Header=BB6_5734 Depth=3
	v_and_b32_e32 v91, 0xffff, v91
	v_lshlrev_b32_e32 v104, 16, v9
	s_delay_alu instid0(VALU_DEP_2) | instskip(NEXT) | instid1(VALU_DEP_1)
	v_and_b32_e32 v92, 7, v91
	v_clz_i32_u32_e32 v94, v92
	s_delay_alu instid0(VALU_DEP_1) | instskip(NEXT) | instid1(VALU_DEP_1)
	v_min_u32_e32 v94, 32, v94
	v_subrev_nc_u32_e32 v95, 28, v94
	v_sub_nc_u32_e32 v94, 29, v94
	s_delay_alu instid0(VALU_DEP_2) | instskip(SKIP_1) | instid1(VALU_DEP_2)
	v_lshlrev_b32_e32 v95, v95, v91
	v_bfe_u32 v91, v91, 3, 4
	v_and_b32_e32 v95, 7, v95
	s_delay_alu instid0(VALU_DEP_2) | instskip(NEXT) | instid1(VALU_DEP_2)
	v_cmp_eq_u32_e32 vcc_lo, 0, v91
	v_dual_cndmask_b32 v91, v91, v94 :: v_dual_cndmask_b32 v92, v92, v95
	v_and_b32_e32 v94, 0x80000000, v104
	s_delay_alu instid0(VALU_DEP_2) | instskip(NEXT) | instid1(VALU_DEP_3)
	v_lshl_add_u32 v91, v91, 23, 0x3b800000
	v_lshlrev_b32_e32 v92, 20, v92
	s_delay_alu instid0(VALU_DEP_1)
	v_or3_b32 v92, v94, v91, v92
.LBB6_7291:                             ;   in Loop: Header=BB6_5734 Depth=3
	s_or_b32 exec_lo, exec_lo, s17
	s_delay_alu instid0(VALU_DEP_1) | instskip(NEXT) | instid1(VALU_DEP_1)
	v_dual_max_f32 v91, v92, v92 :: v_dual_max_f32 v92, v93, v93
	v_min_f32_e32 v93, v92, v91
.LBB6_7292:                             ;   in Loop: Header=BB6_5734 Depth=3
	s_delay_alu instid0(VALU_DEP_1) | instskip(NEXT) | instid1(VALU_DEP_1)
	v_and_b32_e32 v91, 0x7f800000, v93
	v_cmp_ne_u32_e32 vcc_lo, 0x7f800000, v91
	v_mov_b32_e32 v91, 0x80
	s_and_saveexec_b32 s17, vcc_lo
	s_cbranch_execz .LBB6_7300
; %bb.7293:                             ;   in Loop: Header=BB6_5734 Depth=3
	v_mov_b32_e32 v91, 0
	s_mov_b32 s31, exec_lo
	v_cmpx_ne_u32_e32 0, v93
	s_cbranch_execz .LBB6_7299
; %bb.7294:                             ;   in Loop: Header=BB6_5734 Depth=3
	v_bfe_u32 v91, v93, 23, 8
	v_and_b32_e32 v92, 0x7fffff, v93
	s_delay_alu instid0(VALU_DEP_2) | instskip(SKIP_1) | instid1(VALU_DEP_3)
	v_sub_nc_u32_e32 v94, 0x78, v91
	v_cmp_gt_u32_e32 vcc_lo, 0x79, v91
	v_or_b32_e32 v95, 0x800000, v92
	s_delay_alu instid0(VALU_DEP_3) | instskip(SKIP_2) | instid1(VALU_DEP_3)
	v_cndmask_b32_e32 v94, 0, v94, vcc_lo
	v_cmp_eq_u32_e32 vcc_lo, 0, v91
	v_add_nc_u32_e32 v91, 0xffffff89, v91
	v_cndmask_b32_e64 v94, v94, 0x77, vcc_lo
	v_cndmask_b32_e32 v92, v95, v92, vcc_lo
	s_delay_alu instid0(VALU_DEP_3) | instskip(NEXT) | instid1(VALU_DEP_3)
	v_cndmask_b32_e64 v91, v91, 0xffffff8a, vcc_lo
	v_lshl_add_u32 v95, 0x100000, v94, -1
	s_delay_alu instid0(VALU_DEP_3) | instskip(SKIP_1) | instid1(VALU_DEP_4)
	v_lshrrev_b32_e32 v104, v94, v92
	v_lshlrev_b32_e64 v106, v94, 0x80000
	v_add_nc_u32_e32 v94, v94, v91
	s_delay_alu instid0(VALU_DEP_4) | instskip(NEXT) | instid1(VALU_DEP_4)
	v_and_b32_e32 v92, v95, v92
	v_bfe_u32 v105, v104, 20, 1
	s_delay_alu instid0(VALU_DEP_2) | instskip(NEXT) | instid1(VALU_DEP_2)
	v_cmp_eq_u32_e64 s13, v92, v106
	v_add_nc_u32_e32 v95, -1, v105
	s_delay_alu instid0(VALU_DEP_1) | instskip(SKIP_2) | instid1(VALU_DEP_2)
	v_cndmask_b32_e64 v92, 0, v95, s13
	v_lshrrev_b32_e32 v95, 23, v104
	s_mov_b32 s13, exec_lo
	v_add_nc_u32_e32 v92, v92, v104
	s_delay_alu instid0(VALU_DEP_2) | instskip(NEXT) | instid1(VALU_DEP_2)
	v_xor_b32_e32 v95, 1, v95
	v_and_b32_e32 v91, 0xfffff, v92
	s_delay_alu instid0(VALU_DEP_1) | instskip(NEXT) | instid1(VALU_DEP_3)
	v_add_nc_u32_e32 v92, v91, v104
                                        ; implicit-def: $vgpr91
	v_cmpx_ne_u32_e64 v94, v95
	s_xor_b32 s13, exec_lo, s13
; %bb.7295:                             ;   in Loop: Header=BB6_5734 Depth=3
	s_delay_alu instid0(VALU_DEP_2) | instskip(SKIP_2) | instid1(VALU_DEP_2)
	v_cmp_lt_u32_e32 vcc_lo, 0xffffff, v92
	v_sub_nc_u32_e32 v91, v94, v95
	v_cndmask_b32_e64 v94, 0, 1, vcc_lo
	v_add_co_ci_u32_e32 v91, vcc_lo, 0, v91, vcc_lo
	s_delay_alu instid0(VALU_DEP_2)
	v_lshrrev_b32_e32 v92, v94, v92
; %bb.7296:                             ;   in Loop: Header=BB6_5734 Depth=3
	s_and_not1_saveexec_b32 s13, s13
; %bb.7297:                             ;   in Loop: Header=BB6_5734 Depth=3
	s_delay_alu instid0(VALU_DEP_1)
	v_bfe_u32 v91, v92, 23, 1
; %bb.7298:                             ;   in Loop: Header=BB6_5734 Depth=3
	s_or_b32 exec_lo, exec_lo, s13
	v_lshrrev_b32_e32 v92, 20, v92
	s_delay_alu instid0(VALU_DEP_2) | instskip(SKIP_2) | instid1(VALU_DEP_2)
	v_cmp_gt_i32_e32 vcc_lo, 16, v91
	v_lshrrev_b32_e32 v93, 24, v93
	v_min_i32_e32 v94, 15, v91
	v_dual_cndmask_b32 v92, 7, v92 :: v_dual_and_b32 v93, 0x80, v93
	s_delay_alu instid0(VALU_DEP_1) | instskip(SKIP_1) | instid1(VALU_DEP_2)
	v_or_b32_e32 v91, v91, v92
	v_and_b32_e32 v95, 7, v92
	v_cmp_ne_u32_e32 vcc_lo, 0, v91
	v_lshlrev_b32_e32 v94, 3, v94
	s_delay_alu instid0(VALU_DEP_1) | instskip(NEXT) | instid1(VALU_DEP_1)
	v_or3_b32 v92, v94, v93, v95
	v_cndmask_b32_e32 v91, 0, v92, vcc_lo
.LBB6_7299:                             ;   in Loop: Header=BB6_5734 Depth=3
	s_or_b32 exec_lo, exec_lo, s31
.LBB6_7300:                             ;   in Loop: Header=BB6_5734 Depth=3
	s_delay_alu instid0(SALU_CYCLE_1) | instskip(SKIP_3) | instid1(VALU_DEP_2)
	s_or_b32 exec_lo, exec_lo, s17
	v_lshrrev_b32_e32 v93, 16, v13
	v_lshrrev_b32_e32 v92, 16, v9
	s_and_not1_b32 vcc_lo, exec_lo, s16
	v_and_b32_e32 v94, 0xff, v93
	s_delay_alu instid0(VALU_DEP_1)
	v_cmp_lt_i16_e64 s13, 0x7f, v94
	s_cbranch_vccnz .LBB6_7310
; %bb.7301:                             ;   in Loop: Header=BB6_5734 Depth=3
	s_mov_b32 s17, 0
                                        ; implicit-def: $sgpr31
	s_delay_alu instid0(VALU_DEP_1) | instskip(NEXT) | instid1(SALU_CYCLE_1)
	s_and_saveexec_b32 vcc_lo, s13
	s_xor_b32 s13, exec_lo, vcc_lo
	s_cbranch_execnz .LBB6_8452
; %bb.7302:                             ;   in Loop: Header=BB6_5734 Depth=3
	s_or_saveexec_b32 s13, s13
	v_mov_b32_e32 v95, s31
	s_xor_b32 exec_lo, exec_lo, s13
	s_cbranch_execnz .LBB6_8455
.LBB6_7303:                             ;   in Loop: Header=BB6_5734 Depth=3
	s_or_b32 exec_lo, exec_lo, s13
	s_and_saveexec_b32 s13, s17
	s_cbranch_execz .LBB6_7305
.LBB6_7304:                             ;   in Loop: Header=BB6_5734 Depth=3
	v_bfe_u32 v95, v13, 16, 3
	v_bfe_u32 v106, v13, 19, 4
	v_lshlrev_b32_e32 v107, 24, v93
	s_delay_alu instid0(VALU_DEP_3) | instskip(NEXT) | instid1(VALU_DEP_3)
	v_clz_i32_u32_e32 v104, v95
	v_cmp_eq_u32_e32 vcc_lo, 0, v106
	s_delay_alu instid0(VALU_DEP_2) | instskip(NEXT) | instid1(VALU_DEP_1)
	v_min_u32_e32 v104, 32, v104
	v_subrev_nc_u32_e32 v105, 28, v104
	v_sub_nc_u32_e32 v104, 29, v104
	s_delay_alu instid0(VALU_DEP_1) | instskip(NEXT) | instid1(VALU_DEP_1)
	v_dual_cndmask_b32 v104, v106, v104 :: v_dual_lshlrev_b32 v105, v105, v93
	v_and_b32_e32 v105, 7, v105
	s_delay_alu instid0(VALU_DEP_2) | instskip(NEXT) | instid1(VALU_DEP_2)
	v_lshl_add_u32 v104, v104, 23, 0x3b800000
	v_cndmask_b32_e32 v95, v95, v105, vcc_lo
	v_and_b32_e32 v105, 0x80000000, v107
	s_delay_alu instid0(VALU_DEP_2) | instskip(NEXT) | instid1(VALU_DEP_1)
	v_lshlrev_b32_e32 v95, 20, v95
	v_or3_b32 v95, v105, v104, v95
.LBB6_7305:                             ;   in Loop: Header=BB6_5734 Depth=3
	s_or_b32 exec_lo, exec_lo, s13
	v_and_b32_e32 v105, 0xff, v92
	s_mov_b32 s13, 0
	s_mov_b32 s31, exec_lo
                                        ; implicit-def: $sgpr17
	s_delay_alu instid0(VALU_DEP_1)
	v_cmpx_lt_i16_e32 0x7f, v105
	s_xor_b32 s31, exec_lo, s31
	s_cbranch_execnz .LBB6_8456
; %bb.7306:                             ;   in Loop: Header=BB6_5734 Depth=3
	s_or_saveexec_b32 s31, s31
	v_mov_b32_e32 v104, s17
	s_xor_b32 exec_lo, exec_lo, s31
	s_cbranch_execnz .LBB6_8459
.LBB6_7307:                             ;   in Loop: Header=BB6_5734 Depth=3
	s_or_b32 exec_lo, exec_lo, s31
	s_and_saveexec_b32 s17, s13
	s_cbranch_execz .LBB6_7309
.LBB6_7308:                             ;   in Loop: Header=BB6_5734 Depth=3
	v_bfe_u32 v104, v9, 16, 3
	v_bfe_u32 v107, v9, 19, 4
	v_lshlrev_b32_e32 v108, 24, v92
	s_delay_alu instid0(VALU_DEP_3) | instskip(NEXT) | instid1(VALU_DEP_3)
	v_clz_i32_u32_e32 v105, v104
	v_cmp_eq_u32_e32 vcc_lo, 0, v107
	s_delay_alu instid0(VALU_DEP_2) | instskip(NEXT) | instid1(VALU_DEP_1)
	v_min_u32_e32 v105, 32, v105
	v_subrev_nc_u32_e32 v106, 28, v105
	v_sub_nc_u32_e32 v105, 29, v105
	s_delay_alu instid0(VALU_DEP_1) | instskip(NEXT) | instid1(VALU_DEP_1)
	v_dual_cndmask_b32 v105, v107, v105 :: v_dual_lshlrev_b32 v106, v106, v92
	v_and_b32_e32 v106, 7, v106
	s_delay_alu instid0(VALU_DEP_2) | instskip(NEXT) | instid1(VALU_DEP_2)
	v_lshl_add_u32 v105, v105, 23, 0x3b800000
	v_cndmask_b32_e32 v104, v104, v106, vcc_lo
	v_and_b32_e32 v106, 0x80000000, v108
	s_delay_alu instid0(VALU_DEP_2) | instskip(NEXT) | instid1(VALU_DEP_1)
	v_lshlrev_b32_e32 v104, 20, v104
	v_or3_b32 v104, v106, v105, v104
.LBB6_7309:                             ;   in Loop: Header=BB6_5734 Depth=3
	s_or_b32 exec_lo, exec_lo, s17
	s_delay_alu instid0(VALU_DEP_1) | instskip(SKIP_1) | instid1(VALU_DEP_1)
	v_dual_max_f32 v104, v104, v104 :: v_dual_max_f32 v95, v95, v95
	s_mov_b32 s13, 0
	v_max_f32_e32 v95, v95, v104
	s_branch .LBB6_7311
.LBB6_7310:                             ;   in Loop: Header=BB6_5734 Depth=3
	s_mov_b32 s13, -1
                                        ; implicit-def: $vgpr95
.LBB6_7311:                             ;   in Loop: Header=BB6_5734 Depth=3
	s_delay_alu instid0(SALU_CYCLE_1)
	s_and_b32 vcc_lo, exec_lo, s13
	s_cbranch_vccz .LBB6_7321
; %bb.7312:                             ;   in Loop: Header=BB6_5734 Depth=3
	s_mov_b32 s13, 0
	s_mov_b32 s31, exec_lo
                                        ; implicit-def: $sgpr17
	v_cmpx_lt_i16_e32 0x7f, v94
	s_xor_b32 s31, exec_lo, s31
	s_cbranch_execnz .LBB6_8460
; %bb.7313:                             ;   in Loop: Header=BB6_5734 Depth=3
	s_or_saveexec_b32 s31, s31
	v_mov_b32_e32 v95, s17
	s_xor_b32 exec_lo, exec_lo, s31
	s_cbranch_execnz .LBB6_8463
.LBB6_7314:                             ;   in Loop: Header=BB6_5734 Depth=3
	s_or_b32 exec_lo, exec_lo, s31
	s_and_saveexec_b32 s17, s13
	s_cbranch_execz .LBB6_7316
.LBB6_7315:                             ;   in Loop: Header=BB6_5734 Depth=3
	v_bfe_u32 v94, v13, 16, 3
	v_bfe_u32 v105, v13, 19, 4
	s_delay_alu instid0(VALU_DEP_2) | instskip(NEXT) | instid1(VALU_DEP_2)
	v_clz_i32_u32_e32 v95, v94
	v_cmp_eq_u32_e32 vcc_lo, 0, v105
	s_delay_alu instid0(VALU_DEP_2) | instskip(NEXT) | instid1(VALU_DEP_1)
	v_min_u32_e32 v95, 32, v95
	v_subrev_nc_u32_e32 v104, 28, v95
	v_sub_nc_u32_e32 v95, 29, v95
	s_delay_alu instid0(VALU_DEP_1) | instskip(NEXT) | instid1(VALU_DEP_1)
	v_dual_cndmask_b32 v95, v105, v95 :: v_dual_lshlrev_b32 v104, v104, v93
	v_and_b32_e32 v104, 7, v104
	v_lshlrev_b32_e32 v93, 24, v93
	s_delay_alu instid0(VALU_DEP_3) | instskip(NEXT) | instid1(VALU_DEP_2)
	v_lshl_add_u32 v95, v95, 23, 0x3b800000
	v_dual_cndmask_b32 v94, v94, v104 :: v_dual_and_b32 v93, 0x80000000, v93
	s_delay_alu instid0(VALU_DEP_1) | instskip(NEXT) | instid1(VALU_DEP_1)
	v_lshlrev_b32_e32 v94, 20, v94
	v_or3_b32 v95, v93, v95, v94
.LBB6_7316:                             ;   in Loop: Header=BB6_5734 Depth=3
	s_or_b32 exec_lo, exec_lo, s17
	v_and_b32_e32 v94, 0xff, v92
	s_mov_b32 s13, 0
	s_mov_b32 s31, exec_lo
                                        ; implicit-def: $sgpr17
	s_delay_alu instid0(VALU_DEP_1)
	v_cmpx_lt_i16_e32 0x7f, v94
	s_xor_b32 s31, exec_lo, s31
	s_cbranch_execnz .LBB6_8464
; %bb.7317:                             ;   in Loop: Header=BB6_5734 Depth=3
	s_or_saveexec_b32 s31, s31
	v_mov_b32_e32 v93, s17
	s_xor_b32 exec_lo, exec_lo, s31
	s_cbranch_execnz .LBB6_8467
.LBB6_7318:                             ;   in Loop: Header=BB6_5734 Depth=3
	s_or_b32 exec_lo, exec_lo, s31
	s_and_saveexec_b32 s17, s13
	s_cbranch_execz .LBB6_7320
.LBB6_7319:                             ;   in Loop: Header=BB6_5734 Depth=3
	v_bfe_u32 v93, v9, 16, 3
	v_bfe_u32 v105, v9, 19, 4
	s_delay_alu instid0(VALU_DEP_2) | instskip(NEXT) | instid1(VALU_DEP_2)
	v_clz_i32_u32_e32 v94, v93
	v_cmp_eq_u32_e32 vcc_lo, 0, v105
	s_delay_alu instid0(VALU_DEP_2) | instskip(NEXT) | instid1(VALU_DEP_1)
	v_min_u32_e32 v94, 32, v94
	v_subrev_nc_u32_e32 v104, 28, v94
	v_sub_nc_u32_e32 v94, 29, v94
	s_delay_alu instid0(VALU_DEP_2) | instskip(SKIP_1) | instid1(VALU_DEP_2)
	v_lshlrev_b32_e32 v104, v104, v92
	v_lshlrev_b32_e32 v92, 24, v92
	v_and_b32_e32 v104, 7, v104
	s_delay_alu instid0(VALU_DEP_2) | instskip(NEXT) | instid1(VALU_DEP_2)
	v_and_b32_e32 v92, 0x80000000, v92
	v_cndmask_b32_e32 v93, v93, v104, vcc_lo
	s_delay_alu instid0(VALU_DEP_1) | instskip(NEXT) | instid1(VALU_DEP_1)
	v_dual_cndmask_b32 v94, v105, v94 :: v_dual_lshlrev_b32 v93, 20, v93
	v_lshl_add_u32 v94, v94, 23, 0x3b800000
	s_delay_alu instid0(VALU_DEP_1)
	v_or3_b32 v93, v92, v94, v93
.LBB6_7320:                             ;   in Loop: Header=BB6_5734 Depth=3
	s_or_b32 exec_lo, exec_lo, s17
	s_delay_alu instid0(VALU_DEP_1) | instskip(NEXT) | instid1(VALU_DEP_1)
	v_dual_max_f32 v92, v93, v93 :: v_dual_max_f32 v93, v95, v95
	v_min_f32_e32 v95, v93, v92
.LBB6_7321:                             ;   in Loop: Header=BB6_5734 Depth=3
	s_delay_alu instid0(VALU_DEP_1) | instskip(NEXT) | instid1(VALU_DEP_1)
	v_and_b32_e32 v92, 0x7f800000, v95
	v_cmp_ne_u32_e32 vcc_lo, 0x7f800000, v92
	v_mov_b32_e32 v92, 0x80
	s_and_saveexec_b32 s17, vcc_lo
	s_cbranch_execz .LBB6_7329
; %bb.7322:                             ;   in Loop: Header=BB6_5734 Depth=3
	v_mov_b32_e32 v92, 0
	s_mov_b32 s31, exec_lo
	v_cmpx_ne_u32_e32 0, v95
	s_cbranch_execz .LBB6_7328
; %bb.7323:                             ;   in Loop: Header=BB6_5734 Depth=3
	v_bfe_u32 v92, v95, 23, 8
	s_delay_alu instid0(VALU_DEP_1) | instskip(SKIP_1) | instid1(VALU_DEP_2)
	v_sub_nc_u32_e32 v94, 0x78, v92
	v_cmp_gt_u32_e32 vcc_lo, 0x79, v92
	v_dual_cndmask_b32 v94, 0, v94 :: v_dual_and_b32 v93, 0x7fffff, v95
	s_delay_alu instid0(VALU_DEP_1) | instskip(SKIP_2) | instid1(VALU_DEP_4)
	v_or_b32_e32 v104, 0x800000, v93
	v_cmp_eq_u32_e32 vcc_lo, 0, v92
	v_add_nc_u32_e32 v92, 0xffffff89, v92
	v_cndmask_b32_e64 v94, v94, 0x77, vcc_lo
	s_delay_alu instid0(VALU_DEP_4) | instskip(NEXT) | instid1(VALU_DEP_3)
	v_cndmask_b32_e32 v93, v104, v93, vcc_lo
	v_cndmask_b32_e64 v92, v92, 0xffffff8a, vcc_lo
	s_delay_alu instid0(VALU_DEP_3) | instskip(NEXT) | instid1(VALU_DEP_3)
	v_lshl_add_u32 v104, 0x100000, v94, -1
	v_lshrrev_b32_e32 v105, v94, v93
	v_lshlrev_b32_e64 v107, v94, 0x80000
	s_delay_alu instid0(VALU_DEP_4) | instskip(NEXT) | instid1(VALU_DEP_4)
	v_add_nc_u32_e32 v94, v94, v92
	v_and_b32_e32 v93, v104, v93
	s_delay_alu instid0(VALU_DEP_4) | instskip(NEXT) | instid1(VALU_DEP_2)
	v_bfe_u32 v106, v105, 20, 1
	v_cmp_eq_u32_e64 s13, v93, v107
	s_delay_alu instid0(VALU_DEP_2) | instskip(NEXT) | instid1(VALU_DEP_1)
	v_add_nc_u32_e32 v104, -1, v106
	v_cndmask_b32_e64 v93, 0, v104, s13
	v_lshrrev_b32_e32 v104, 23, v105
	s_mov_b32 s13, exec_lo
	s_delay_alu instid0(VALU_DEP_2) | instskip(NEXT) | instid1(VALU_DEP_2)
	v_add_nc_u32_e32 v93, v93, v105
	v_xor_b32_e32 v104, 1, v104
	s_delay_alu instid0(VALU_DEP_2) | instskip(NEXT) | instid1(VALU_DEP_1)
	v_and_b32_e32 v92, 0xfffff, v93
	v_add_nc_u32_e32 v93, v92, v105
                                        ; implicit-def: $vgpr92
	s_delay_alu instid0(VALU_DEP_3)
	v_cmpx_ne_u32_e64 v94, v104
	s_xor_b32 s13, exec_lo, s13
; %bb.7324:                             ;   in Loop: Header=BB6_5734 Depth=3
	s_delay_alu instid0(VALU_DEP_2) | instskip(SKIP_2) | instid1(VALU_DEP_2)
	v_cmp_lt_u32_e32 vcc_lo, 0xffffff, v93
	v_sub_nc_u32_e32 v92, v94, v104
	v_cndmask_b32_e64 v94, 0, 1, vcc_lo
	v_add_co_ci_u32_e32 v92, vcc_lo, 0, v92, vcc_lo
	s_delay_alu instid0(VALU_DEP_2)
	v_lshrrev_b32_e32 v93, v94, v93
; %bb.7325:                             ;   in Loop: Header=BB6_5734 Depth=3
	s_and_not1_saveexec_b32 s13, s13
; %bb.7326:                             ;   in Loop: Header=BB6_5734 Depth=3
	s_delay_alu instid0(VALU_DEP_1)
	v_bfe_u32 v92, v93, 23, 1
; %bb.7327:                             ;   in Loop: Header=BB6_5734 Depth=3
	s_or_b32 exec_lo, exec_lo, s13
	v_lshrrev_b32_e32 v93, 20, v93
	s_delay_alu instid0(VALU_DEP_2) | instskip(SKIP_2) | instid1(VALU_DEP_2)
	v_cmp_gt_i32_e32 vcc_lo, 16, v92
	v_min_i32_e32 v94, 15, v92
	v_lshrrev_b32_e32 v95, 24, v95
	v_dual_cndmask_b32 v93, 7, v93 :: v_dual_lshlrev_b32 v94, 3, v94
	s_delay_alu instid0(VALU_DEP_1) | instskip(SKIP_1) | instid1(VALU_DEP_3)
	v_or_b32_e32 v92, v92, v93
	v_and_b32_e32 v104, 7, v93
	v_and_b32_e32 v94, 0xf8, v94
	s_delay_alu instid0(VALU_DEP_3) | instskip(SKIP_1) | instid1(VALU_DEP_1)
	v_cmp_ne_u32_e32 vcc_lo, 0, v92
	v_and_b32_e32 v95, 0x80, v95
	v_or3_b32 v93, v94, v95, v104
	s_delay_alu instid0(VALU_DEP_1)
	v_cndmask_b32_e32 v92, 0, v93, vcc_lo
.LBB6_7328:                             ;   in Loop: Header=BB6_5734 Depth=3
	s_or_b32 exec_lo, exec_lo, s31
.LBB6_7329:                             ;   in Loop: Header=BB6_5734 Depth=3
	s_delay_alu instid0(SALU_CYCLE_1) | instskip(SKIP_3) | instid1(VALU_DEP_2)
	s_or_b32 exec_lo, exec_lo, s17
	v_lshrrev_b32_e32 v94, 24, v13
	v_lshrrev_b32_e32 v93, 24, v9
	s_and_not1_b32 vcc_lo, exec_lo, s16
	v_cmp_lt_i16_e64 s13, 0x7f, v94
	s_cbranch_vccnz .LBB6_7339
; %bb.7330:                             ;   in Loop: Header=BB6_5734 Depth=3
	s_mov_b32 s17, 0
                                        ; implicit-def: $sgpr31
	s_delay_alu instid0(VALU_DEP_1) | instskip(NEXT) | instid1(SALU_CYCLE_1)
	s_and_saveexec_b32 vcc_lo, s13
	s_xor_b32 s13, exec_lo, vcc_lo
	s_cbranch_execnz .LBB6_8468
; %bb.7331:                             ;   in Loop: Header=BB6_5734 Depth=3
	s_or_saveexec_b32 s13, s13
	v_mov_b32_e32 v95, s31
	s_xor_b32 exec_lo, exec_lo, s13
	s_cbranch_execnz .LBB6_8471
.LBB6_7332:                             ;   in Loop: Header=BB6_5734 Depth=3
	s_or_b32 exec_lo, exec_lo, s13
	s_and_saveexec_b32 s13, s17
	s_cbranch_execz .LBB6_7334
.LBB6_7333:                             ;   in Loop: Header=BB6_5734 Depth=3
	v_bfe_u32 v95, v13, 24, 3
	v_bfe_u32 v106, v13, 27, 4
	s_delay_alu instid0(VALU_DEP_2) | instskip(NEXT) | instid1(VALU_DEP_2)
	v_clz_i32_u32_e32 v104, v95
	v_cmp_eq_u32_e32 vcc_lo, 0, v106
	s_delay_alu instid0(VALU_DEP_2) | instskip(NEXT) | instid1(VALU_DEP_1)
	v_min_u32_e32 v104, 32, v104
	v_subrev_nc_u32_e32 v105, 28, v104
	v_sub_nc_u32_e32 v104, 29, v104
	s_delay_alu instid0(VALU_DEP_1) | instskip(NEXT) | instid1(VALU_DEP_1)
	v_dual_cndmask_b32 v104, v106, v104 :: v_dual_lshlrev_b32 v105, v105, v94
	v_and_b32_e32 v105, 7, v105
	s_delay_alu instid0(VALU_DEP_2) | instskip(NEXT) | instid1(VALU_DEP_2)
	v_lshl_add_u32 v104, v104, 23, 0x3b800000
	v_cndmask_b32_e32 v95, v95, v105, vcc_lo
	v_and_b32_e32 v105, 0x80000000, v13
	s_delay_alu instid0(VALU_DEP_2) | instskip(NEXT) | instid1(VALU_DEP_1)
	v_lshlrev_b32_e32 v95, 20, v95
	v_or3_b32 v95, v105, v104, v95
.LBB6_7334:                             ;   in Loop: Header=BB6_5734 Depth=3
	s_or_b32 exec_lo, exec_lo, s13
	s_mov_b32 s13, 0
	s_mov_b32 s31, exec_lo
                                        ; implicit-def: $sgpr17
	v_cmpx_lt_i16_e32 0x7f, v93
	s_xor_b32 s31, exec_lo, s31
	s_cbranch_execnz .LBB6_8472
; %bb.7335:                             ;   in Loop: Header=BB6_5734 Depth=3
	s_or_saveexec_b32 s31, s31
	v_mov_b32_e32 v104, s17
	s_xor_b32 exec_lo, exec_lo, s31
	s_cbranch_execnz .LBB6_8475
.LBB6_7336:                             ;   in Loop: Header=BB6_5734 Depth=3
	s_or_b32 exec_lo, exec_lo, s31
	s_and_saveexec_b32 s17, s13
	s_cbranch_execz .LBB6_7338
.LBB6_7337:                             ;   in Loop: Header=BB6_5734 Depth=3
	v_bfe_u32 v104, v9, 24, 3
	v_bfe_u32 v107, v9, 27, 4
	s_delay_alu instid0(VALU_DEP_2) | instskip(NEXT) | instid1(VALU_DEP_2)
	v_clz_i32_u32_e32 v105, v104
	v_cmp_eq_u32_e32 vcc_lo, 0, v107
	s_delay_alu instid0(VALU_DEP_2) | instskip(NEXT) | instid1(VALU_DEP_1)
	v_min_u32_e32 v105, 32, v105
	v_subrev_nc_u32_e32 v106, 28, v105
	v_sub_nc_u32_e32 v105, 29, v105
	s_delay_alu instid0(VALU_DEP_2) | instskip(NEXT) | instid1(VALU_DEP_1)
	v_lshlrev_b32_e32 v106, v106, v93
	v_dual_cndmask_b32 v105, v107, v105 :: v_dual_and_b32 v106, 7, v106
	s_delay_alu instid0(VALU_DEP_1) | instskip(NEXT) | instid1(VALU_DEP_2)
	v_lshl_add_u32 v105, v105, 23, 0x3b800000
	v_cndmask_b32_e32 v104, v104, v106, vcc_lo
	v_and_b32_e32 v106, 0x80000000, v9
	s_delay_alu instid0(VALU_DEP_2) | instskip(NEXT) | instid1(VALU_DEP_1)
	v_lshlrev_b32_e32 v104, 20, v104
	v_or3_b32 v104, v106, v105, v104
.LBB6_7338:                             ;   in Loop: Header=BB6_5734 Depth=3
	s_or_b32 exec_lo, exec_lo, s17
	s_delay_alu instid0(VALU_DEP_1) | instskip(SKIP_1) | instid1(VALU_DEP_1)
	v_dual_max_f32 v104, v104, v104 :: v_dual_max_f32 v95, v95, v95
	s_mov_b32 s13, 0
	v_max_f32_e32 v95, v95, v104
	s_branch .LBB6_7340
.LBB6_7339:                             ;   in Loop: Header=BB6_5734 Depth=3
	s_mov_b32 s13, -1
                                        ; implicit-def: $vgpr95
.LBB6_7340:                             ;   in Loop: Header=BB6_5734 Depth=3
	s_delay_alu instid0(SALU_CYCLE_1)
	s_and_b32 vcc_lo, exec_lo, s13
	s_cbranch_vccz .LBB6_7350
; %bb.7341:                             ;   in Loop: Header=BB6_5734 Depth=3
	s_mov_b32 s13, 0
	s_mov_b32 s31, exec_lo
                                        ; implicit-def: $sgpr17
	v_cmpx_lt_i16_e32 0x7f, v94
	s_xor_b32 s31, exec_lo, s31
	s_cbranch_execnz .LBB6_8476
; %bb.7342:                             ;   in Loop: Header=BB6_5734 Depth=3
	s_or_saveexec_b32 s31, s31
	v_mov_b32_e32 v95, s17
	s_xor_b32 exec_lo, exec_lo, s31
	s_cbranch_execnz .LBB6_8479
.LBB6_7343:                             ;   in Loop: Header=BB6_5734 Depth=3
	s_or_b32 exec_lo, exec_lo, s31
	s_and_saveexec_b32 s17, s13
	s_cbranch_execz .LBB6_7345
.LBB6_7344:                             ;   in Loop: Header=BB6_5734 Depth=3
	v_bfe_u32 v95, v13, 24, 3
	s_delay_alu instid0(VALU_DEP_1) | instskip(NEXT) | instid1(VALU_DEP_1)
	v_clz_i32_u32_e32 v104, v95
	v_min_u32_e32 v104, 32, v104
	s_delay_alu instid0(VALU_DEP_1) | instskip(SKIP_1) | instid1(VALU_DEP_2)
	v_subrev_nc_u32_e32 v105, 28, v104
	v_sub_nc_u32_e32 v104, 29, v104
	v_lshlrev_b32_e32 v94, v105, v94
	v_bfe_u32 v105, v13, 27, 4
	v_and_b32_e32 v13, 0x80000000, v13
	s_delay_alu instid0(VALU_DEP_3) | instskip(NEXT) | instid1(VALU_DEP_3)
	v_and_b32_e32 v94, 7, v94
	v_cmp_eq_u32_e32 vcc_lo, 0, v105
	v_cndmask_b32_e32 v104, v105, v104, vcc_lo
	s_delay_alu instid0(VALU_DEP_3) | instskip(NEXT) | instid1(VALU_DEP_2)
	v_cndmask_b32_e32 v94, v95, v94, vcc_lo
	v_lshl_add_u32 v95, v104, 23, 0x3b800000
	s_delay_alu instid0(VALU_DEP_2) | instskip(NEXT) | instid1(VALU_DEP_1)
	v_lshlrev_b32_e32 v94, 20, v94
	v_or3_b32 v95, v13, v95, v94
.LBB6_7345:                             ;   in Loop: Header=BB6_5734 Depth=3
	s_or_b32 exec_lo, exec_lo, s17
	s_mov_b32 s13, 0
	s_mov_b32 s31, exec_lo
                                        ; implicit-def: $sgpr17
	v_cmpx_lt_i16_e32 0x7f, v93
	s_xor_b32 s31, exec_lo, s31
	s_cbranch_execnz .LBB6_8480
; %bb.7346:                             ;   in Loop: Header=BB6_5734 Depth=3
	s_or_saveexec_b32 s31, s31
	v_mov_b32_e32 v13, s17
	s_xor_b32 exec_lo, exec_lo, s31
	s_cbranch_execnz .LBB6_8483
.LBB6_7347:                             ;   in Loop: Header=BB6_5734 Depth=3
	s_or_b32 exec_lo, exec_lo, s31
	s_and_saveexec_b32 s17, s13
	s_cbranch_execz .LBB6_7349
.LBB6_7348:                             ;   in Loop: Header=BB6_5734 Depth=3
	v_bfe_u32 v13, v9, 24, 3
	s_delay_alu instid0(VALU_DEP_1) | instskip(NEXT) | instid1(VALU_DEP_1)
	v_clz_i32_u32_e32 v94, v13
	v_min_u32_e32 v94, 32, v94
	s_delay_alu instid0(VALU_DEP_1) | instskip(SKIP_1) | instid1(VALU_DEP_2)
	v_subrev_nc_u32_e32 v104, 28, v94
	v_sub_nc_u32_e32 v94, 29, v94
	v_lshlrev_b32_e32 v93, v104, v93
	v_bfe_u32 v104, v9, 27, 4
	v_and_b32_e32 v9, 0x80000000, v9
	s_delay_alu instid0(VALU_DEP_2) | instskip(NEXT) | instid1(VALU_DEP_4)
	v_cmp_eq_u32_e32 vcc_lo, 0, v104
	v_dual_cndmask_b32 v94, v104, v94 :: v_dual_and_b32 v93, 7, v93
	s_delay_alu instid0(VALU_DEP_1) | instskip(NEXT) | instid1(VALU_DEP_2)
	v_cndmask_b32_e32 v13, v13, v93, vcc_lo
	v_lshl_add_u32 v93, v94, 23, 0x3b800000
	s_delay_alu instid0(VALU_DEP_2) | instskip(NEXT) | instid1(VALU_DEP_1)
	v_lshlrev_b32_e32 v13, 20, v13
	v_or3_b32 v13, v9, v93, v13
.LBB6_7349:                             ;   in Loop: Header=BB6_5734 Depth=3
	s_or_b32 exec_lo, exec_lo, s17
	s_delay_alu instid0(VALU_DEP_1) | instskip(SKIP_1) | instid1(VALU_DEP_1)
	v_max_f32_e32 v9, v13, v13
	v_max_f32_e32 v13, v95, v95
	v_min_f32_e32 v95, v13, v9
.LBB6_7350:                             ;   in Loop: Header=BB6_5734 Depth=3
	s_delay_alu instid0(VALU_DEP_1) | instskip(NEXT) | instid1(VALU_DEP_1)
	v_and_b32_e32 v9, 0x7f800000, v95
	v_cmp_ne_u32_e32 vcc_lo, 0x7f800000, v9
	v_mov_b32_e32 v9, 0x8000
	s_and_saveexec_b32 s17, vcc_lo
	s_cbranch_execz .LBB6_7358
; %bb.7351:                             ;   in Loop: Header=BB6_5734 Depth=3
	v_mov_b32_e32 v9, 0
	s_mov_b32 s31, exec_lo
	v_cmpx_ne_u32_e32 0, v95
	s_cbranch_execz .LBB6_7357
; %bb.7352:                             ;   in Loop: Header=BB6_5734 Depth=3
	v_bfe_u32 v9, v95, 23, 8
	v_and_b32_e32 v13, 0x7fffff, v95
	s_delay_alu instid0(VALU_DEP_2) | instskip(SKIP_1) | instid1(VALU_DEP_3)
	v_sub_nc_u32_e32 v93, 0x78, v9
	v_cmp_gt_u32_e32 vcc_lo, 0x79, v9
	v_or_b32_e32 v94, 0x800000, v13
	s_delay_alu instid0(VALU_DEP_3) | instskip(SKIP_2) | instid1(VALU_DEP_3)
	v_cndmask_b32_e32 v93, 0, v93, vcc_lo
	v_cmp_eq_u32_e32 vcc_lo, 0, v9
	v_add_nc_u32_e32 v9, 0xffffff89, v9
	v_cndmask_b32_e64 v93, v93, 0x77, vcc_lo
	v_cndmask_b32_e32 v13, v94, v13, vcc_lo
	s_delay_alu instid0(VALU_DEP_3) | instskip(NEXT) | instid1(VALU_DEP_3)
	v_cndmask_b32_e64 v9, v9, 0xffffff8a, vcc_lo
	v_lshl_add_u32 v94, 0x100000, v93, -1
	s_delay_alu instid0(VALU_DEP_3) | instskip(SKIP_1) | instid1(VALU_DEP_4)
	v_lshrrev_b32_e32 v104, v93, v13
	v_lshlrev_b32_e64 v106, v93, 0x80000
	v_add_nc_u32_e32 v93, v93, v9
	s_delay_alu instid0(VALU_DEP_4) | instskip(NEXT) | instid1(VALU_DEP_4)
	v_and_b32_e32 v13, v94, v13
	v_bfe_u32 v105, v104, 20, 1
	s_delay_alu instid0(VALU_DEP_2) | instskip(NEXT) | instid1(VALU_DEP_2)
	v_cmp_eq_u32_e64 s13, v13, v106
	v_add_nc_u32_e32 v94, -1, v105
	s_delay_alu instid0(VALU_DEP_1) | instskip(SKIP_2) | instid1(VALU_DEP_2)
	v_cndmask_b32_e64 v13, 0, v94, s13
	v_lshrrev_b32_e32 v94, 23, v104
	s_mov_b32 s13, exec_lo
	v_add_nc_u32_e32 v13, v13, v104
	s_delay_alu instid0(VALU_DEP_2) | instskip(NEXT) | instid1(VALU_DEP_2)
	v_xor_b32_e32 v94, 1, v94
	v_and_b32_e32 v9, 0xfffff, v13
	s_delay_alu instid0(VALU_DEP_1) | instskip(NEXT) | instid1(VALU_DEP_3)
	v_add_nc_u32_e32 v13, v9, v104
                                        ; implicit-def: $vgpr9
	v_cmpx_ne_u32_e64 v93, v94
	s_xor_b32 s13, exec_lo, s13
; %bb.7353:                             ;   in Loop: Header=BB6_5734 Depth=3
	s_delay_alu instid0(VALU_DEP_2) | instskip(SKIP_2) | instid1(VALU_DEP_2)
	v_cmp_lt_u32_e32 vcc_lo, 0xffffff, v13
	v_sub_nc_u32_e32 v9, v93, v94
	v_cndmask_b32_e64 v93, 0, 1, vcc_lo
	v_add_co_ci_u32_e32 v9, vcc_lo, 0, v9, vcc_lo
	s_delay_alu instid0(VALU_DEP_2)
	v_lshrrev_b32_e32 v13, v93, v13
; %bb.7354:                             ;   in Loop: Header=BB6_5734 Depth=3
	s_and_not1_saveexec_b32 s13, s13
; %bb.7355:                             ;   in Loop: Header=BB6_5734 Depth=3
	s_delay_alu instid0(VALU_DEP_1)
	v_bfe_u32 v9, v13, 23, 1
; %bb.7356:                             ;   in Loop: Header=BB6_5734 Depth=3
	s_or_b32 exec_lo, exec_lo, s13
	v_lshrrev_b32_e32 v13, 20, v13
	s_delay_alu instid0(VALU_DEP_2) | instskip(SKIP_2) | instid1(VALU_DEP_3)
	v_min_i32_e32 v93, 15, v9
	v_cmp_gt_i32_e32 vcc_lo, 16, v9
	v_lshrrev_b32_e32 v94, 24, v95
	v_lshlrev_b32_e32 v93, 3, v93
	s_delay_alu instid0(VALU_DEP_2) | instskip(NEXT) | instid1(VALU_DEP_2)
	v_dual_cndmask_b32 v13, 7, v13 :: v_dual_and_b32 v94, 0x80, v94
	v_and_b32_e32 v93, 0xf8, v93
	s_delay_alu instid0(VALU_DEP_2) | instskip(SKIP_1) | instid1(VALU_DEP_2)
	v_and_b32_e32 v95, 7, v13
	v_or_b32_e32 v9, v9, v13
	v_or3_b32 v93, v94, v93, v95
	s_delay_alu instid0(VALU_DEP_2) | instskip(NEXT) | instid1(VALU_DEP_2)
	v_cmp_ne_u32_e32 vcc_lo, 0, v9
	v_lshlrev_b32_e32 v13, 8, v93
	s_delay_alu instid0(VALU_DEP_1)
	v_cndmask_b32_e32 v9, 0, v13, vcc_lo
.LBB6_7357:                             ;   in Loop: Header=BB6_5734 Depth=3
	s_or_b32 exec_lo, exec_lo, s31
.LBB6_7358:                             ;   in Loop: Header=BB6_5734 Depth=3
	s_delay_alu instid0(SALU_CYCLE_1) | instskip(SKIP_2) | instid1(VALU_DEP_1)
	s_or_b32 exec_lo, exec_lo, s17
	v_and_b32_e32 v13, 0xff, v14
	s_and_not1_b32 vcc_lo, exec_lo, s16
	v_cmp_lt_i16_e64 s13, 0x7f, v13
	s_cbranch_vccnz .LBB6_7368
; %bb.7359:                             ;   in Loop: Header=BB6_5734 Depth=3
	s_mov_b32 s17, 0
                                        ; implicit-def: $sgpr31
	s_delay_alu instid0(VALU_DEP_1) | instskip(NEXT) | instid1(SALU_CYCLE_1)
	s_and_saveexec_b32 vcc_lo, s13
	s_xor_b32 s13, exec_lo, vcc_lo
	s_cbranch_execnz .LBB6_8484
; %bb.7360:                             ;   in Loop: Header=BB6_5734 Depth=3
	s_or_saveexec_b32 s13, s13
	v_mov_b32_e32 v93, s31
	s_xor_b32 exec_lo, exec_lo, s13
	s_cbranch_execnz .LBB6_8487
.LBB6_7361:                             ;   in Loop: Header=BB6_5734 Depth=3
	s_or_b32 exec_lo, exec_lo, s13
	s_and_saveexec_b32 s13, s17
	s_cbranch_execz .LBB6_7363
.LBB6_7362:                             ;   in Loop: Header=BB6_5734 Depth=3
	v_and_b32_e32 v93, 7, v14
	v_bfe_u32 v104, v14, 3, 4
	v_lshlrev_b32_e32 v105, 24, v14
	s_delay_alu instid0(VALU_DEP_3) | instskip(NEXT) | instid1(VALU_DEP_3)
	v_clz_i32_u32_e32 v94, v93
	v_cmp_eq_u32_e32 vcc_lo, 0, v104
	s_delay_alu instid0(VALU_DEP_2) | instskip(NEXT) | instid1(VALU_DEP_1)
	v_min_u32_e32 v94, 32, v94
	v_subrev_nc_u32_e32 v95, 28, v94
	v_sub_nc_u32_e32 v94, 29, v94
	s_delay_alu instid0(VALU_DEP_2) | instskip(NEXT) | instid1(VALU_DEP_1)
	v_lshlrev_b32_e32 v95, v95, v14
	v_dual_cndmask_b32 v94, v104, v94 :: v_dual_and_b32 v95, 7, v95
	s_delay_alu instid0(VALU_DEP_1) | instskip(NEXT) | instid1(VALU_DEP_2)
	v_lshl_add_u32 v94, v94, 23, 0x3b800000
	v_cndmask_b32_e32 v93, v93, v95, vcc_lo
	v_and_b32_e32 v95, 0x80000000, v105
	s_delay_alu instid0(VALU_DEP_2) | instskip(NEXT) | instid1(VALU_DEP_1)
	v_lshlrev_b32_e32 v93, 20, v93
	v_or3_b32 v93, v95, v94, v93
.LBB6_7363:                             ;   in Loop: Header=BB6_5734 Depth=3
	s_or_b32 exec_lo, exec_lo, s13
	v_and_b32_e32 v95, 0xff, v10
	s_mov_b32 s13, 0
	s_mov_b32 s31, exec_lo
                                        ; implicit-def: $sgpr17
	s_delay_alu instid0(VALU_DEP_1)
	v_cmpx_lt_i16_e32 0x7f, v95
	s_xor_b32 s31, exec_lo, s31
	s_cbranch_execnz .LBB6_8488
; %bb.7364:                             ;   in Loop: Header=BB6_5734 Depth=3
	s_or_saveexec_b32 s31, s31
	v_mov_b32_e32 v94, s17
	s_xor_b32 exec_lo, exec_lo, s31
	s_cbranch_execnz .LBB6_8491
.LBB6_7365:                             ;   in Loop: Header=BB6_5734 Depth=3
	s_or_b32 exec_lo, exec_lo, s31
	s_and_saveexec_b32 s17, s13
	s_cbranch_execz .LBB6_7367
.LBB6_7366:                             ;   in Loop: Header=BB6_5734 Depth=3
	v_bfe_u32 v105, v10, 3, 4
	v_lshlrev_b32_e32 v106, 24, v10
	s_delay_alu instid0(VALU_DEP_2) | instskip(SKIP_1) | instid1(VALU_DEP_1)
	v_cmp_eq_u32_e32 vcc_lo, 0, v105
	v_and_b32_e32 v94, 7, v10
	v_clz_i32_u32_e32 v95, v94
	s_delay_alu instid0(VALU_DEP_1) | instskip(NEXT) | instid1(VALU_DEP_1)
	v_min_u32_e32 v95, 32, v95
	v_subrev_nc_u32_e32 v104, 28, v95
	v_sub_nc_u32_e32 v95, 29, v95
	s_delay_alu instid0(VALU_DEP_1) | instskip(NEXT) | instid1(VALU_DEP_1)
	v_dual_cndmask_b32 v95, v105, v95 :: v_dual_lshlrev_b32 v104, v104, v10
	v_and_b32_e32 v104, 7, v104
	s_delay_alu instid0(VALU_DEP_2) | instskip(NEXT) | instid1(VALU_DEP_2)
	v_lshl_add_u32 v95, v95, 23, 0x3b800000
	v_cndmask_b32_e32 v94, v94, v104, vcc_lo
	v_and_b32_e32 v104, 0x80000000, v106
	s_delay_alu instid0(VALU_DEP_2) | instskip(NEXT) | instid1(VALU_DEP_1)
	v_lshlrev_b32_e32 v94, 20, v94
	v_or3_b32 v94, v104, v95, v94
.LBB6_7367:                             ;   in Loop: Header=BB6_5734 Depth=3
	s_or_b32 exec_lo, exec_lo, s17
	s_delay_alu instid0(VALU_DEP_1) | instskip(SKIP_1) | instid1(VALU_DEP_1)
	v_dual_max_f32 v94, v94, v94 :: v_dual_max_f32 v93, v93, v93
	s_mov_b32 s13, 0
	v_max_f32_e32 v93, v93, v94
	s_branch .LBB6_7369
.LBB6_7368:                             ;   in Loop: Header=BB6_5734 Depth=3
	s_mov_b32 s13, -1
                                        ; implicit-def: $vgpr93
.LBB6_7369:                             ;   in Loop: Header=BB6_5734 Depth=3
	s_delay_alu instid0(SALU_CYCLE_1)
	s_and_b32 vcc_lo, exec_lo, s13
	s_cbranch_vccz .LBB6_7379
; %bb.7370:                             ;   in Loop: Header=BB6_5734 Depth=3
	s_mov_b32 s13, 0
	s_mov_b32 s31, exec_lo
                                        ; implicit-def: $sgpr17
	v_cmpx_lt_i16_e32 0x7f, v13
	s_xor_b32 s31, exec_lo, s31
	s_cbranch_execnz .LBB6_8492
; %bb.7371:                             ;   in Loop: Header=BB6_5734 Depth=3
	s_or_saveexec_b32 s31, s31
	v_mov_b32_e32 v93, s17
	s_xor_b32 exec_lo, exec_lo, s31
	s_cbranch_execnz .LBB6_8495
.LBB6_7372:                             ;   in Loop: Header=BB6_5734 Depth=3
	s_or_b32 exec_lo, exec_lo, s31
	s_and_saveexec_b32 s17, s13
	s_cbranch_execz .LBB6_7374
.LBB6_7373:                             ;   in Loop: Header=BB6_5734 Depth=3
	v_and_b32_e32 v13, 7, v14
	v_bfe_u32 v95, v14, 3, 4
	v_lshlrev_b32_e32 v104, 24, v14
	s_delay_alu instid0(VALU_DEP_3) | instskip(NEXT) | instid1(VALU_DEP_3)
	v_clz_i32_u32_e32 v93, v13
	v_cmp_eq_u32_e32 vcc_lo, 0, v95
	s_delay_alu instid0(VALU_DEP_2) | instskip(NEXT) | instid1(VALU_DEP_1)
	v_min_u32_e32 v93, 32, v93
	v_subrev_nc_u32_e32 v94, 28, v93
	v_sub_nc_u32_e32 v93, 29, v93
	s_delay_alu instid0(VALU_DEP_1) | instskip(NEXT) | instid1(VALU_DEP_1)
	v_dual_cndmask_b32 v93, v95, v93 :: v_dual_lshlrev_b32 v94, v94, v14
	v_and_b32_e32 v94, 7, v94
	s_delay_alu instid0(VALU_DEP_2) | instskip(NEXT) | instid1(VALU_DEP_2)
	v_lshl_add_u32 v93, v93, 23, 0x3b800000
	v_dual_cndmask_b32 v13, v13, v94 :: v_dual_and_b32 v94, 0x80000000, v104
	s_delay_alu instid0(VALU_DEP_1) | instskip(NEXT) | instid1(VALU_DEP_1)
	v_lshlrev_b32_e32 v13, 20, v13
	v_or3_b32 v93, v94, v93, v13
.LBB6_7374:                             ;   in Loop: Header=BB6_5734 Depth=3
	s_or_b32 exec_lo, exec_lo, s17
	v_and_b32_e32 v94, 0xff, v10
	s_mov_b32 s13, 0
	s_mov_b32 s31, exec_lo
                                        ; implicit-def: $sgpr17
	s_delay_alu instid0(VALU_DEP_1)
	v_cmpx_lt_i16_e32 0x7f, v94
	s_xor_b32 s31, exec_lo, s31
	s_cbranch_execnz .LBB6_8496
; %bb.7375:                             ;   in Loop: Header=BB6_5734 Depth=3
	s_or_saveexec_b32 s31, s31
	v_mov_b32_e32 v13, s17
	s_xor_b32 exec_lo, exec_lo, s31
	s_cbranch_execnz .LBB6_8499
.LBB6_7376:                             ;   in Loop: Header=BB6_5734 Depth=3
	s_or_b32 exec_lo, exec_lo, s31
	s_and_saveexec_b32 s17, s13
	s_cbranch_execz .LBB6_7378
.LBB6_7377:                             ;   in Loop: Header=BB6_5734 Depth=3
	v_and_b32_e32 v13, 7, v10
	v_bfe_u32 v104, v10, 3, 4
	v_lshlrev_b32_e32 v105, 24, v10
	s_delay_alu instid0(VALU_DEP_3) | instskip(NEXT) | instid1(VALU_DEP_3)
	v_clz_i32_u32_e32 v94, v13
	v_cmp_eq_u32_e32 vcc_lo, 0, v104
	s_delay_alu instid0(VALU_DEP_2) | instskip(NEXT) | instid1(VALU_DEP_1)
	v_min_u32_e32 v94, 32, v94
	v_subrev_nc_u32_e32 v95, 28, v94
	v_sub_nc_u32_e32 v94, 29, v94
	s_delay_alu instid0(VALU_DEP_2) | instskip(NEXT) | instid1(VALU_DEP_1)
	v_lshlrev_b32_e32 v95, v95, v10
	v_dual_cndmask_b32 v94, v104, v94 :: v_dual_and_b32 v95, 7, v95
	s_delay_alu instid0(VALU_DEP_1) | instskip(NEXT) | instid1(VALU_DEP_2)
	v_lshl_add_u32 v94, v94, 23, 0x3b800000
	v_cndmask_b32_e32 v13, v13, v95, vcc_lo
	v_and_b32_e32 v95, 0x80000000, v105
	s_delay_alu instid0(VALU_DEP_2) | instskip(NEXT) | instid1(VALU_DEP_1)
	v_lshlrev_b32_e32 v13, 20, v13
	v_or3_b32 v13, v95, v94, v13
.LBB6_7378:                             ;   in Loop: Header=BB6_5734 Depth=3
	s_or_b32 exec_lo, exec_lo, s17
	s_delay_alu instid0(VALU_DEP_1) | instskip(SKIP_1) | instid1(VALU_DEP_1)
	v_max_f32_e32 v13, v13, v13
	v_max_f32_e32 v93, v93, v93
	v_min_f32_e32 v93, v93, v13
.LBB6_7379:                             ;   in Loop: Header=BB6_5734 Depth=3
	s_delay_alu instid0(VALU_DEP_1) | instskip(NEXT) | instid1(VALU_DEP_1)
	v_and_b32_e32 v13, 0x7f800000, v93
	v_cmp_ne_u32_e32 vcc_lo, 0x7f800000, v13
	v_mov_b32_e32 v13, 0x80
	s_and_saveexec_b32 s17, vcc_lo
	s_cbranch_execz .LBB6_7387
; %bb.7380:                             ;   in Loop: Header=BB6_5734 Depth=3
	v_mov_b32_e32 v13, 0
	s_mov_b32 s31, exec_lo
	v_cmpx_ne_u32_e32 0, v93
	s_cbranch_execz .LBB6_7386
; %bb.7381:                             ;   in Loop: Header=BB6_5734 Depth=3
	v_bfe_u32 v13, v93, 23, 8
	s_delay_alu instid0(VALU_DEP_1) | instskip(SKIP_1) | instid1(VALU_DEP_2)
	v_sub_nc_u32_e32 v95, 0x78, v13
	v_cmp_gt_u32_e32 vcc_lo, 0x79, v13
	v_dual_cndmask_b32 v95, 0, v95 :: v_dual_and_b32 v94, 0x7fffff, v93
	s_delay_alu instid0(VALU_DEP_1) | instskip(SKIP_2) | instid1(VALU_DEP_4)
	v_or_b32_e32 v104, 0x800000, v94
	v_cmp_eq_u32_e32 vcc_lo, 0, v13
	v_add_nc_u32_e32 v13, 0xffffff89, v13
	v_cndmask_b32_e64 v95, v95, 0x77, vcc_lo
	s_delay_alu instid0(VALU_DEP_4) | instskip(NEXT) | instid1(VALU_DEP_3)
	v_cndmask_b32_e32 v94, v104, v94, vcc_lo
	v_cndmask_b32_e64 v13, v13, 0xffffff8a, vcc_lo
	s_delay_alu instid0(VALU_DEP_3) | instskip(NEXT) | instid1(VALU_DEP_3)
	v_lshl_add_u32 v104, 0x100000, v95, -1
	v_lshrrev_b32_e32 v105, v95, v94
	v_lshlrev_b32_e64 v107, v95, 0x80000
	s_delay_alu instid0(VALU_DEP_4) | instskip(NEXT) | instid1(VALU_DEP_4)
	v_add_nc_u32_e32 v95, v95, v13
	v_and_b32_e32 v94, v104, v94
	s_delay_alu instid0(VALU_DEP_4) | instskip(NEXT) | instid1(VALU_DEP_2)
	v_bfe_u32 v106, v105, 20, 1
	v_cmp_eq_u32_e64 s13, v94, v107
	s_delay_alu instid0(VALU_DEP_2) | instskip(NEXT) | instid1(VALU_DEP_1)
	v_add_nc_u32_e32 v104, -1, v106
	v_cndmask_b32_e64 v94, 0, v104, s13
	v_lshrrev_b32_e32 v104, 23, v105
	s_mov_b32 s13, exec_lo
	s_delay_alu instid0(VALU_DEP_2) | instskip(NEXT) | instid1(VALU_DEP_2)
	v_add_nc_u32_e32 v94, v94, v105
	v_xor_b32_e32 v104, 1, v104
	s_delay_alu instid0(VALU_DEP_2) | instskip(NEXT) | instid1(VALU_DEP_1)
	v_and_b32_e32 v13, 0xfffff, v94
	v_add_nc_u32_e32 v94, v13, v105
                                        ; implicit-def: $vgpr13
	s_delay_alu instid0(VALU_DEP_3)
	v_cmpx_ne_u32_e64 v95, v104
	s_xor_b32 s13, exec_lo, s13
; %bb.7382:                             ;   in Loop: Header=BB6_5734 Depth=3
	s_delay_alu instid0(VALU_DEP_2) | instskip(SKIP_2) | instid1(VALU_DEP_2)
	v_cmp_lt_u32_e32 vcc_lo, 0xffffff, v94
	v_sub_nc_u32_e32 v13, v95, v104
	v_cndmask_b32_e64 v95, 0, 1, vcc_lo
	v_add_co_ci_u32_e32 v13, vcc_lo, 0, v13, vcc_lo
	s_delay_alu instid0(VALU_DEP_2)
	v_lshrrev_b32_e32 v94, v95, v94
; %bb.7383:                             ;   in Loop: Header=BB6_5734 Depth=3
	s_and_not1_saveexec_b32 s13, s13
; %bb.7384:                             ;   in Loop: Header=BB6_5734 Depth=3
	s_delay_alu instid0(VALU_DEP_1)
	v_bfe_u32 v13, v94, 23, 1
; %bb.7385:                             ;   in Loop: Header=BB6_5734 Depth=3
	s_or_b32 exec_lo, exec_lo, s13
	v_lshrrev_b32_e32 v94, 20, v94
	s_delay_alu instid0(VALU_DEP_2) | instskip(SKIP_2) | instid1(VALU_DEP_2)
	v_cmp_gt_i32_e32 vcc_lo, 16, v13
	v_lshrrev_b32_e32 v93, 24, v93
	v_min_i32_e32 v95, 15, v13
	v_dual_cndmask_b32 v94, 7, v94 :: v_dual_and_b32 v93, 0x80, v93
	s_delay_alu instid0(VALU_DEP_2) | instskip(NEXT) | instid1(VALU_DEP_2)
	v_lshlrev_b32_e32 v95, 3, v95
	v_or_b32_e32 v13, v13, v94
	s_delay_alu instid0(VALU_DEP_1) | instskip(SKIP_1) | instid1(VALU_DEP_1)
	v_cmp_ne_u32_e32 vcc_lo, 0, v13
	v_and_b32_e32 v104, 7, v94
	v_or3_b32 v93, v95, v93, v104
	s_delay_alu instid0(VALU_DEP_1)
	v_cndmask_b32_e32 v13, 0, v93, vcc_lo
.LBB6_7386:                             ;   in Loop: Header=BB6_5734 Depth=3
	s_or_b32 exec_lo, exec_lo, s31
.LBB6_7387:                             ;   in Loop: Header=BB6_5734 Depth=3
	s_delay_alu instid0(SALU_CYCLE_1) | instskip(SKIP_3) | instid1(VALU_DEP_2)
	s_or_b32 exec_lo, exec_lo, s17
	v_lshrrev_b16 v94, 8, v14
	v_lshrrev_b16 v93, 8, v10
	s_and_not1_b32 vcc_lo, exec_lo, s16
	v_cmp_lt_i16_e64 s13, 0x7f, v94
	s_cbranch_vccnz .LBB6_7397
; %bb.7388:                             ;   in Loop: Header=BB6_5734 Depth=3
	s_mov_b32 s17, 0
                                        ; implicit-def: $sgpr31
	s_delay_alu instid0(VALU_DEP_1) | instskip(NEXT) | instid1(SALU_CYCLE_1)
	s_and_saveexec_b32 vcc_lo, s13
	s_xor_b32 s13, exec_lo, vcc_lo
	s_cbranch_execnz .LBB6_8500
; %bb.7389:                             ;   in Loop: Header=BB6_5734 Depth=3
	s_or_saveexec_b32 s13, s13
	v_mov_b32_e32 v95, s31
	s_xor_b32 exec_lo, exec_lo, s13
	s_cbranch_execnz .LBB6_8503
.LBB6_7390:                             ;   in Loop: Header=BB6_5734 Depth=3
	s_or_b32 exec_lo, exec_lo, s13
	s_and_saveexec_b32 s13, s17
	s_cbranch_execz .LBB6_7392
.LBB6_7391:                             ;   in Loop: Header=BB6_5734 Depth=3
	v_and_b32_e32 v95, 0xffff, v94
	v_lshlrev_b32_e32 v107, 16, v14
	s_delay_alu instid0(VALU_DEP_2) | instskip(NEXT) | instid1(VALU_DEP_1)
	v_and_b32_e32 v104, 7, v95
	v_clz_i32_u32_e32 v105, v104
	s_delay_alu instid0(VALU_DEP_1) | instskip(NEXT) | instid1(VALU_DEP_1)
	v_min_u32_e32 v105, 32, v105
	v_subrev_nc_u32_e32 v106, 28, v105
	v_sub_nc_u32_e32 v105, 29, v105
	s_delay_alu instid0(VALU_DEP_2) | instskip(SKIP_1) | instid1(VALU_DEP_2)
	v_lshlrev_b32_e32 v106, v106, v95
	v_bfe_u32 v95, v95, 3, 4
	v_and_b32_e32 v106, 7, v106
	s_delay_alu instid0(VALU_DEP_2) | instskip(NEXT) | instid1(VALU_DEP_2)
	v_cmp_eq_u32_e32 vcc_lo, 0, v95
	v_dual_cndmask_b32 v95, v95, v105 :: v_dual_cndmask_b32 v104, v104, v106
	v_and_b32_e32 v105, 0x80000000, v107
	s_delay_alu instid0(VALU_DEP_2) | instskip(NEXT) | instid1(VALU_DEP_3)
	v_lshl_add_u32 v95, v95, 23, 0x3b800000
	v_lshlrev_b32_e32 v104, 20, v104
	s_delay_alu instid0(VALU_DEP_1)
	v_or3_b32 v95, v105, v95, v104
.LBB6_7392:                             ;   in Loop: Header=BB6_5734 Depth=3
	s_or_b32 exec_lo, exec_lo, s13
	s_mov_b32 s13, 0
	s_mov_b32 s31, exec_lo
                                        ; implicit-def: $sgpr17
	v_cmpx_lt_i16_e32 0x7f, v93
	s_xor_b32 s31, exec_lo, s31
	s_cbranch_execnz .LBB6_8504
; %bb.7393:                             ;   in Loop: Header=BB6_5734 Depth=3
	s_or_saveexec_b32 s31, s31
	v_mov_b32_e32 v104, s17
	s_xor_b32 exec_lo, exec_lo, s31
	s_cbranch_execnz .LBB6_8507
.LBB6_7394:                             ;   in Loop: Header=BB6_5734 Depth=3
	s_or_b32 exec_lo, exec_lo, s31
	s_and_saveexec_b32 s17, s13
	s_cbranch_execz .LBB6_7396
.LBB6_7395:                             ;   in Loop: Header=BB6_5734 Depth=3
	v_and_b32_e32 v104, 0xffff, v93
	v_lshlrev_b32_e32 v108, 16, v10
	s_delay_alu instid0(VALU_DEP_2) | instskip(NEXT) | instid1(VALU_DEP_1)
	v_and_b32_e32 v105, 7, v104
	v_clz_i32_u32_e32 v106, v105
	s_delay_alu instid0(VALU_DEP_1) | instskip(NEXT) | instid1(VALU_DEP_1)
	v_min_u32_e32 v106, 32, v106
	v_subrev_nc_u32_e32 v107, 28, v106
	v_sub_nc_u32_e32 v106, 29, v106
	s_delay_alu instid0(VALU_DEP_2) | instskip(SKIP_1) | instid1(VALU_DEP_2)
	v_lshlrev_b32_e32 v107, v107, v104
	v_bfe_u32 v104, v104, 3, 4
	v_and_b32_e32 v107, 7, v107
	s_delay_alu instid0(VALU_DEP_2) | instskip(NEXT) | instid1(VALU_DEP_2)
	v_cmp_eq_u32_e32 vcc_lo, 0, v104
	v_dual_cndmask_b32 v104, v104, v106 :: v_dual_cndmask_b32 v105, v105, v107
	v_and_b32_e32 v106, 0x80000000, v108
	s_delay_alu instid0(VALU_DEP_2) | instskip(NEXT) | instid1(VALU_DEP_3)
	v_lshl_add_u32 v104, v104, 23, 0x3b800000
	v_lshlrev_b32_e32 v105, 20, v105
	s_delay_alu instid0(VALU_DEP_1)
	v_or3_b32 v104, v106, v104, v105
.LBB6_7396:                             ;   in Loop: Header=BB6_5734 Depth=3
	s_or_b32 exec_lo, exec_lo, s17
	s_delay_alu instid0(VALU_DEP_1) | instskip(SKIP_1) | instid1(VALU_DEP_1)
	v_dual_max_f32 v104, v104, v104 :: v_dual_max_f32 v95, v95, v95
	s_mov_b32 s13, 0
	v_max_f32_e32 v95, v95, v104
	s_branch .LBB6_7398
.LBB6_7397:                             ;   in Loop: Header=BB6_5734 Depth=3
	s_mov_b32 s13, -1
                                        ; implicit-def: $vgpr95
.LBB6_7398:                             ;   in Loop: Header=BB6_5734 Depth=3
	s_delay_alu instid0(SALU_CYCLE_1)
	s_and_b32 vcc_lo, exec_lo, s13
	s_cbranch_vccz .LBB6_7408
; %bb.7399:                             ;   in Loop: Header=BB6_5734 Depth=3
	s_mov_b32 s13, 0
	s_mov_b32 s31, exec_lo
                                        ; implicit-def: $sgpr17
	v_cmpx_lt_i16_e32 0x7f, v94
	s_xor_b32 s31, exec_lo, s31
	s_cbranch_execnz .LBB6_8508
; %bb.7400:                             ;   in Loop: Header=BB6_5734 Depth=3
	s_or_saveexec_b32 s31, s31
	v_mov_b32_e32 v95, s17
	s_xor_b32 exec_lo, exec_lo, s31
	s_cbranch_execnz .LBB6_8511
.LBB6_7401:                             ;   in Loop: Header=BB6_5734 Depth=3
	s_or_b32 exec_lo, exec_lo, s31
	s_and_saveexec_b32 s17, s13
	s_cbranch_execz .LBB6_7403
.LBB6_7402:                             ;   in Loop: Header=BB6_5734 Depth=3
	v_and_b32_e32 v94, 0xffff, v94
	v_lshlrev_b32_e32 v106, 16, v14
	s_delay_alu instid0(VALU_DEP_2) | instskip(NEXT) | instid1(VALU_DEP_1)
	v_and_b32_e32 v95, 7, v94
	v_clz_i32_u32_e32 v104, v95
	s_delay_alu instid0(VALU_DEP_1) | instskip(NEXT) | instid1(VALU_DEP_1)
	v_min_u32_e32 v104, 32, v104
	v_subrev_nc_u32_e32 v105, 28, v104
	v_sub_nc_u32_e32 v104, 29, v104
	s_delay_alu instid0(VALU_DEP_2) | instskip(SKIP_1) | instid1(VALU_DEP_2)
	v_lshlrev_b32_e32 v105, v105, v94
	v_bfe_u32 v94, v94, 3, 4
	v_and_b32_e32 v105, 7, v105
	s_delay_alu instid0(VALU_DEP_2) | instskip(NEXT) | instid1(VALU_DEP_2)
	v_cmp_eq_u32_e32 vcc_lo, 0, v94
	v_dual_cndmask_b32 v94, v94, v104 :: v_dual_cndmask_b32 v95, v95, v105
	v_and_b32_e32 v104, 0x80000000, v106
	s_delay_alu instid0(VALU_DEP_2) | instskip(NEXT) | instid1(VALU_DEP_3)
	v_lshl_add_u32 v94, v94, 23, 0x3b800000
	v_lshlrev_b32_e32 v95, 20, v95
	s_delay_alu instid0(VALU_DEP_1)
	v_or3_b32 v95, v104, v94, v95
.LBB6_7403:                             ;   in Loop: Header=BB6_5734 Depth=3
	s_or_b32 exec_lo, exec_lo, s17
	s_mov_b32 s13, 0
	s_mov_b32 s31, exec_lo
                                        ; implicit-def: $sgpr17
	v_cmpx_lt_i16_e32 0x7f, v93
	s_xor_b32 s31, exec_lo, s31
	s_cbranch_execnz .LBB6_8512
; %bb.7404:                             ;   in Loop: Header=BB6_5734 Depth=3
	s_or_saveexec_b32 s31, s31
	v_mov_b32_e32 v94, s17
	s_xor_b32 exec_lo, exec_lo, s31
	s_cbranch_execnz .LBB6_8515
.LBB6_7405:                             ;   in Loop: Header=BB6_5734 Depth=3
	s_or_b32 exec_lo, exec_lo, s31
	s_and_saveexec_b32 s17, s13
	s_cbranch_execz .LBB6_7407
.LBB6_7406:                             ;   in Loop: Header=BB6_5734 Depth=3
	v_and_b32_e32 v93, 0xffff, v93
	v_lshlrev_b32_e32 v106, 16, v10
	s_delay_alu instid0(VALU_DEP_2) | instskip(NEXT) | instid1(VALU_DEP_1)
	v_and_b32_e32 v94, 7, v93
	v_clz_i32_u32_e32 v104, v94
	s_delay_alu instid0(VALU_DEP_1) | instskip(NEXT) | instid1(VALU_DEP_1)
	v_min_u32_e32 v104, 32, v104
	v_subrev_nc_u32_e32 v105, 28, v104
	v_sub_nc_u32_e32 v104, 29, v104
	s_delay_alu instid0(VALU_DEP_2) | instskip(SKIP_1) | instid1(VALU_DEP_2)
	v_lshlrev_b32_e32 v105, v105, v93
	v_bfe_u32 v93, v93, 3, 4
	v_and_b32_e32 v105, 7, v105
	s_delay_alu instid0(VALU_DEP_2) | instskip(NEXT) | instid1(VALU_DEP_2)
	v_cmp_eq_u32_e32 vcc_lo, 0, v93
	v_dual_cndmask_b32 v93, v93, v104 :: v_dual_cndmask_b32 v94, v94, v105
	v_and_b32_e32 v104, 0x80000000, v106
	s_delay_alu instid0(VALU_DEP_2) | instskip(NEXT) | instid1(VALU_DEP_3)
	v_lshl_add_u32 v93, v93, 23, 0x3b800000
	v_lshlrev_b32_e32 v94, 20, v94
	s_delay_alu instid0(VALU_DEP_1)
	v_or3_b32 v94, v104, v93, v94
.LBB6_7407:                             ;   in Loop: Header=BB6_5734 Depth=3
	s_or_b32 exec_lo, exec_lo, s17
	s_delay_alu instid0(VALU_DEP_1) | instskip(NEXT) | instid1(VALU_DEP_1)
	v_dual_max_f32 v93, v94, v94 :: v_dual_max_f32 v94, v95, v95
	v_min_f32_e32 v95, v94, v93
.LBB6_7408:                             ;   in Loop: Header=BB6_5734 Depth=3
	s_delay_alu instid0(VALU_DEP_1) | instskip(NEXT) | instid1(VALU_DEP_1)
	v_and_b32_e32 v93, 0x7f800000, v95
	v_cmp_ne_u32_e32 vcc_lo, 0x7f800000, v93
	v_mov_b32_e32 v93, 0x80
	s_and_saveexec_b32 s17, vcc_lo
	s_cbranch_execz .LBB6_7416
; %bb.7409:                             ;   in Loop: Header=BB6_5734 Depth=3
	v_mov_b32_e32 v93, 0
	s_mov_b32 s31, exec_lo
	v_cmpx_ne_u32_e32 0, v95
	s_cbranch_execz .LBB6_7415
; %bb.7410:                             ;   in Loop: Header=BB6_5734 Depth=3
	v_bfe_u32 v93, v95, 23, 8
	v_and_b32_e32 v94, 0x7fffff, v95
	s_delay_alu instid0(VALU_DEP_2) | instskip(SKIP_1) | instid1(VALU_DEP_3)
	v_sub_nc_u32_e32 v104, 0x78, v93
	v_cmp_gt_u32_e32 vcc_lo, 0x79, v93
	v_or_b32_e32 v105, 0x800000, v94
	s_delay_alu instid0(VALU_DEP_3) | instskip(SKIP_2) | instid1(VALU_DEP_3)
	v_cndmask_b32_e32 v104, 0, v104, vcc_lo
	v_cmp_eq_u32_e32 vcc_lo, 0, v93
	v_add_nc_u32_e32 v93, 0xffffff89, v93
	v_cndmask_b32_e64 v104, v104, 0x77, vcc_lo
	v_cndmask_b32_e32 v94, v105, v94, vcc_lo
	s_delay_alu instid0(VALU_DEP_3) | instskip(NEXT) | instid1(VALU_DEP_3)
	v_cndmask_b32_e64 v93, v93, 0xffffff8a, vcc_lo
	v_lshl_add_u32 v105, 0x100000, v104, -1
	s_delay_alu instid0(VALU_DEP_3) | instskip(SKIP_1) | instid1(VALU_DEP_4)
	v_lshrrev_b32_e32 v106, v104, v94
	v_lshlrev_b32_e64 v108, v104, 0x80000
	v_add_nc_u32_e32 v104, v104, v93
	s_delay_alu instid0(VALU_DEP_4) | instskip(NEXT) | instid1(VALU_DEP_4)
	v_and_b32_e32 v94, v105, v94
	v_bfe_u32 v107, v106, 20, 1
	s_delay_alu instid0(VALU_DEP_2) | instskip(NEXT) | instid1(VALU_DEP_2)
	v_cmp_eq_u32_e64 s13, v94, v108
	v_add_nc_u32_e32 v105, -1, v107
	s_delay_alu instid0(VALU_DEP_1) | instskip(SKIP_2) | instid1(VALU_DEP_2)
	v_cndmask_b32_e64 v94, 0, v105, s13
	v_lshrrev_b32_e32 v105, 23, v106
	s_mov_b32 s13, exec_lo
	v_add_nc_u32_e32 v94, v94, v106
	s_delay_alu instid0(VALU_DEP_2) | instskip(NEXT) | instid1(VALU_DEP_2)
	v_xor_b32_e32 v105, 1, v105
	v_and_b32_e32 v93, 0xfffff, v94
	s_delay_alu instid0(VALU_DEP_1) | instskip(NEXT) | instid1(VALU_DEP_3)
	v_add_nc_u32_e32 v94, v93, v106
                                        ; implicit-def: $vgpr93
	v_cmpx_ne_u32_e64 v104, v105
	s_xor_b32 s13, exec_lo, s13
; %bb.7411:                             ;   in Loop: Header=BB6_5734 Depth=3
	s_delay_alu instid0(VALU_DEP_2) | instskip(SKIP_2) | instid1(VALU_DEP_2)
	v_cmp_lt_u32_e32 vcc_lo, 0xffffff, v94
	v_sub_nc_u32_e32 v93, v104, v105
	v_cndmask_b32_e64 v104, 0, 1, vcc_lo
	v_add_co_ci_u32_e32 v93, vcc_lo, 0, v93, vcc_lo
	s_delay_alu instid0(VALU_DEP_2)
	v_lshrrev_b32_e32 v94, v104, v94
; %bb.7412:                             ;   in Loop: Header=BB6_5734 Depth=3
	s_and_not1_saveexec_b32 s13, s13
; %bb.7413:                             ;   in Loop: Header=BB6_5734 Depth=3
	s_delay_alu instid0(VALU_DEP_1)
	v_bfe_u32 v93, v94, 23, 1
; %bb.7414:                             ;   in Loop: Header=BB6_5734 Depth=3
	s_or_b32 exec_lo, exec_lo, s13
	v_lshrrev_b32_e32 v94, 20, v94
	s_delay_alu instid0(VALU_DEP_2) | instskip(SKIP_2) | instid1(VALU_DEP_2)
	v_cmp_gt_i32_e32 vcc_lo, 16, v93
	v_lshrrev_b32_e32 v95, 24, v95
	v_min_i32_e32 v104, 15, v93
	v_dual_cndmask_b32 v94, 7, v94 :: v_dual_and_b32 v95, 0x80, v95
	s_delay_alu instid0(VALU_DEP_1) | instskip(SKIP_1) | instid1(VALU_DEP_2)
	v_or_b32_e32 v93, v93, v94
	v_and_b32_e32 v105, 7, v94
	v_cmp_ne_u32_e32 vcc_lo, 0, v93
	v_lshlrev_b32_e32 v104, 3, v104
	s_delay_alu instid0(VALU_DEP_1) | instskip(NEXT) | instid1(VALU_DEP_1)
	v_or3_b32 v94, v104, v95, v105
	v_cndmask_b32_e32 v93, 0, v94, vcc_lo
.LBB6_7415:                             ;   in Loop: Header=BB6_5734 Depth=3
	s_or_b32 exec_lo, exec_lo, s31
.LBB6_7416:                             ;   in Loop: Header=BB6_5734 Depth=3
	s_delay_alu instid0(SALU_CYCLE_1) | instskip(SKIP_3) | instid1(VALU_DEP_2)
	s_or_b32 exec_lo, exec_lo, s17
	v_lshrrev_b32_e32 v95, 16, v14
	v_lshrrev_b32_e32 v94, 16, v10
	s_and_not1_b32 vcc_lo, exec_lo, s16
	v_and_b32_e32 v104, 0xff, v95
	s_delay_alu instid0(VALU_DEP_1)
	v_cmp_lt_i16_e64 s13, 0x7f, v104
	s_cbranch_vccnz .LBB6_7426
; %bb.7417:                             ;   in Loop: Header=BB6_5734 Depth=3
	s_mov_b32 s17, 0
                                        ; implicit-def: $sgpr31
	s_delay_alu instid0(VALU_DEP_1) | instskip(NEXT) | instid1(SALU_CYCLE_1)
	s_and_saveexec_b32 vcc_lo, s13
	s_xor_b32 s13, exec_lo, vcc_lo
	s_cbranch_execnz .LBB6_8516
; %bb.7418:                             ;   in Loop: Header=BB6_5734 Depth=3
	s_or_saveexec_b32 s13, s13
	v_mov_b32_e32 v105, s31
	s_xor_b32 exec_lo, exec_lo, s13
	s_cbranch_execnz .LBB6_8519
.LBB6_7419:                             ;   in Loop: Header=BB6_5734 Depth=3
	s_or_b32 exec_lo, exec_lo, s13
	s_and_saveexec_b32 s13, s17
	s_cbranch_execz .LBB6_7421
.LBB6_7420:                             ;   in Loop: Header=BB6_5734 Depth=3
	v_bfe_u32 v105, v14, 16, 3
	v_bfe_u32 v108, v14, 19, 4
	v_lshlrev_b32_e32 v109, 24, v95
	s_delay_alu instid0(VALU_DEP_3) | instskip(NEXT) | instid1(VALU_DEP_3)
	v_clz_i32_u32_e32 v106, v105
	v_cmp_eq_u32_e32 vcc_lo, 0, v108
	s_delay_alu instid0(VALU_DEP_2) | instskip(NEXT) | instid1(VALU_DEP_1)
	v_min_u32_e32 v106, 32, v106
	v_subrev_nc_u32_e32 v107, 28, v106
	v_sub_nc_u32_e32 v106, 29, v106
	s_delay_alu instid0(VALU_DEP_1) | instskip(NEXT) | instid1(VALU_DEP_1)
	v_dual_cndmask_b32 v106, v108, v106 :: v_dual_lshlrev_b32 v107, v107, v95
	v_and_b32_e32 v107, 7, v107
	s_delay_alu instid0(VALU_DEP_2) | instskip(NEXT) | instid1(VALU_DEP_2)
	v_lshl_add_u32 v106, v106, 23, 0x3b800000
	v_cndmask_b32_e32 v105, v105, v107, vcc_lo
	v_and_b32_e32 v107, 0x80000000, v109
	s_delay_alu instid0(VALU_DEP_2) | instskip(NEXT) | instid1(VALU_DEP_1)
	v_lshlrev_b32_e32 v105, 20, v105
	v_or3_b32 v105, v107, v106, v105
.LBB6_7421:                             ;   in Loop: Header=BB6_5734 Depth=3
	s_or_b32 exec_lo, exec_lo, s13
	v_and_b32_e32 v107, 0xff, v94
	s_mov_b32 s13, 0
	s_mov_b32 s31, exec_lo
                                        ; implicit-def: $sgpr17
	s_delay_alu instid0(VALU_DEP_1)
	v_cmpx_lt_i16_e32 0x7f, v107
	s_xor_b32 s31, exec_lo, s31
	s_cbranch_execnz .LBB6_8520
; %bb.7422:                             ;   in Loop: Header=BB6_5734 Depth=3
	s_or_saveexec_b32 s31, s31
	v_mov_b32_e32 v106, s17
	s_xor_b32 exec_lo, exec_lo, s31
	s_cbranch_execnz .LBB6_8523
.LBB6_7423:                             ;   in Loop: Header=BB6_5734 Depth=3
	s_or_b32 exec_lo, exec_lo, s31
	s_and_saveexec_b32 s17, s13
	s_cbranch_execz .LBB6_7425
.LBB6_7424:                             ;   in Loop: Header=BB6_5734 Depth=3
	v_bfe_u32 v106, v10, 16, 3
	v_bfe_u32 v109, v10, 19, 4
	v_lshlrev_b32_e32 v110, 24, v94
	s_delay_alu instid0(VALU_DEP_3) | instskip(NEXT) | instid1(VALU_DEP_3)
	v_clz_i32_u32_e32 v107, v106
	v_cmp_eq_u32_e32 vcc_lo, 0, v109
	s_delay_alu instid0(VALU_DEP_2) | instskip(NEXT) | instid1(VALU_DEP_1)
	v_min_u32_e32 v107, 32, v107
	v_subrev_nc_u32_e32 v108, 28, v107
	v_sub_nc_u32_e32 v107, 29, v107
	s_delay_alu instid0(VALU_DEP_1) | instskip(NEXT) | instid1(VALU_DEP_1)
	v_dual_cndmask_b32 v107, v109, v107 :: v_dual_lshlrev_b32 v108, v108, v94
	v_and_b32_e32 v108, 7, v108
	s_delay_alu instid0(VALU_DEP_2) | instskip(NEXT) | instid1(VALU_DEP_2)
	v_lshl_add_u32 v107, v107, 23, 0x3b800000
	v_cndmask_b32_e32 v106, v106, v108, vcc_lo
	v_and_b32_e32 v108, 0x80000000, v110
	s_delay_alu instid0(VALU_DEP_2) | instskip(NEXT) | instid1(VALU_DEP_1)
	v_lshlrev_b32_e32 v106, 20, v106
	v_or3_b32 v106, v108, v107, v106
.LBB6_7425:                             ;   in Loop: Header=BB6_5734 Depth=3
	s_or_b32 exec_lo, exec_lo, s17
	s_delay_alu instid0(VALU_DEP_1) | instskip(SKIP_1) | instid1(VALU_DEP_1)
	v_dual_max_f32 v106, v106, v106 :: v_dual_max_f32 v105, v105, v105
	s_mov_b32 s13, 0
	v_max_f32_e32 v105, v105, v106
	s_branch .LBB6_7427
.LBB6_7426:                             ;   in Loop: Header=BB6_5734 Depth=3
	s_mov_b32 s13, -1
                                        ; implicit-def: $vgpr105
.LBB6_7427:                             ;   in Loop: Header=BB6_5734 Depth=3
	s_delay_alu instid0(SALU_CYCLE_1)
	s_and_b32 vcc_lo, exec_lo, s13
	s_cbranch_vccz .LBB6_7437
; %bb.7428:                             ;   in Loop: Header=BB6_5734 Depth=3
	s_mov_b32 s13, 0
	s_mov_b32 s31, exec_lo
                                        ; implicit-def: $sgpr17
	v_cmpx_lt_i16_e32 0x7f, v104
	s_xor_b32 s31, exec_lo, s31
	s_cbranch_execnz .LBB6_8524
; %bb.7429:                             ;   in Loop: Header=BB6_5734 Depth=3
	s_or_saveexec_b32 s31, s31
	v_mov_b32_e32 v105, s17
	s_xor_b32 exec_lo, exec_lo, s31
	s_cbranch_execnz .LBB6_8527
.LBB6_7430:                             ;   in Loop: Header=BB6_5734 Depth=3
	s_or_b32 exec_lo, exec_lo, s31
	s_and_saveexec_b32 s17, s13
	s_cbranch_execz .LBB6_7432
.LBB6_7431:                             ;   in Loop: Header=BB6_5734 Depth=3
	v_bfe_u32 v104, v14, 16, 3
	v_bfe_u32 v107, v14, 19, 4
	s_delay_alu instid0(VALU_DEP_2) | instskip(NEXT) | instid1(VALU_DEP_2)
	v_clz_i32_u32_e32 v105, v104
	v_cmp_eq_u32_e32 vcc_lo, 0, v107
	s_delay_alu instid0(VALU_DEP_2) | instskip(NEXT) | instid1(VALU_DEP_1)
	v_min_u32_e32 v105, 32, v105
	v_subrev_nc_u32_e32 v106, 28, v105
	v_sub_nc_u32_e32 v105, 29, v105
	s_delay_alu instid0(VALU_DEP_1) | instskip(NEXT) | instid1(VALU_DEP_1)
	v_dual_cndmask_b32 v105, v107, v105 :: v_dual_lshlrev_b32 v106, v106, v95
	v_and_b32_e32 v106, 7, v106
	v_lshlrev_b32_e32 v95, 24, v95
	s_delay_alu instid0(VALU_DEP_3) | instskip(NEXT) | instid1(VALU_DEP_2)
	v_lshl_add_u32 v105, v105, 23, 0x3b800000
	v_dual_cndmask_b32 v104, v104, v106 :: v_dual_and_b32 v95, 0x80000000, v95
	s_delay_alu instid0(VALU_DEP_1) | instskip(NEXT) | instid1(VALU_DEP_1)
	v_lshlrev_b32_e32 v104, 20, v104
	v_or3_b32 v105, v95, v105, v104
.LBB6_7432:                             ;   in Loop: Header=BB6_5734 Depth=3
	s_or_b32 exec_lo, exec_lo, s17
	v_and_b32_e32 v104, 0xff, v94
	s_mov_b32 s13, 0
	s_mov_b32 s31, exec_lo
                                        ; implicit-def: $sgpr17
	s_delay_alu instid0(VALU_DEP_1)
	v_cmpx_lt_i16_e32 0x7f, v104
	s_xor_b32 s31, exec_lo, s31
	s_cbranch_execnz .LBB6_8528
; %bb.7433:                             ;   in Loop: Header=BB6_5734 Depth=3
	s_or_saveexec_b32 s31, s31
	v_mov_b32_e32 v95, s17
	s_xor_b32 exec_lo, exec_lo, s31
	s_cbranch_execnz .LBB6_8531
.LBB6_7434:                             ;   in Loop: Header=BB6_5734 Depth=3
	s_or_b32 exec_lo, exec_lo, s31
	s_and_saveexec_b32 s17, s13
	s_cbranch_execz .LBB6_7436
.LBB6_7435:                             ;   in Loop: Header=BB6_5734 Depth=3
	v_bfe_u32 v95, v10, 16, 3
	v_bfe_u32 v107, v10, 19, 4
	s_delay_alu instid0(VALU_DEP_2) | instskip(NEXT) | instid1(VALU_DEP_2)
	v_clz_i32_u32_e32 v104, v95
	v_cmp_eq_u32_e32 vcc_lo, 0, v107
	s_delay_alu instid0(VALU_DEP_2) | instskip(NEXT) | instid1(VALU_DEP_1)
	v_min_u32_e32 v104, 32, v104
	v_subrev_nc_u32_e32 v106, 28, v104
	v_sub_nc_u32_e32 v104, 29, v104
	s_delay_alu instid0(VALU_DEP_2) | instskip(SKIP_1) | instid1(VALU_DEP_2)
	v_lshlrev_b32_e32 v106, v106, v94
	v_lshlrev_b32_e32 v94, 24, v94
	v_and_b32_e32 v106, 7, v106
	s_delay_alu instid0(VALU_DEP_2) | instskip(NEXT) | instid1(VALU_DEP_2)
	v_and_b32_e32 v94, 0x80000000, v94
	v_cndmask_b32_e32 v95, v95, v106, vcc_lo
	s_delay_alu instid0(VALU_DEP_1) | instskip(NEXT) | instid1(VALU_DEP_1)
	v_dual_cndmask_b32 v104, v107, v104 :: v_dual_lshlrev_b32 v95, 20, v95
	v_lshl_add_u32 v104, v104, 23, 0x3b800000
	s_delay_alu instid0(VALU_DEP_1)
	v_or3_b32 v95, v94, v104, v95
.LBB6_7436:                             ;   in Loop: Header=BB6_5734 Depth=3
	s_or_b32 exec_lo, exec_lo, s17
	s_delay_alu instid0(VALU_DEP_1) | instskip(NEXT) | instid1(VALU_DEP_1)
	v_dual_max_f32 v94, v95, v95 :: v_dual_max_f32 v95, v105, v105
	v_min_f32_e32 v105, v95, v94
.LBB6_7437:                             ;   in Loop: Header=BB6_5734 Depth=3
	s_delay_alu instid0(VALU_DEP_1) | instskip(NEXT) | instid1(VALU_DEP_1)
	v_and_b32_e32 v94, 0x7f800000, v105
	v_cmp_ne_u32_e32 vcc_lo, 0x7f800000, v94
	v_mov_b32_e32 v94, 0x80
	s_and_saveexec_b32 s17, vcc_lo
	s_cbranch_execz .LBB6_7445
; %bb.7438:                             ;   in Loop: Header=BB6_5734 Depth=3
	v_mov_b32_e32 v94, 0
	s_mov_b32 s31, exec_lo
	v_cmpx_ne_u32_e32 0, v105
	s_cbranch_execz .LBB6_7444
; %bb.7439:                             ;   in Loop: Header=BB6_5734 Depth=3
	v_bfe_u32 v94, v105, 23, 8
	s_delay_alu instid0(VALU_DEP_1) | instskip(SKIP_1) | instid1(VALU_DEP_2)
	v_sub_nc_u32_e32 v104, 0x78, v94
	v_cmp_gt_u32_e32 vcc_lo, 0x79, v94
	v_dual_cndmask_b32 v104, 0, v104 :: v_dual_and_b32 v95, 0x7fffff, v105
	s_delay_alu instid0(VALU_DEP_1) | instskip(SKIP_2) | instid1(VALU_DEP_4)
	v_or_b32_e32 v106, 0x800000, v95
	v_cmp_eq_u32_e32 vcc_lo, 0, v94
	v_add_nc_u32_e32 v94, 0xffffff89, v94
	v_cndmask_b32_e64 v104, v104, 0x77, vcc_lo
	s_delay_alu instid0(VALU_DEP_4) | instskip(NEXT) | instid1(VALU_DEP_3)
	v_cndmask_b32_e32 v95, v106, v95, vcc_lo
	v_cndmask_b32_e64 v94, v94, 0xffffff8a, vcc_lo
	s_delay_alu instid0(VALU_DEP_3) | instskip(NEXT) | instid1(VALU_DEP_3)
	v_lshl_add_u32 v106, 0x100000, v104, -1
	v_lshrrev_b32_e32 v107, v104, v95
	v_lshlrev_b32_e64 v109, v104, 0x80000
	s_delay_alu instid0(VALU_DEP_4) | instskip(NEXT) | instid1(VALU_DEP_4)
	v_add_nc_u32_e32 v104, v104, v94
	v_and_b32_e32 v95, v106, v95
	s_delay_alu instid0(VALU_DEP_4) | instskip(NEXT) | instid1(VALU_DEP_2)
	v_bfe_u32 v108, v107, 20, 1
	v_cmp_eq_u32_e64 s13, v95, v109
	s_delay_alu instid0(VALU_DEP_2) | instskip(NEXT) | instid1(VALU_DEP_1)
	v_add_nc_u32_e32 v106, -1, v108
	v_cndmask_b32_e64 v95, 0, v106, s13
	v_lshrrev_b32_e32 v106, 23, v107
	s_mov_b32 s13, exec_lo
	s_delay_alu instid0(VALU_DEP_2) | instskip(NEXT) | instid1(VALU_DEP_2)
	v_add_nc_u32_e32 v95, v95, v107
	v_xor_b32_e32 v106, 1, v106
	s_delay_alu instid0(VALU_DEP_2) | instskip(NEXT) | instid1(VALU_DEP_1)
	v_and_b32_e32 v94, 0xfffff, v95
	v_add_nc_u32_e32 v95, v94, v107
                                        ; implicit-def: $vgpr94
	s_delay_alu instid0(VALU_DEP_3)
	v_cmpx_ne_u32_e64 v104, v106
	s_xor_b32 s13, exec_lo, s13
; %bb.7440:                             ;   in Loop: Header=BB6_5734 Depth=3
	s_delay_alu instid0(VALU_DEP_2) | instskip(SKIP_2) | instid1(VALU_DEP_2)
	v_cmp_lt_u32_e32 vcc_lo, 0xffffff, v95
	v_sub_nc_u32_e32 v94, v104, v106
	v_cndmask_b32_e64 v104, 0, 1, vcc_lo
	v_add_co_ci_u32_e32 v94, vcc_lo, 0, v94, vcc_lo
	s_delay_alu instid0(VALU_DEP_2)
	v_lshrrev_b32_e32 v95, v104, v95
; %bb.7441:                             ;   in Loop: Header=BB6_5734 Depth=3
	s_and_not1_saveexec_b32 s13, s13
; %bb.7442:                             ;   in Loop: Header=BB6_5734 Depth=3
	s_delay_alu instid0(VALU_DEP_1)
	v_bfe_u32 v94, v95, 23, 1
; %bb.7443:                             ;   in Loop: Header=BB6_5734 Depth=3
	s_or_b32 exec_lo, exec_lo, s13
	v_lshrrev_b32_e32 v95, 20, v95
	s_delay_alu instid0(VALU_DEP_2) | instskip(SKIP_2) | instid1(VALU_DEP_2)
	v_cmp_gt_i32_e32 vcc_lo, 16, v94
	v_lshrrev_b32_e32 v104, 24, v105
	v_min_i32_e32 v105, 15, v94
	v_dual_cndmask_b32 v95, 7, v95 :: v_dual_and_b32 v104, 0x80, v104
	s_delay_alu instid0(VALU_DEP_1) | instskip(SKIP_1) | instid1(VALU_DEP_2)
	v_or_b32_e32 v94, v94, v95
	v_and_b32_e32 v106, 7, v95
	v_cmp_ne_u32_e32 vcc_lo, 0, v94
	v_lshlrev_b32_e32 v105, 3, v105
	s_delay_alu instid0(VALU_DEP_1) | instskip(NEXT) | instid1(VALU_DEP_1)
	v_or3_b32 v95, v105, v104, v106
	v_cndmask_b32_e32 v94, 0, v95, vcc_lo
.LBB6_7444:                             ;   in Loop: Header=BB6_5734 Depth=3
	s_or_b32 exec_lo, exec_lo, s31
.LBB6_7445:                             ;   in Loop: Header=BB6_5734 Depth=3
	s_delay_alu instid0(SALU_CYCLE_1) | instskip(SKIP_3) | instid1(VALU_DEP_2)
	s_or_b32 exec_lo, exec_lo, s17
	v_lshrrev_b32_e32 v104, 24, v14
	v_lshrrev_b32_e32 v95, 24, v10
	s_and_not1_b32 vcc_lo, exec_lo, s16
	v_cmp_lt_i16_e64 s13, 0x7f, v104
	s_cbranch_vccnz .LBB6_7455
; %bb.7446:                             ;   in Loop: Header=BB6_5734 Depth=3
	s_mov_b32 s17, 0
                                        ; implicit-def: $sgpr31
	s_delay_alu instid0(VALU_DEP_1) | instskip(NEXT) | instid1(SALU_CYCLE_1)
	s_and_saveexec_b32 vcc_lo, s13
	s_xor_b32 s13, exec_lo, vcc_lo
	s_cbranch_execnz .LBB6_8532
; %bb.7447:                             ;   in Loop: Header=BB6_5734 Depth=3
	s_or_saveexec_b32 s13, s13
	v_mov_b32_e32 v105, s31
	s_xor_b32 exec_lo, exec_lo, s13
	s_cbranch_execnz .LBB6_8535
.LBB6_7448:                             ;   in Loop: Header=BB6_5734 Depth=3
	s_or_b32 exec_lo, exec_lo, s13
	s_and_saveexec_b32 s13, s17
	s_cbranch_execz .LBB6_7450
.LBB6_7449:                             ;   in Loop: Header=BB6_5734 Depth=3
	v_bfe_u32 v105, v14, 24, 3
	v_bfe_u32 v108, v14, 27, 4
	s_delay_alu instid0(VALU_DEP_2) | instskip(NEXT) | instid1(VALU_DEP_2)
	v_clz_i32_u32_e32 v106, v105
	v_cmp_eq_u32_e32 vcc_lo, 0, v108
	s_delay_alu instid0(VALU_DEP_2) | instskip(NEXT) | instid1(VALU_DEP_1)
	v_min_u32_e32 v106, 32, v106
	v_subrev_nc_u32_e32 v107, 28, v106
	v_sub_nc_u32_e32 v106, 29, v106
	s_delay_alu instid0(VALU_DEP_1) | instskip(NEXT) | instid1(VALU_DEP_1)
	v_dual_cndmask_b32 v106, v108, v106 :: v_dual_lshlrev_b32 v107, v107, v104
	v_and_b32_e32 v107, 7, v107
	s_delay_alu instid0(VALU_DEP_2) | instskip(NEXT) | instid1(VALU_DEP_2)
	v_lshl_add_u32 v106, v106, 23, 0x3b800000
	v_cndmask_b32_e32 v105, v105, v107, vcc_lo
	v_and_b32_e32 v107, 0x80000000, v14
	s_delay_alu instid0(VALU_DEP_2) | instskip(NEXT) | instid1(VALU_DEP_1)
	v_lshlrev_b32_e32 v105, 20, v105
	v_or3_b32 v105, v107, v106, v105
.LBB6_7450:                             ;   in Loop: Header=BB6_5734 Depth=3
	s_or_b32 exec_lo, exec_lo, s13
	s_mov_b32 s13, 0
	s_mov_b32 s31, exec_lo
                                        ; implicit-def: $sgpr17
	v_cmpx_lt_i16_e32 0x7f, v95
	s_xor_b32 s31, exec_lo, s31
	s_cbranch_execnz .LBB6_8536
; %bb.7451:                             ;   in Loop: Header=BB6_5734 Depth=3
	s_or_saveexec_b32 s31, s31
	v_mov_b32_e32 v106, s17
	s_xor_b32 exec_lo, exec_lo, s31
	s_cbranch_execnz .LBB6_8539
.LBB6_7452:                             ;   in Loop: Header=BB6_5734 Depth=3
	s_or_b32 exec_lo, exec_lo, s31
	s_and_saveexec_b32 s17, s13
	s_cbranch_execz .LBB6_7454
.LBB6_7453:                             ;   in Loop: Header=BB6_5734 Depth=3
	v_bfe_u32 v106, v10, 24, 3
	v_bfe_u32 v109, v10, 27, 4
	s_delay_alu instid0(VALU_DEP_2) | instskip(NEXT) | instid1(VALU_DEP_2)
	v_clz_i32_u32_e32 v107, v106
	v_cmp_eq_u32_e32 vcc_lo, 0, v109
	s_delay_alu instid0(VALU_DEP_2) | instskip(NEXT) | instid1(VALU_DEP_1)
	v_min_u32_e32 v107, 32, v107
	v_subrev_nc_u32_e32 v108, 28, v107
	v_sub_nc_u32_e32 v107, 29, v107
	s_delay_alu instid0(VALU_DEP_2) | instskip(NEXT) | instid1(VALU_DEP_1)
	v_lshlrev_b32_e32 v108, v108, v95
	v_dual_cndmask_b32 v107, v109, v107 :: v_dual_and_b32 v108, 7, v108
	s_delay_alu instid0(VALU_DEP_1) | instskip(NEXT) | instid1(VALU_DEP_2)
	v_lshl_add_u32 v107, v107, 23, 0x3b800000
	v_cndmask_b32_e32 v106, v106, v108, vcc_lo
	v_and_b32_e32 v108, 0x80000000, v10
	s_delay_alu instid0(VALU_DEP_2) | instskip(NEXT) | instid1(VALU_DEP_1)
	v_lshlrev_b32_e32 v106, 20, v106
	v_or3_b32 v106, v108, v107, v106
.LBB6_7454:                             ;   in Loop: Header=BB6_5734 Depth=3
	s_or_b32 exec_lo, exec_lo, s17
	s_delay_alu instid0(VALU_DEP_1) | instskip(SKIP_1) | instid1(VALU_DEP_1)
	v_dual_max_f32 v106, v106, v106 :: v_dual_max_f32 v105, v105, v105
	s_mov_b32 s13, 0
	v_max_f32_e32 v105, v105, v106
	s_branch .LBB6_7456
.LBB6_7455:                             ;   in Loop: Header=BB6_5734 Depth=3
	s_mov_b32 s13, -1
                                        ; implicit-def: $vgpr105
.LBB6_7456:                             ;   in Loop: Header=BB6_5734 Depth=3
	s_delay_alu instid0(SALU_CYCLE_1)
	s_and_b32 vcc_lo, exec_lo, s13
	s_cbranch_vccz .LBB6_7466
; %bb.7457:                             ;   in Loop: Header=BB6_5734 Depth=3
	s_mov_b32 s13, 0
	s_mov_b32 s31, exec_lo
                                        ; implicit-def: $sgpr17
	v_cmpx_lt_i16_e32 0x7f, v104
	s_xor_b32 s31, exec_lo, s31
	s_cbranch_execnz .LBB6_8540
; %bb.7458:                             ;   in Loop: Header=BB6_5734 Depth=3
	s_or_saveexec_b32 s31, s31
	v_mov_b32_e32 v105, s17
	s_xor_b32 exec_lo, exec_lo, s31
	s_cbranch_execnz .LBB6_8543
.LBB6_7459:                             ;   in Loop: Header=BB6_5734 Depth=3
	s_or_b32 exec_lo, exec_lo, s31
	s_and_saveexec_b32 s17, s13
	s_cbranch_execz .LBB6_7461
.LBB6_7460:                             ;   in Loop: Header=BB6_5734 Depth=3
	v_bfe_u32 v105, v14, 24, 3
	s_delay_alu instid0(VALU_DEP_1) | instskip(NEXT) | instid1(VALU_DEP_1)
	v_clz_i32_u32_e32 v106, v105
	v_min_u32_e32 v106, 32, v106
	s_delay_alu instid0(VALU_DEP_1) | instskip(SKIP_1) | instid1(VALU_DEP_2)
	v_subrev_nc_u32_e32 v107, 28, v106
	v_sub_nc_u32_e32 v106, 29, v106
	v_lshlrev_b32_e32 v104, v107, v104
	v_bfe_u32 v107, v14, 27, 4
	v_and_b32_e32 v14, 0x80000000, v14
	s_delay_alu instid0(VALU_DEP_3) | instskip(NEXT) | instid1(VALU_DEP_3)
	v_and_b32_e32 v104, 7, v104
	v_cmp_eq_u32_e32 vcc_lo, 0, v107
	v_cndmask_b32_e32 v106, v107, v106, vcc_lo
	s_delay_alu instid0(VALU_DEP_3) | instskip(NEXT) | instid1(VALU_DEP_2)
	v_cndmask_b32_e32 v104, v105, v104, vcc_lo
	v_lshl_add_u32 v105, v106, 23, 0x3b800000
	s_delay_alu instid0(VALU_DEP_2) | instskip(NEXT) | instid1(VALU_DEP_1)
	v_lshlrev_b32_e32 v104, 20, v104
	v_or3_b32 v105, v14, v105, v104
.LBB6_7461:                             ;   in Loop: Header=BB6_5734 Depth=3
	s_or_b32 exec_lo, exec_lo, s17
	s_mov_b32 s13, 0
	s_mov_b32 s31, exec_lo
                                        ; implicit-def: $sgpr17
	v_cmpx_lt_i16_e32 0x7f, v95
	s_xor_b32 s31, exec_lo, s31
	s_cbranch_execnz .LBB6_8544
; %bb.7462:                             ;   in Loop: Header=BB6_5734 Depth=3
	s_or_saveexec_b32 s31, s31
	v_mov_b32_e32 v14, s17
	s_xor_b32 exec_lo, exec_lo, s31
	s_cbranch_execnz .LBB6_8547
.LBB6_7463:                             ;   in Loop: Header=BB6_5734 Depth=3
	s_or_b32 exec_lo, exec_lo, s31
	s_and_saveexec_b32 s17, s13
	s_cbranch_execz .LBB6_7465
.LBB6_7464:                             ;   in Loop: Header=BB6_5734 Depth=3
	v_bfe_u32 v14, v10, 24, 3
	s_delay_alu instid0(VALU_DEP_1) | instskip(NEXT) | instid1(VALU_DEP_1)
	v_clz_i32_u32_e32 v104, v14
	v_min_u32_e32 v104, 32, v104
	s_delay_alu instid0(VALU_DEP_1) | instskip(SKIP_1) | instid1(VALU_DEP_2)
	v_subrev_nc_u32_e32 v106, 28, v104
	v_sub_nc_u32_e32 v104, 29, v104
	v_lshlrev_b32_e32 v95, v106, v95
	v_bfe_u32 v106, v10, 27, 4
	v_and_b32_e32 v10, 0x80000000, v10
	s_delay_alu instid0(VALU_DEP_2) | instskip(NEXT) | instid1(VALU_DEP_4)
	v_cmp_eq_u32_e32 vcc_lo, 0, v106
	v_dual_cndmask_b32 v104, v106, v104 :: v_dual_and_b32 v95, 7, v95
	s_delay_alu instid0(VALU_DEP_1) | instskip(NEXT) | instid1(VALU_DEP_2)
	v_cndmask_b32_e32 v14, v14, v95, vcc_lo
	v_lshl_add_u32 v95, v104, 23, 0x3b800000
	s_delay_alu instid0(VALU_DEP_2) | instskip(NEXT) | instid1(VALU_DEP_1)
	v_lshlrev_b32_e32 v14, 20, v14
	v_or3_b32 v14, v10, v95, v14
.LBB6_7465:                             ;   in Loop: Header=BB6_5734 Depth=3
	s_or_b32 exec_lo, exec_lo, s17
	s_delay_alu instid0(VALU_DEP_1) | instskip(SKIP_1) | instid1(VALU_DEP_1)
	v_max_f32_e32 v10, v14, v14
	v_max_f32_e32 v14, v105, v105
	v_min_f32_e32 v105, v14, v10
.LBB6_7466:                             ;   in Loop: Header=BB6_5734 Depth=3
	s_delay_alu instid0(VALU_DEP_1) | instskip(NEXT) | instid1(VALU_DEP_1)
	v_and_b32_e32 v10, 0x7f800000, v105
	v_cmp_ne_u32_e32 vcc_lo, 0x7f800000, v10
	v_mov_b32_e32 v10, 0x80
	s_and_saveexec_b32 s17, vcc_lo
	s_cbranch_execz .LBB6_7474
; %bb.7467:                             ;   in Loop: Header=BB6_5734 Depth=3
	v_mov_b32_e32 v10, 0
	s_mov_b32 s31, exec_lo
	v_cmpx_ne_u32_e32 0, v105
	s_cbranch_execz .LBB6_7473
; %bb.7468:                             ;   in Loop: Header=BB6_5734 Depth=3
	v_bfe_u32 v10, v105, 23, 8
	s_delay_alu instid0(VALU_DEP_1) | instskip(SKIP_1) | instid1(VALU_DEP_2)
	v_sub_nc_u32_e32 v95, 0x78, v10
	v_cmp_gt_u32_e32 vcc_lo, 0x79, v10
	v_dual_cndmask_b32 v95, 0, v95 :: v_dual_and_b32 v14, 0x7fffff, v105
	s_delay_alu instid0(VALU_DEP_1) | instskip(SKIP_2) | instid1(VALU_DEP_4)
	v_or_b32_e32 v104, 0x800000, v14
	v_cmp_eq_u32_e32 vcc_lo, 0, v10
	v_add_nc_u32_e32 v10, 0xffffff89, v10
	v_cndmask_b32_e64 v95, v95, 0x77, vcc_lo
	s_delay_alu instid0(VALU_DEP_4) | instskip(NEXT) | instid1(VALU_DEP_3)
	v_cndmask_b32_e32 v14, v104, v14, vcc_lo
	v_cndmask_b32_e64 v10, v10, 0xffffff8a, vcc_lo
	s_delay_alu instid0(VALU_DEP_3) | instskip(NEXT) | instid1(VALU_DEP_3)
	v_lshl_add_u32 v104, 0x100000, v95, -1
	v_lshrrev_b32_e32 v106, v95, v14
	v_lshlrev_b32_e64 v108, v95, 0x80000
	s_delay_alu instid0(VALU_DEP_4) | instskip(NEXT) | instid1(VALU_DEP_4)
	v_add_nc_u32_e32 v95, v95, v10
	v_and_b32_e32 v14, v104, v14
	s_delay_alu instid0(VALU_DEP_4) | instskip(NEXT) | instid1(VALU_DEP_2)
	v_bfe_u32 v107, v106, 20, 1
	v_cmp_eq_u32_e64 s13, v14, v108
	s_delay_alu instid0(VALU_DEP_2) | instskip(NEXT) | instid1(VALU_DEP_1)
	v_add_nc_u32_e32 v104, -1, v107
	v_cndmask_b32_e64 v14, 0, v104, s13
	v_lshrrev_b32_e32 v104, 23, v106
	s_mov_b32 s13, exec_lo
	s_delay_alu instid0(VALU_DEP_2) | instskip(NEXT) | instid1(VALU_DEP_2)
	v_add_nc_u32_e32 v14, v14, v106
	v_xor_b32_e32 v104, 1, v104
	s_delay_alu instid0(VALU_DEP_2) | instskip(NEXT) | instid1(VALU_DEP_1)
	v_and_b32_e32 v10, 0xfffff, v14
	v_add_nc_u32_e32 v14, v10, v106
                                        ; implicit-def: $vgpr10
	s_delay_alu instid0(VALU_DEP_3)
	v_cmpx_ne_u32_e64 v95, v104
	s_xor_b32 s13, exec_lo, s13
; %bb.7469:                             ;   in Loop: Header=BB6_5734 Depth=3
	s_delay_alu instid0(VALU_DEP_2) | instskip(SKIP_2) | instid1(VALU_DEP_2)
	v_cmp_lt_u32_e32 vcc_lo, 0xffffff, v14
	v_sub_nc_u32_e32 v10, v95, v104
	v_cndmask_b32_e64 v95, 0, 1, vcc_lo
	v_add_co_ci_u32_e32 v10, vcc_lo, 0, v10, vcc_lo
	s_delay_alu instid0(VALU_DEP_2)
	v_lshrrev_b32_e32 v14, v95, v14
; %bb.7470:                             ;   in Loop: Header=BB6_5734 Depth=3
	s_and_not1_saveexec_b32 s13, s13
; %bb.7471:                             ;   in Loop: Header=BB6_5734 Depth=3
	s_delay_alu instid0(VALU_DEP_1)
	v_bfe_u32 v10, v14, 23, 1
; %bb.7472:                             ;   in Loop: Header=BB6_5734 Depth=3
	s_or_b32 exec_lo, exec_lo, s13
	v_lshrrev_b32_e32 v14, 20, v14
	s_delay_alu instid0(VALU_DEP_2) | instskip(SKIP_2) | instid1(VALU_DEP_2)
	v_cmp_gt_i32_e32 vcc_lo, 16, v10
	v_lshrrev_b32_e32 v95, 24, v105
	v_min_i32_e32 v104, 15, v10
	v_dual_cndmask_b32 v14, 7, v14 :: v_dual_and_b32 v95, 0x80, v95
	s_delay_alu instid0(VALU_DEP_2) | instskip(NEXT) | instid1(VALU_DEP_2)
	v_lshlrev_b32_e32 v104, 3, v104
	v_and_b32_e32 v105, 7, v14
	v_or_b32_e32 v10, v10, v14
	s_delay_alu instid0(VALU_DEP_2) | instskip(NEXT) | instid1(VALU_DEP_2)
	v_or3_b32 v14, v104, v95, v105
	v_cmp_ne_u32_e32 vcc_lo, 0, v10
	s_delay_alu instid0(VALU_DEP_2)
	v_cndmask_b32_e32 v10, 0, v14, vcc_lo
.LBB6_7473:                             ;   in Loop: Header=BB6_5734 Depth=3
	s_or_b32 exec_lo, exec_lo, s31
.LBB6_7474:                             ;   in Loop: Header=BB6_5734 Depth=3
	s_delay_alu instid0(SALU_CYCLE_1) | instskip(SKIP_2) | instid1(VALU_DEP_1)
	s_or_b32 exec_lo, exec_lo, s17
	v_and_b32_e32 v14, 0xff, v15
	s_and_not1_b32 vcc_lo, exec_lo, s16
	v_cmp_lt_i16_e64 s13, 0x7f, v14
	s_cbranch_vccnz .LBB6_7484
; %bb.7475:                             ;   in Loop: Header=BB6_5734 Depth=3
	s_mov_b32 s17, 0
                                        ; implicit-def: $sgpr31
	s_delay_alu instid0(VALU_DEP_1) | instskip(NEXT) | instid1(SALU_CYCLE_1)
	s_and_saveexec_b32 vcc_lo, s13
	s_xor_b32 s13, exec_lo, vcc_lo
	s_cbranch_execnz .LBB6_8548
; %bb.7476:                             ;   in Loop: Header=BB6_5734 Depth=3
	s_or_saveexec_b32 s13, s13
	v_mov_b32_e32 v95, s31
	s_xor_b32 exec_lo, exec_lo, s13
	s_cbranch_execnz .LBB6_8551
.LBB6_7477:                             ;   in Loop: Header=BB6_5734 Depth=3
	s_or_b32 exec_lo, exec_lo, s13
	s_and_saveexec_b32 s13, s17
	s_cbranch_execz .LBB6_7479
.LBB6_7478:                             ;   in Loop: Header=BB6_5734 Depth=3
	v_bfe_u32 v106, v15, 3, 4
	v_lshlrev_b32_e32 v107, 24, v15
	s_delay_alu instid0(VALU_DEP_2) | instskip(SKIP_1) | instid1(VALU_DEP_1)
	v_cmp_eq_u32_e32 vcc_lo, 0, v106
	v_and_b32_e32 v95, 7, v15
	v_clz_i32_u32_e32 v104, v95
	s_delay_alu instid0(VALU_DEP_1) | instskip(NEXT) | instid1(VALU_DEP_1)
	v_min_u32_e32 v104, 32, v104
	v_subrev_nc_u32_e32 v105, 28, v104
	v_sub_nc_u32_e32 v104, 29, v104
	s_delay_alu instid0(VALU_DEP_1) | instskip(NEXT) | instid1(VALU_DEP_1)
	v_dual_cndmask_b32 v104, v106, v104 :: v_dual_lshlrev_b32 v105, v105, v15
	v_and_b32_e32 v105, 7, v105
	s_delay_alu instid0(VALU_DEP_2) | instskip(NEXT) | instid1(VALU_DEP_2)
	v_lshl_add_u32 v104, v104, 23, 0x3b800000
	v_cndmask_b32_e32 v95, v95, v105, vcc_lo
	v_and_b32_e32 v105, 0x80000000, v107
	s_delay_alu instid0(VALU_DEP_2) | instskip(NEXT) | instid1(VALU_DEP_1)
	v_lshlrev_b32_e32 v95, 20, v95
	v_or3_b32 v95, v105, v104, v95
.LBB6_7479:                             ;   in Loop: Header=BB6_5734 Depth=3
	s_or_b32 exec_lo, exec_lo, s13
	v_and_b32_e32 v105, 0xff, v11
	s_mov_b32 s13, 0
	s_mov_b32 s31, exec_lo
                                        ; implicit-def: $sgpr17
	s_delay_alu instid0(VALU_DEP_1)
	v_cmpx_lt_i16_e32 0x7f, v105
	s_xor_b32 s31, exec_lo, s31
	s_cbranch_execnz .LBB6_8552
; %bb.7480:                             ;   in Loop: Header=BB6_5734 Depth=3
	s_or_saveexec_b32 s31, s31
	v_mov_b32_e32 v104, s17
	s_xor_b32 exec_lo, exec_lo, s31
	s_cbranch_execnz .LBB6_8555
.LBB6_7481:                             ;   in Loop: Header=BB6_5734 Depth=3
	s_or_b32 exec_lo, exec_lo, s31
	s_and_saveexec_b32 s17, s13
	s_cbranch_execz .LBB6_7483
.LBB6_7482:                             ;   in Loop: Header=BB6_5734 Depth=3
	v_bfe_u32 v107, v11, 3, 4
	v_lshlrev_b32_e32 v108, 24, v11
	s_delay_alu instid0(VALU_DEP_2) | instskip(SKIP_1) | instid1(VALU_DEP_1)
	v_cmp_eq_u32_e32 vcc_lo, 0, v107
	v_and_b32_e32 v104, 7, v11
	v_clz_i32_u32_e32 v105, v104
	s_delay_alu instid0(VALU_DEP_1) | instskip(NEXT) | instid1(VALU_DEP_1)
	v_min_u32_e32 v105, 32, v105
	v_subrev_nc_u32_e32 v106, 28, v105
	v_sub_nc_u32_e32 v105, 29, v105
	s_delay_alu instid0(VALU_DEP_1) | instskip(NEXT) | instid1(VALU_DEP_1)
	v_dual_cndmask_b32 v105, v107, v105 :: v_dual_lshlrev_b32 v106, v106, v11
	v_and_b32_e32 v106, 7, v106
	s_delay_alu instid0(VALU_DEP_2) | instskip(NEXT) | instid1(VALU_DEP_2)
	v_lshl_add_u32 v105, v105, 23, 0x3b800000
	v_cndmask_b32_e32 v104, v104, v106, vcc_lo
	v_and_b32_e32 v106, 0x80000000, v108
	s_delay_alu instid0(VALU_DEP_2) | instskip(NEXT) | instid1(VALU_DEP_1)
	v_lshlrev_b32_e32 v104, 20, v104
	v_or3_b32 v104, v106, v105, v104
.LBB6_7483:                             ;   in Loop: Header=BB6_5734 Depth=3
	s_or_b32 exec_lo, exec_lo, s17
	s_delay_alu instid0(VALU_DEP_1) | instskip(SKIP_1) | instid1(VALU_DEP_1)
	v_dual_max_f32 v104, v104, v104 :: v_dual_max_f32 v95, v95, v95
	s_mov_b32 s13, 0
	v_max_f32_e32 v95, v95, v104
	s_branch .LBB6_7485
.LBB6_7484:                             ;   in Loop: Header=BB6_5734 Depth=3
	s_mov_b32 s13, -1
                                        ; implicit-def: $vgpr95
.LBB6_7485:                             ;   in Loop: Header=BB6_5734 Depth=3
	s_delay_alu instid0(SALU_CYCLE_1)
	s_and_b32 vcc_lo, exec_lo, s13
	s_cbranch_vccz .LBB6_7495
; %bb.7486:                             ;   in Loop: Header=BB6_5734 Depth=3
	s_mov_b32 s13, 0
	s_mov_b32 s31, exec_lo
                                        ; implicit-def: $sgpr17
	v_cmpx_lt_i16_e32 0x7f, v14
	s_xor_b32 s31, exec_lo, s31
	s_cbranch_execnz .LBB6_8556
; %bb.7487:                             ;   in Loop: Header=BB6_5734 Depth=3
	s_or_saveexec_b32 s31, s31
	v_mov_b32_e32 v95, s17
	s_xor_b32 exec_lo, exec_lo, s31
	s_cbranch_execnz .LBB6_8559
.LBB6_7488:                             ;   in Loop: Header=BB6_5734 Depth=3
	s_or_b32 exec_lo, exec_lo, s31
	s_and_saveexec_b32 s17, s13
	s_cbranch_execz .LBB6_7490
.LBB6_7489:                             ;   in Loop: Header=BB6_5734 Depth=3
	v_and_b32_e32 v14, 7, v15
	v_bfe_u32 v105, v15, 3, 4
	v_lshlrev_b32_e32 v106, 24, v15
	s_delay_alu instid0(VALU_DEP_3) | instskip(NEXT) | instid1(VALU_DEP_3)
	v_clz_i32_u32_e32 v95, v14
	v_cmp_eq_u32_e32 vcc_lo, 0, v105
	s_delay_alu instid0(VALU_DEP_2) | instskip(NEXT) | instid1(VALU_DEP_1)
	v_min_u32_e32 v95, 32, v95
	v_subrev_nc_u32_e32 v104, 28, v95
	v_sub_nc_u32_e32 v95, 29, v95
	s_delay_alu instid0(VALU_DEP_2) | instskip(NEXT) | instid1(VALU_DEP_1)
	v_lshlrev_b32_e32 v104, v104, v15
	v_dual_cndmask_b32 v95, v105, v95 :: v_dual_and_b32 v104, 7, v104
	s_delay_alu instid0(VALU_DEP_1) | instskip(NEXT) | instid1(VALU_DEP_2)
	v_lshl_add_u32 v95, v95, 23, 0x3b800000
	v_cndmask_b32_e32 v14, v14, v104, vcc_lo
	v_and_b32_e32 v104, 0x80000000, v106
	s_delay_alu instid0(VALU_DEP_2) | instskip(NEXT) | instid1(VALU_DEP_1)
	v_lshlrev_b32_e32 v14, 20, v14
	v_or3_b32 v95, v104, v95, v14
.LBB6_7490:                             ;   in Loop: Header=BB6_5734 Depth=3
	s_or_b32 exec_lo, exec_lo, s17
	v_and_b32_e32 v104, 0xff, v11
	s_mov_b32 s13, 0
	s_mov_b32 s31, exec_lo
                                        ; implicit-def: $sgpr17
	s_delay_alu instid0(VALU_DEP_1)
	v_cmpx_lt_i16_e32 0x7f, v104
	s_xor_b32 s31, exec_lo, s31
	s_cbranch_execnz .LBB6_8560
; %bb.7491:                             ;   in Loop: Header=BB6_5734 Depth=3
	s_or_saveexec_b32 s31, s31
	v_mov_b32_e32 v14, s17
	s_xor_b32 exec_lo, exec_lo, s31
	s_cbranch_execnz .LBB6_8563
.LBB6_7492:                             ;   in Loop: Header=BB6_5734 Depth=3
	s_or_b32 exec_lo, exec_lo, s31
	s_and_saveexec_b32 s17, s13
	s_cbranch_execz .LBB6_7494
.LBB6_7493:                             ;   in Loop: Header=BB6_5734 Depth=3
	v_and_b32_e32 v14, 7, v11
	v_bfe_u32 v106, v11, 3, 4
	s_delay_alu instid0(VALU_DEP_2) | instskip(NEXT) | instid1(VALU_DEP_2)
	v_clz_i32_u32_e32 v104, v14
	v_cmp_eq_u32_e32 vcc_lo, 0, v106
	s_delay_alu instid0(VALU_DEP_2) | instskip(NEXT) | instid1(VALU_DEP_1)
	v_min_u32_e32 v104, 32, v104
	v_subrev_nc_u32_e32 v105, 28, v104
	v_sub_nc_u32_e32 v104, 29, v104
	s_delay_alu instid0(VALU_DEP_1) | instskip(NEXT) | instid1(VALU_DEP_1)
	v_dual_cndmask_b32 v104, v106, v104 :: v_dual_lshlrev_b32 v105, v105, v11
	v_and_b32_e32 v105, 7, v105
	v_lshlrev_b32_e32 v107, 24, v11
	s_delay_alu instid0(VALU_DEP_3) | instskip(NEXT) | instid1(VALU_DEP_2)
	v_lshl_add_u32 v104, v104, 23, 0x3b800000
	v_dual_cndmask_b32 v14, v14, v105 :: v_dual_and_b32 v105, 0x80000000, v107
	s_delay_alu instid0(VALU_DEP_1) | instskip(NEXT) | instid1(VALU_DEP_1)
	v_lshlrev_b32_e32 v14, 20, v14
	v_or3_b32 v14, v105, v104, v14
.LBB6_7494:                             ;   in Loop: Header=BB6_5734 Depth=3
	s_or_b32 exec_lo, exec_lo, s17
	s_delay_alu instid0(VALU_DEP_1) | instskip(NEXT) | instid1(VALU_DEP_1)
	v_dual_max_f32 v14, v14, v14 :: v_dual_max_f32 v95, v95, v95
	v_min_f32_e32 v95, v95, v14
.LBB6_7495:                             ;   in Loop: Header=BB6_5734 Depth=3
	s_delay_alu instid0(VALU_DEP_1) | instskip(NEXT) | instid1(VALU_DEP_1)
	v_and_b32_e32 v14, 0x7f800000, v95
	v_cmp_ne_u32_e32 vcc_lo, 0x7f800000, v14
	v_mov_b32_e32 v14, 0x80
	s_and_saveexec_b32 s17, vcc_lo
	s_cbranch_execz .LBB6_7503
; %bb.7496:                             ;   in Loop: Header=BB6_5734 Depth=3
	v_mov_b32_e32 v14, 0
	s_mov_b32 s31, exec_lo
	v_cmpx_ne_u32_e32 0, v95
	s_cbranch_execz .LBB6_7502
; %bb.7497:                             ;   in Loop: Header=BB6_5734 Depth=3
	v_bfe_u32 v14, v95, 23, 8
	s_delay_alu instid0(VALU_DEP_1) | instskip(SKIP_1) | instid1(VALU_DEP_2)
	v_sub_nc_u32_e32 v105, 0x78, v14
	v_cmp_gt_u32_e32 vcc_lo, 0x79, v14
	v_dual_cndmask_b32 v105, 0, v105 :: v_dual_and_b32 v104, 0x7fffff, v95
	s_delay_alu instid0(VALU_DEP_1) | instskip(SKIP_2) | instid1(VALU_DEP_4)
	v_or_b32_e32 v106, 0x800000, v104
	v_cmp_eq_u32_e32 vcc_lo, 0, v14
	v_add_nc_u32_e32 v14, 0xffffff89, v14
	v_cndmask_b32_e64 v105, v105, 0x77, vcc_lo
	s_delay_alu instid0(VALU_DEP_2) | instskip(SKIP_1) | instid1(VALU_DEP_3)
	v_cndmask_b32_e64 v14, v14, 0xffffff8a, vcc_lo
	v_cndmask_b32_e32 v104, v106, v104, vcc_lo
	v_lshl_add_u32 v106, 0x100000, v105, -1
	v_lshlrev_b32_e64 v109, v105, 0x80000
	s_delay_alu instid0(VALU_DEP_3) | instskip(SKIP_1) | instid1(VALU_DEP_4)
	v_lshrrev_b32_e32 v107, v105, v104
	v_add_nc_u32_e32 v105, v105, v14
	v_and_b32_e32 v104, v106, v104
	s_delay_alu instid0(VALU_DEP_3) | instskip(NEXT) | instid1(VALU_DEP_2)
	v_bfe_u32 v108, v107, 20, 1
	v_cmp_eq_u32_e64 s13, v104, v109
	s_delay_alu instid0(VALU_DEP_2) | instskip(NEXT) | instid1(VALU_DEP_1)
	v_add_nc_u32_e32 v106, -1, v108
	v_cndmask_b32_e64 v104, 0, v106, s13
	v_lshrrev_b32_e32 v106, 23, v107
	s_mov_b32 s13, exec_lo
	s_delay_alu instid0(VALU_DEP_2) | instskip(NEXT) | instid1(VALU_DEP_2)
	v_add_nc_u32_e32 v104, v104, v107
	v_xor_b32_e32 v106, 1, v106
	s_delay_alu instid0(VALU_DEP_2) | instskip(NEXT) | instid1(VALU_DEP_1)
	v_and_b32_e32 v14, 0xfffff, v104
	v_add_nc_u32_e32 v104, v14, v107
                                        ; implicit-def: $vgpr14
	s_delay_alu instid0(VALU_DEP_3)
	v_cmpx_ne_u32_e64 v105, v106
	s_xor_b32 s13, exec_lo, s13
; %bb.7498:                             ;   in Loop: Header=BB6_5734 Depth=3
	s_delay_alu instid0(VALU_DEP_2) | instskip(SKIP_2) | instid1(VALU_DEP_2)
	v_cmp_lt_u32_e32 vcc_lo, 0xffffff, v104
	v_sub_nc_u32_e32 v14, v105, v106
	v_cndmask_b32_e64 v105, 0, 1, vcc_lo
	v_add_co_ci_u32_e32 v14, vcc_lo, 0, v14, vcc_lo
	s_delay_alu instid0(VALU_DEP_2)
	v_lshrrev_b32_e32 v104, v105, v104
; %bb.7499:                             ;   in Loop: Header=BB6_5734 Depth=3
	s_and_not1_saveexec_b32 s13, s13
; %bb.7500:                             ;   in Loop: Header=BB6_5734 Depth=3
	s_delay_alu instid0(VALU_DEP_1)
	v_bfe_u32 v14, v104, 23, 1
; %bb.7501:                             ;   in Loop: Header=BB6_5734 Depth=3
	s_or_b32 exec_lo, exec_lo, s13
	v_lshrrev_b32_e32 v104, 20, v104
	s_delay_alu instid0(VALU_DEP_2) | instskip(SKIP_2) | instid1(VALU_DEP_2)
	v_cmp_gt_i32_e32 vcc_lo, 16, v14
	v_lshrrev_b32_e32 v95, 24, v95
	v_min_i32_e32 v105, 15, v14
	v_dual_cndmask_b32 v104, 7, v104 :: v_dual_and_b32 v95, 0x80, v95
	s_delay_alu instid0(VALU_DEP_1) | instskip(SKIP_1) | instid1(VALU_DEP_2)
	v_or_b32_e32 v14, v14, v104
	v_and_b32_e32 v106, 7, v104
	v_cmp_ne_u32_e32 vcc_lo, 0, v14
	v_lshlrev_b32_e32 v105, 3, v105
	s_delay_alu instid0(VALU_DEP_1) | instskip(NEXT) | instid1(VALU_DEP_1)
	v_or3_b32 v95, v105, v95, v106
	v_cndmask_b32_e32 v14, 0, v95, vcc_lo
.LBB6_7502:                             ;   in Loop: Header=BB6_5734 Depth=3
	s_or_b32 exec_lo, exec_lo, s31
.LBB6_7503:                             ;   in Loop: Header=BB6_5734 Depth=3
	s_delay_alu instid0(SALU_CYCLE_1) | instskip(SKIP_3) | instid1(VALU_DEP_2)
	s_or_b32 exec_lo, exec_lo, s17
	v_lshrrev_b16 v104, 8, v15
	v_lshrrev_b16 v95, 8, v11
	s_and_not1_b32 vcc_lo, exec_lo, s16
	v_cmp_lt_i16_e64 s13, 0x7f, v104
	s_cbranch_vccnz .LBB6_7513
; %bb.7504:                             ;   in Loop: Header=BB6_5734 Depth=3
	s_mov_b32 s17, 0
                                        ; implicit-def: $sgpr31
	s_delay_alu instid0(VALU_DEP_1) | instskip(NEXT) | instid1(SALU_CYCLE_1)
	s_and_saveexec_b32 vcc_lo, s13
	s_xor_b32 s13, exec_lo, vcc_lo
	s_cbranch_execnz .LBB6_8564
; %bb.7505:                             ;   in Loop: Header=BB6_5734 Depth=3
	s_or_saveexec_b32 s13, s13
	v_mov_b32_e32 v105, s31
	s_xor_b32 exec_lo, exec_lo, s13
	s_cbranch_execnz .LBB6_8567
.LBB6_7506:                             ;   in Loop: Header=BB6_5734 Depth=3
	s_or_b32 exec_lo, exec_lo, s13
	s_and_saveexec_b32 s13, s17
	s_cbranch_execz .LBB6_7508
.LBB6_7507:                             ;   in Loop: Header=BB6_5734 Depth=3
	v_and_b32_e32 v105, 0xffff, v104
	s_delay_alu instid0(VALU_DEP_1) | instskip(NEXT) | instid1(VALU_DEP_1)
	v_and_b32_e32 v106, 7, v105
	v_clz_i32_u32_e32 v107, v106
	s_delay_alu instid0(VALU_DEP_1) | instskip(NEXT) | instid1(VALU_DEP_1)
	v_min_u32_e32 v107, 32, v107
	v_subrev_nc_u32_e32 v108, 28, v107
	v_sub_nc_u32_e32 v107, 29, v107
	s_delay_alu instid0(VALU_DEP_2) | instskip(SKIP_1) | instid1(VALU_DEP_2)
	v_lshlrev_b32_e32 v108, v108, v105
	v_bfe_u32 v105, v105, 3, 4
	v_and_b32_e32 v108, 7, v108
	s_delay_alu instid0(VALU_DEP_2) | instskip(SKIP_1) | instid1(VALU_DEP_3)
	v_cmp_eq_u32_e32 vcc_lo, 0, v105
	v_cndmask_b32_e32 v105, v105, v107, vcc_lo
	v_dual_cndmask_b32 v106, v106, v108 :: v_dual_lshlrev_b32 v109, 16, v15
	s_delay_alu instid0(VALU_DEP_2) | instskip(NEXT) | instid1(VALU_DEP_2)
	v_lshl_add_u32 v105, v105, 23, 0x3b800000
	v_and_b32_e32 v107, 0x80000000, v109
	s_delay_alu instid0(VALU_DEP_3) | instskip(NEXT) | instid1(VALU_DEP_1)
	v_lshlrev_b32_e32 v106, 20, v106
	v_or3_b32 v105, v107, v105, v106
.LBB6_7508:                             ;   in Loop: Header=BB6_5734 Depth=3
	s_or_b32 exec_lo, exec_lo, s13
	s_mov_b32 s13, 0
	s_mov_b32 s31, exec_lo
                                        ; implicit-def: $sgpr17
	v_cmpx_lt_i16_e32 0x7f, v95
	s_xor_b32 s31, exec_lo, s31
	s_cbranch_execnz .LBB6_8568
; %bb.7509:                             ;   in Loop: Header=BB6_5734 Depth=3
	s_or_saveexec_b32 s31, s31
	v_mov_b32_e32 v106, s17
	s_xor_b32 exec_lo, exec_lo, s31
	s_cbranch_execnz .LBB6_8571
.LBB6_7510:                             ;   in Loop: Header=BB6_5734 Depth=3
	s_or_b32 exec_lo, exec_lo, s31
	s_and_saveexec_b32 s17, s13
	s_cbranch_execz .LBB6_7512
.LBB6_7511:                             ;   in Loop: Header=BB6_5734 Depth=3
	v_and_b32_e32 v106, 0xffff, v95
	v_lshlrev_b32_e32 v110, 16, v11
	s_delay_alu instid0(VALU_DEP_2) | instskip(NEXT) | instid1(VALU_DEP_1)
	v_and_b32_e32 v107, 7, v106
	v_clz_i32_u32_e32 v108, v107
	s_delay_alu instid0(VALU_DEP_1) | instskip(NEXT) | instid1(VALU_DEP_1)
	v_min_u32_e32 v108, 32, v108
	v_subrev_nc_u32_e32 v109, 28, v108
	v_sub_nc_u32_e32 v108, 29, v108
	s_delay_alu instid0(VALU_DEP_2) | instskip(SKIP_1) | instid1(VALU_DEP_2)
	v_lshlrev_b32_e32 v109, v109, v106
	v_bfe_u32 v106, v106, 3, 4
	v_and_b32_e32 v109, 7, v109
	s_delay_alu instid0(VALU_DEP_2) | instskip(NEXT) | instid1(VALU_DEP_2)
	v_cmp_eq_u32_e32 vcc_lo, 0, v106
	v_dual_cndmask_b32 v106, v106, v108 :: v_dual_cndmask_b32 v107, v107, v109
	v_and_b32_e32 v108, 0x80000000, v110
	s_delay_alu instid0(VALU_DEP_2) | instskip(NEXT) | instid1(VALU_DEP_3)
	v_lshl_add_u32 v106, v106, 23, 0x3b800000
	v_lshlrev_b32_e32 v107, 20, v107
	s_delay_alu instid0(VALU_DEP_1)
	v_or3_b32 v106, v108, v106, v107
.LBB6_7512:                             ;   in Loop: Header=BB6_5734 Depth=3
	s_or_b32 exec_lo, exec_lo, s17
	s_delay_alu instid0(VALU_DEP_1) | instskip(SKIP_1) | instid1(VALU_DEP_1)
	v_dual_max_f32 v106, v106, v106 :: v_dual_max_f32 v105, v105, v105
	s_mov_b32 s13, 0
	v_max_f32_e32 v105, v105, v106
	s_branch .LBB6_7514
.LBB6_7513:                             ;   in Loop: Header=BB6_5734 Depth=3
	s_mov_b32 s13, -1
                                        ; implicit-def: $vgpr105
.LBB6_7514:                             ;   in Loop: Header=BB6_5734 Depth=3
	s_delay_alu instid0(SALU_CYCLE_1)
	s_and_b32 vcc_lo, exec_lo, s13
	s_cbranch_vccz .LBB6_7524
; %bb.7515:                             ;   in Loop: Header=BB6_5734 Depth=3
	s_mov_b32 s13, 0
	s_mov_b32 s31, exec_lo
                                        ; implicit-def: $sgpr17
	v_cmpx_lt_i16_e32 0x7f, v104
	s_xor_b32 s31, exec_lo, s31
	s_cbranch_execnz .LBB6_8572
; %bb.7516:                             ;   in Loop: Header=BB6_5734 Depth=3
	s_or_saveexec_b32 s31, s31
	v_mov_b32_e32 v105, s17
	s_xor_b32 exec_lo, exec_lo, s31
	s_cbranch_execnz .LBB6_8575
.LBB6_7517:                             ;   in Loop: Header=BB6_5734 Depth=3
	s_or_b32 exec_lo, exec_lo, s31
	s_and_saveexec_b32 s17, s13
	s_cbranch_execz .LBB6_7519
.LBB6_7518:                             ;   in Loop: Header=BB6_5734 Depth=3
	v_and_b32_e32 v104, 0xffff, v104
	v_lshlrev_b32_e32 v108, 16, v15
	s_delay_alu instid0(VALU_DEP_2) | instskip(NEXT) | instid1(VALU_DEP_1)
	v_and_b32_e32 v105, 7, v104
	v_clz_i32_u32_e32 v106, v105
	s_delay_alu instid0(VALU_DEP_1) | instskip(NEXT) | instid1(VALU_DEP_1)
	v_min_u32_e32 v106, 32, v106
	v_subrev_nc_u32_e32 v107, 28, v106
	v_sub_nc_u32_e32 v106, 29, v106
	s_delay_alu instid0(VALU_DEP_2) | instskip(SKIP_1) | instid1(VALU_DEP_2)
	v_lshlrev_b32_e32 v107, v107, v104
	v_bfe_u32 v104, v104, 3, 4
	v_and_b32_e32 v107, 7, v107
	s_delay_alu instid0(VALU_DEP_2) | instskip(NEXT) | instid1(VALU_DEP_2)
	v_cmp_eq_u32_e32 vcc_lo, 0, v104
	v_dual_cndmask_b32 v104, v104, v106 :: v_dual_cndmask_b32 v105, v105, v107
	v_and_b32_e32 v106, 0x80000000, v108
	s_delay_alu instid0(VALU_DEP_2) | instskip(NEXT) | instid1(VALU_DEP_3)
	v_lshl_add_u32 v104, v104, 23, 0x3b800000
	v_lshlrev_b32_e32 v105, 20, v105
	s_delay_alu instid0(VALU_DEP_1)
	v_or3_b32 v105, v106, v104, v105
.LBB6_7519:                             ;   in Loop: Header=BB6_5734 Depth=3
	s_or_b32 exec_lo, exec_lo, s17
	s_mov_b32 s13, 0
	s_mov_b32 s31, exec_lo
                                        ; implicit-def: $sgpr17
	v_cmpx_lt_i16_e32 0x7f, v95
	s_xor_b32 s31, exec_lo, s31
	s_cbranch_execnz .LBB6_8576
; %bb.7520:                             ;   in Loop: Header=BB6_5734 Depth=3
	s_or_saveexec_b32 s31, s31
	v_mov_b32_e32 v104, s17
	s_xor_b32 exec_lo, exec_lo, s31
	s_cbranch_execnz .LBB6_8579
.LBB6_7521:                             ;   in Loop: Header=BB6_5734 Depth=3
	s_or_b32 exec_lo, exec_lo, s31
	s_and_saveexec_b32 s17, s13
	s_cbranch_execz .LBB6_7523
.LBB6_7522:                             ;   in Loop: Header=BB6_5734 Depth=3
	v_and_b32_e32 v95, 0xffff, v95
	v_lshlrev_b32_e32 v108, 16, v11
	s_delay_alu instid0(VALU_DEP_2) | instskip(NEXT) | instid1(VALU_DEP_1)
	v_and_b32_e32 v104, 7, v95
	v_clz_i32_u32_e32 v106, v104
	s_delay_alu instid0(VALU_DEP_1) | instskip(NEXT) | instid1(VALU_DEP_1)
	v_min_u32_e32 v106, 32, v106
	v_subrev_nc_u32_e32 v107, 28, v106
	v_sub_nc_u32_e32 v106, 29, v106
	s_delay_alu instid0(VALU_DEP_2) | instskip(SKIP_1) | instid1(VALU_DEP_2)
	v_lshlrev_b32_e32 v107, v107, v95
	v_bfe_u32 v95, v95, 3, 4
	v_and_b32_e32 v107, 7, v107
	s_delay_alu instid0(VALU_DEP_2) | instskip(NEXT) | instid1(VALU_DEP_2)
	v_cmp_eq_u32_e32 vcc_lo, 0, v95
	v_dual_cndmask_b32 v95, v95, v106 :: v_dual_cndmask_b32 v104, v104, v107
	v_and_b32_e32 v106, 0x80000000, v108
	s_delay_alu instid0(VALU_DEP_2) | instskip(NEXT) | instid1(VALU_DEP_3)
	v_lshl_add_u32 v95, v95, 23, 0x3b800000
	v_lshlrev_b32_e32 v104, 20, v104
	s_delay_alu instid0(VALU_DEP_1)
	v_or3_b32 v104, v106, v95, v104
.LBB6_7523:                             ;   in Loop: Header=BB6_5734 Depth=3
	s_or_b32 exec_lo, exec_lo, s17
	s_delay_alu instid0(VALU_DEP_1) | instskip(NEXT) | instid1(VALU_DEP_1)
	v_dual_max_f32 v95, v104, v104 :: v_dual_max_f32 v104, v105, v105
	v_min_f32_e32 v105, v104, v95
.LBB6_7524:                             ;   in Loop: Header=BB6_5734 Depth=3
	s_delay_alu instid0(VALU_DEP_1) | instskip(NEXT) | instid1(VALU_DEP_1)
	v_and_b32_e32 v95, 0x7f800000, v105
	v_cmp_ne_u32_e32 vcc_lo, 0x7f800000, v95
	v_mov_b32_e32 v95, 0x80
	s_and_saveexec_b32 s17, vcc_lo
	s_cbranch_execz .LBB6_7532
; %bb.7525:                             ;   in Loop: Header=BB6_5734 Depth=3
	v_mov_b32_e32 v95, 0
	s_mov_b32 s31, exec_lo
	v_cmpx_ne_u32_e32 0, v105
	s_cbranch_execz .LBB6_7531
; %bb.7526:                             ;   in Loop: Header=BB6_5734 Depth=3
	v_bfe_u32 v95, v105, 23, 8
	v_and_b32_e32 v104, 0x7fffff, v105
	s_delay_alu instid0(VALU_DEP_2) | instskip(SKIP_1) | instid1(VALU_DEP_3)
	v_sub_nc_u32_e32 v106, 0x78, v95
	v_cmp_gt_u32_e32 vcc_lo, 0x79, v95
	v_or_b32_e32 v107, 0x800000, v104
	s_delay_alu instid0(VALU_DEP_3) | instskip(SKIP_2) | instid1(VALU_DEP_3)
	v_cndmask_b32_e32 v106, 0, v106, vcc_lo
	v_cmp_eq_u32_e32 vcc_lo, 0, v95
	v_add_nc_u32_e32 v95, 0xffffff89, v95
	v_cndmask_b32_e64 v106, v106, 0x77, vcc_lo
	v_cndmask_b32_e32 v104, v107, v104, vcc_lo
	s_delay_alu instid0(VALU_DEP_3) | instskip(NEXT) | instid1(VALU_DEP_3)
	v_cndmask_b32_e64 v95, v95, 0xffffff8a, vcc_lo
	v_lshl_add_u32 v107, 0x100000, v106, -1
	s_delay_alu instid0(VALU_DEP_3) | instskip(SKIP_1) | instid1(VALU_DEP_4)
	v_lshrrev_b32_e32 v108, v106, v104
	v_lshlrev_b32_e64 v110, v106, 0x80000
	v_add_nc_u32_e32 v106, v106, v95
	s_delay_alu instid0(VALU_DEP_4) | instskip(NEXT) | instid1(VALU_DEP_4)
	v_and_b32_e32 v104, v107, v104
	v_bfe_u32 v109, v108, 20, 1
	s_delay_alu instid0(VALU_DEP_2) | instskip(NEXT) | instid1(VALU_DEP_2)
	v_cmp_eq_u32_e64 s13, v104, v110
	v_add_nc_u32_e32 v107, -1, v109
	s_delay_alu instid0(VALU_DEP_1) | instskip(SKIP_2) | instid1(VALU_DEP_2)
	v_cndmask_b32_e64 v104, 0, v107, s13
	v_lshrrev_b32_e32 v107, 23, v108
	s_mov_b32 s13, exec_lo
	v_add_nc_u32_e32 v104, v104, v108
	s_delay_alu instid0(VALU_DEP_2) | instskip(NEXT) | instid1(VALU_DEP_2)
	v_xor_b32_e32 v107, 1, v107
	v_and_b32_e32 v95, 0xfffff, v104
	s_delay_alu instid0(VALU_DEP_1) | instskip(NEXT) | instid1(VALU_DEP_3)
	v_add_nc_u32_e32 v104, v95, v108
                                        ; implicit-def: $vgpr95
	v_cmpx_ne_u32_e64 v106, v107
	s_xor_b32 s13, exec_lo, s13
; %bb.7527:                             ;   in Loop: Header=BB6_5734 Depth=3
	s_delay_alu instid0(VALU_DEP_2) | instskip(SKIP_2) | instid1(VALU_DEP_2)
	v_cmp_lt_u32_e32 vcc_lo, 0xffffff, v104
	v_sub_nc_u32_e32 v95, v106, v107
	v_cndmask_b32_e64 v106, 0, 1, vcc_lo
	v_add_co_ci_u32_e32 v95, vcc_lo, 0, v95, vcc_lo
	s_delay_alu instid0(VALU_DEP_2)
	v_lshrrev_b32_e32 v104, v106, v104
; %bb.7528:                             ;   in Loop: Header=BB6_5734 Depth=3
	s_and_not1_saveexec_b32 s13, s13
; %bb.7529:                             ;   in Loop: Header=BB6_5734 Depth=3
	s_delay_alu instid0(VALU_DEP_1)
	v_bfe_u32 v95, v104, 23, 1
; %bb.7530:                             ;   in Loop: Header=BB6_5734 Depth=3
	s_or_b32 exec_lo, exec_lo, s13
	v_lshrrev_b32_e32 v104, 20, v104
	s_delay_alu instid0(VALU_DEP_2) | instskip(SKIP_2) | instid1(VALU_DEP_2)
	v_cmp_gt_i32_e32 vcc_lo, 16, v95
	v_lshrrev_b32_e32 v105, 24, v105
	v_min_i32_e32 v106, 15, v95
	v_dual_cndmask_b32 v104, 7, v104 :: v_dual_and_b32 v105, 0x80, v105
	s_delay_alu instid0(VALU_DEP_1) | instskip(SKIP_1) | instid1(VALU_DEP_2)
	v_or_b32_e32 v95, v95, v104
	v_and_b32_e32 v107, 7, v104
	v_cmp_ne_u32_e32 vcc_lo, 0, v95
	v_lshlrev_b32_e32 v106, 3, v106
	s_delay_alu instid0(VALU_DEP_1) | instskip(NEXT) | instid1(VALU_DEP_1)
	v_or3_b32 v104, v106, v105, v107
	v_cndmask_b32_e32 v95, 0, v104, vcc_lo
.LBB6_7531:                             ;   in Loop: Header=BB6_5734 Depth=3
	s_or_b32 exec_lo, exec_lo, s31
.LBB6_7532:                             ;   in Loop: Header=BB6_5734 Depth=3
	s_delay_alu instid0(SALU_CYCLE_1) | instskip(SKIP_3) | instid1(VALU_DEP_2)
	s_or_b32 exec_lo, exec_lo, s17
	v_lshrrev_b32_e32 v105, 16, v15
	v_lshrrev_b32_e32 v104, 16, v11
	s_and_not1_b32 vcc_lo, exec_lo, s16
	v_and_b32_e32 v106, 0xff, v105
	s_delay_alu instid0(VALU_DEP_1)
	v_cmp_lt_i16_e64 s13, 0x7f, v106
	s_cbranch_vccnz .LBB6_7542
; %bb.7533:                             ;   in Loop: Header=BB6_5734 Depth=3
	s_mov_b32 s17, 0
                                        ; implicit-def: $sgpr31
	s_delay_alu instid0(VALU_DEP_1) | instskip(NEXT) | instid1(SALU_CYCLE_1)
	s_and_saveexec_b32 vcc_lo, s13
	s_xor_b32 s13, exec_lo, vcc_lo
	s_cbranch_execnz .LBB6_8580
; %bb.7534:                             ;   in Loop: Header=BB6_5734 Depth=3
	s_or_saveexec_b32 s13, s13
	v_mov_b32_e32 v107, s31
	s_xor_b32 exec_lo, exec_lo, s13
	s_cbranch_execnz .LBB6_8583
.LBB6_7535:                             ;   in Loop: Header=BB6_5734 Depth=3
	s_or_b32 exec_lo, exec_lo, s13
	s_and_saveexec_b32 s13, s17
	s_cbranch_execz .LBB6_7537
.LBB6_7536:                             ;   in Loop: Header=BB6_5734 Depth=3
	v_bfe_u32 v107, v15, 16, 3
	v_bfe_u32 v110, v15, 19, 4
	v_lshlrev_b32_e32 v111, 24, v105
	s_delay_alu instid0(VALU_DEP_3) | instskip(NEXT) | instid1(VALU_DEP_3)
	v_clz_i32_u32_e32 v108, v107
	v_cmp_eq_u32_e32 vcc_lo, 0, v110
	s_delay_alu instid0(VALU_DEP_2) | instskip(NEXT) | instid1(VALU_DEP_1)
	v_min_u32_e32 v108, 32, v108
	v_subrev_nc_u32_e32 v109, 28, v108
	v_sub_nc_u32_e32 v108, 29, v108
	s_delay_alu instid0(VALU_DEP_1) | instskip(NEXT) | instid1(VALU_DEP_1)
	v_dual_cndmask_b32 v108, v110, v108 :: v_dual_lshlrev_b32 v109, v109, v105
	v_and_b32_e32 v109, 7, v109
	s_delay_alu instid0(VALU_DEP_2) | instskip(NEXT) | instid1(VALU_DEP_2)
	v_lshl_add_u32 v108, v108, 23, 0x3b800000
	v_cndmask_b32_e32 v107, v107, v109, vcc_lo
	v_and_b32_e32 v109, 0x80000000, v111
	s_delay_alu instid0(VALU_DEP_2) | instskip(NEXT) | instid1(VALU_DEP_1)
	v_lshlrev_b32_e32 v107, 20, v107
	v_or3_b32 v107, v109, v108, v107
.LBB6_7537:                             ;   in Loop: Header=BB6_5734 Depth=3
	s_or_b32 exec_lo, exec_lo, s13
	v_and_b32_e32 v109, 0xff, v104
	s_mov_b32 s13, 0
	s_mov_b32 s31, exec_lo
                                        ; implicit-def: $sgpr17
	s_delay_alu instid0(VALU_DEP_1)
	v_cmpx_lt_i16_e32 0x7f, v109
	s_xor_b32 s31, exec_lo, s31
	s_cbranch_execnz .LBB6_8584
; %bb.7538:                             ;   in Loop: Header=BB6_5734 Depth=3
	s_or_saveexec_b32 s31, s31
	v_mov_b32_e32 v108, s17
	s_xor_b32 exec_lo, exec_lo, s31
	s_cbranch_execnz .LBB6_8587
.LBB6_7539:                             ;   in Loop: Header=BB6_5734 Depth=3
	s_or_b32 exec_lo, exec_lo, s31
	s_and_saveexec_b32 s17, s13
	s_cbranch_execz .LBB6_7541
.LBB6_7540:                             ;   in Loop: Header=BB6_5734 Depth=3
	v_bfe_u32 v108, v11, 16, 3
	v_bfe_u32 v111, v11, 19, 4
	v_lshlrev_b32_e32 v120, 24, v104
	s_delay_alu instid0(VALU_DEP_3) | instskip(NEXT) | instid1(VALU_DEP_3)
	v_clz_i32_u32_e32 v109, v108
	v_cmp_eq_u32_e32 vcc_lo, 0, v111
	s_delay_alu instid0(VALU_DEP_2) | instskip(NEXT) | instid1(VALU_DEP_1)
	v_min_u32_e32 v109, 32, v109
	v_subrev_nc_u32_e32 v110, 28, v109
	v_sub_nc_u32_e32 v109, 29, v109
	s_delay_alu instid0(VALU_DEP_1) | instskip(NEXT) | instid1(VALU_DEP_1)
	v_dual_cndmask_b32 v109, v111, v109 :: v_dual_lshlrev_b32 v110, v110, v104
	v_and_b32_e32 v110, 7, v110
	s_delay_alu instid0(VALU_DEP_2) | instskip(NEXT) | instid1(VALU_DEP_2)
	v_lshl_add_u32 v109, v109, 23, 0x3b800000
	v_cndmask_b32_e32 v108, v108, v110, vcc_lo
	v_and_b32_e32 v110, 0x80000000, v120
	s_delay_alu instid0(VALU_DEP_2) | instskip(NEXT) | instid1(VALU_DEP_1)
	v_lshlrev_b32_e32 v108, 20, v108
	v_or3_b32 v108, v110, v109, v108
.LBB6_7541:                             ;   in Loop: Header=BB6_5734 Depth=3
	s_or_b32 exec_lo, exec_lo, s17
	s_delay_alu instid0(VALU_DEP_1) | instskip(SKIP_1) | instid1(VALU_DEP_1)
	v_dual_max_f32 v108, v108, v108 :: v_dual_max_f32 v107, v107, v107
	s_mov_b32 s13, 0
	v_max_f32_e32 v107, v107, v108
	s_branch .LBB6_7543
.LBB6_7542:                             ;   in Loop: Header=BB6_5734 Depth=3
	s_mov_b32 s13, -1
                                        ; implicit-def: $vgpr107
.LBB6_7543:                             ;   in Loop: Header=BB6_5734 Depth=3
	s_delay_alu instid0(SALU_CYCLE_1)
	s_and_b32 vcc_lo, exec_lo, s13
	s_cbranch_vccz .LBB6_7553
; %bb.7544:                             ;   in Loop: Header=BB6_5734 Depth=3
	s_mov_b32 s13, 0
	s_mov_b32 s31, exec_lo
                                        ; implicit-def: $sgpr17
	v_cmpx_lt_i16_e32 0x7f, v106
	s_xor_b32 s31, exec_lo, s31
	s_cbranch_execnz .LBB6_8588
; %bb.7545:                             ;   in Loop: Header=BB6_5734 Depth=3
	s_or_saveexec_b32 s31, s31
	v_mov_b32_e32 v107, s17
	s_xor_b32 exec_lo, exec_lo, s31
	s_cbranch_execnz .LBB6_8591
.LBB6_7546:                             ;   in Loop: Header=BB6_5734 Depth=3
	s_or_b32 exec_lo, exec_lo, s31
	s_and_saveexec_b32 s17, s13
	s_cbranch_execz .LBB6_7548
.LBB6_7547:                             ;   in Loop: Header=BB6_5734 Depth=3
	v_bfe_u32 v106, v15, 16, 3
	v_bfe_u32 v109, v15, 19, 4
	s_delay_alu instid0(VALU_DEP_2) | instskip(NEXT) | instid1(VALU_DEP_2)
	v_clz_i32_u32_e32 v107, v106
	v_cmp_eq_u32_e32 vcc_lo, 0, v109
	s_delay_alu instid0(VALU_DEP_2) | instskip(NEXT) | instid1(VALU_DEP_1)
	v_min_u32_e32 v107, 32, v107
	v_subrev_nc_u32_e32 v108, 28, v107
	v_sub_nc_u32_e32 v107, 29, v107
	s_delay_alu instid0(VALU_DEP_1) | instskip(NEXT) | instid1(VALU_DEP_1)
	v_dual_cndmask_b32 v107, v109, v107 :: v_dual_lshlrev_b32 v108, v108, v105
	v_and_b32_e32 v108, 7, v108
	v_lshlrev_b32_e32 v105, 24, v105
	s_delay_alu instid0(VALU_DEP_3) | instskip(NEXT) | instid1(VALU_DEP_2)
	v_lshl_add_u32 v107, v107, 23, 0x3b800000
	v_dual_cndmask_b32 v106, v106, v108 :: v_dual_and_b32 v105, 0x80000000, v105
	s_delay_alu instid0(VALU_DEP_1) | instskip(NEXT) | instid1(VALU_DEP_1)
	v_lshlrev_b32_e32 v106, 20, v106
	v_or3_b32 v107, v105, v107, v106
.LBB6_7548:                             ;   in Loop: Header=BB6_5734 Depth=3
	s_or_b32 exec_lo, exec_lo, s17
	v_and_b32_e32 v106, 0xff, v104
	s_mov_b32 s13, 0
	s_mov_b32 s31, exec_lo
                                        ; implicit-def: $sgpr17
	s_delay_alu instid0(VALU_DEP_1)
	v_cmpx_lt_i16_e32 0x7f, v106
	s_xor_b32 s31, exec_lo, s31
	s_cbranch_execnz .LBB6_8592
; %bb.7549:                             ;   in Loop: Header=BB6_5734 Depth=3
	s_or_saveexec_b32 s31, s31
	v_mov_b32_e32 v105, s17
	s_xor_b32 exec_lo, exec_lo, s31
	s_cbranch_execnz .LBB6_8595
.LBB6_7550:                             ;   in Loop: Header=BB6_5734 Depth=3
	s_or_b32 exec_lo, exec_lo, s31
	s_and_saveexec_b32 s17, s13
	s_cbranch_execz .LBB6_7552
.LBB6_7551:                             ;   in Loop: Header=BB6_5734 Depth=3
	v_bfe_u32 v105, v11, 16, 3
	v_bfe_u32 v109, v11, 19, 4
	s_delay_alu instid0(VALU_DEP_2) | instskip(NEXT) | instid1(VALU_DEP_2)
	v_clz_i32_u32_e32 v106, v105
	v_cmp_eq_u32_e32 vcc_lo, 0, v109
	s_delay_alu instid0(VALU_DEP_2) | instskip(NEXT) | instid1(VALU_DEP_1)
	v_min_u32_e32 v106, 32, v106
	v_subrev_nc_u32_e32 v108, 28, v106
	v_sub_nc_u32_e32 v106, 29, v106
	s_delay_alu instid0(VALU_DEP_2) | instskip(SKIP_1) | instid1(VALU_DEP_2)
	v_lshlrev_b32_e32 v108, v108, v104
	v_lshlrev_b32_e32 v104, 24, v104
	v_and_b32_e32 v108, 7, v108
	s_delay_alu instid0(VALU_DEP_2) | instskip(NEXT) | instid1(VALU_DEP_2)
	v_and_b32_e32 v104, 0x80000000, v104
	v_cndmask_b32_e32 v105, v105, v108, vcc_lo
	s_delay_alu instid0(VALU_DEP_1) | instskip(NEXT) | instid1(VALU_DEP_1)
	v_dual_cndmask_b32 v106, v109, v106 :: v_dual_lshlrev_b32 v105, 20, v105
	v_lshl_add_u32 v106, v106, 23, 0x3b800000
	s_delay_alu instid0(VALU_DEP_1)
	v_or3_b32 v105, v104, v106, v105
.LBB6_7552:                             ;   in Loop: Header=BB6_5734 Depth=3
	s_or_b32 exec_lo, exec_lo, s17
	s_delay_alu instid0(VALU_DEP_1) | instskip(NEXT) | instid1(VALU_DEP_1)
	v_dual_max_f32 v104, v105, v105 :: v_dual_max_f32 v105, v107, v107
	v_min_f32_e32 v107, v105, v104
.LBB6_7553:                             ;   in Loop: Header=BB6_5734 Depth=3
	s_delay_alu instid0(VALU_DEP_1) | instskip(NEXT) | instid1(VALU_DEP_1)
	v_and_b32_e32 v104, 0x7f800000, v107
	v_cmp_ne_u32_e32 vcc_lo, 0x7f800000, v104
	v_mov_b32_e32 v104, 0x80
	s_and_saveexec_b32 s17, vcc_lo
	s_cbranch_execz .LBB6_7561
; %bb.7554:                             ;   in Loop: Header=BB6_5734 Depth=3
	v_mov_b32_e32 v104, 0
	s_mov_b32 s31, exec_lo
	v_cmpx_ne_u32_e32 0, v107
	s_cbranch_execz .LBB6_7560
; %bb.7555:                             ;   in Loop: Header=BB6_5734 Depth=3
	v_bfe_u32 v104, v107, 23, 8
	s_delay_alu instid0(VALU_DEP_1) | instskip(SKIP_1) | instid1(VALU_DEP_2)
	v_sub_nc_u32_e32 v106, 0x78, v104
	v_cmp_gt_u32_e32 vcc_lo, 0x79, v104
	v_dual_cndmask_b32 v106, 0, v106 :: v_dual_and_b32 v105, 0x7fffff, v107
	s_delay_alu instid0(VALU_DEP_1) | instskip(SKIP_2) | instid1(VALU_DEP_4)
	v_or_b32_e32 v108, 0x800000, v105
	v_cmp_eq_u32_e32 vcc_lo, 0, v104
	v_add_nc_u32_e32 v104, 0xffffff89, v104
	v_cndmask_b32_e64 v106, v106, 0x77, vcc_lo
	s_delay_alu instid0(VALU_DEP_4) | instskip(NEXT) | instid1(VALU_DEP_3)
	v_cndmask_b32_e32 v105, v108, v105, vcc_lo
	v_cndmask_b32_e64 v104, v104, 0xffffff8a, vcc_lo
	s_delay_alu instid0(VALU_DEP_3) | instskip(NEXT) | instid1(VALU_DEP_3)
	v_lshl_add_u32 v108, 0x100000, v106, -1
	v_lshrrev_b32_e32 v109, v106, v105
	v_lshlrev_b32_e64 v111, v106, 0x80000
	s_delay_alu instid0(VALU_DEP_4) | instskip(NEXT) | instid1(VALU_DEP_4)
	v_add_nc_u32_e32 v106, v106, v104
	v_and_b32_e32 v105, v108, v105
	s_delay_alu instid0(VALU_DEP_4) | instskip(NEXT) | instid1(VALU_DEP_2)
	v_bfe_u32 v110, v109, 20, 1
	v_cmp_eq_u32_e64 s13, v105, v111
	s_delay_alu instid0(VALU_DEP_2) | instskip(NEXT) | instid1(VALU_DEP_1)
	v_add_nc_u32_e32 v108, -1, v110
	v_cndmask_b32_e64 v105, 0, v108, s13
	v_lshrrev_b32_e32 v108, 23, v109
	s_mov_b32 s13, exec_lo
	s_delay_alu instid0(VALU_DEP_2) | instskip(NEXT) | instid1(VALU_DEP_2)
	v_add_nc_u32_e32 v105, v105, v109
	v_xor_b32_e32 v108, 1, v108
	s_delay_alu instid0(VALU_DEP_2) | instskip(NEXT) | instid1(VALU_DEP_1)
	v_and_b32_e32 v104, 0xfffff, v105
	v_add_nc_u32_e32 v105, v104, v109
                                        ; implicit-def: $vgpr104
	s_delay_alu instid0(VALU_DEP_3)
	v_cmpx_ne_u32_e64 v106, v108
	s_xor_b32 s13, exec_lo, s13
; %bb.7556:                             ;   in Loop: Header=BB6_5734 Depth=3
	s_delay_alu instid0(VALU_DEP_2) | instskip(SKIP_2) | instid1(VALU_DEP_2)
	v_cmp_lt_u32_e32 vcc_lo, 0xffffff, v105
	v_sub_nc_u32_e32 v104, v106, v108
	v_cndmask_b32_e64 v106, 0, 1, vcc_lo
	v_add_co_ci_u32_e32 v104, vcc_lo, 0, v104, vcc_lo
	s_delay_alu instid0(VALU_DEP_2)
	v_lshrrev_b32_e32 v105, v106, v105
; %bb.7557:                             ;   in Loop: Header=BB6_5734 Depth=3
	s_and_not1_saveexec_b32 s13, s13
; %bb.7558:                             ;   in Loop: Header=BB6_5734 Depth=3
	s_delay_alu instid0(VALU_DEP_1)
	v_bfe_u32 v104, v105, 23, 1
; %bb.7559:                             ;   in Loop: Header=BB6_5734 Depth=3
	s_or_b32 exec_lo, exec_lo, s13
	v_lshrrev_b32_e32 v105, 20, v105
	s_delay_alu instid0(VALU_DEP_2) | instskip(SKIP_2) | instid1(VALU_DEP_2)
	v_cmp_gt_i32_e32 vcc_lo, 16, v104
	v_min_i32_e32 v106, 15, v104
	v_lshrrev_b32_e32 v107, 24, v107
	v_dual_cndmask_b32 v105, 7, v105 :: v_dual_lshlrev_b32 v106, 3, v106
	s_delay_alu instid0(VALU_DEP_1) | instskip(SKIP_1) | instid1(VALU_DEP_3)
	v_or_b32_e32 v104, v104, v105
	v_and_b32_e32 v108, 7, v105
	v_and_b32_e32 v106, 0xf8, v106
	s_delay_alu instid0(VALU_DEP_3) | instskip(SKIP_1) | instid1(VALU_DEP_1)
	v_cmp_ne_u32_e32 vcc_lo, 0, v104
	v_and_b32_e32 v107, 0x80, v107
	v_or3_b32 v105, v106, v107, v108
	s_delay_alu instid0(VALU_DEP_1)
	v_cndmask_b32_e32 v104, 0, v105, vcc_lo
.LBB6_7560:                             ;   in Loop: Header=BB6_5734 Depth=3
	s_or_b32 exec_lo, exec_lo, s31
.LBB6_7561:                             ;   in Loop: Header=BB6_5734 Depth=3
	s_delay_alu instid0(SALU_CYCLE_1) | instskip(SKIP_3) | instid1(VALU_DEP_2)
	s_or_b32 exec_lo, exec_lo, s17
	v_lshrrev_b32_e32 v106, 24, v15
	v_lshrrev_b32_e32 v105, 24, v11
	s_and_not1_b32 vcc_lo, exec_lo, s16
	v_cmp_lt_i16_e64 s13, 0x7f, v106
	s_cbranch_vccnz .LBB6_7571
; %bb.7562:                             ;   in Loop: Header=BB6_5734 Depth=3
	s_mov_b32 s17, 0
                                        ; implicit-def: $sgpr31
	s_delay_alu instid0(VALU_DEP_1) | instskip(NEXT) | instid1(SALU_CYCLE_1)
	s_and_saveexec_b32 vcc_lo, s13
	s_xor_b32 s13, exec_lo, vcc_lo
	s_cbranch_execnz .LBB6_8596
; %bb.7563:                             ;   in Loop: Header=BB6_5734 Depth=3
	s_or_saveexec_b32 s13, s13
	v_mov_b32_e32 v107, s31
	s_xor_b32 exec_lo, exec_lo, s13
	s_cbranch_execnz .LBB6_8599
.LBB6_7564:                             ;   in Loop: Header=BB6_5734 Depth=3
	s_or_b32 exec_lo, exec_lo, s13
	s_and_saveexec_b32 s13, s17
	s_cbranch_execz .LBB6_7566
.LBB6_7565:                             ;   in Loop: Header=BB6_5734 Depth=3
	v_bfe_u32 v107, v15, 24, 3
	v_bfe_u32 v110, v15, 27, 4
	s_delay_alu instid0(VALU_DEP_2) | instskip(NEXT) | instid1(VALU_DEP_2)
	v_clz_i32_u32_e32 v108, v107
	v_cmp_eq_u32_e32 vcc_lo, 0, v110
	s_delay_alu instid0(VALU_DEP_2) | instskip(NEXT) | instid1(VALU_DEP_1)
	v_min_u32_e32 v108, 32, v108
	v_subrev_nc_u32_e32 v109, 28, v108
	v_sub_nc_u32_e32 v108, 29, v108
	s_delay_alu instid0(VALU_DEP_1) | instskip(NEXT) | instid1(VALU_DEP_1)
	v_dual_cndmask_b32 v108, v110, v108 :: v_dual_lshlrev_b32 v109, v109, v106
	v_and_b32_e32 v109, 7, v109
	s_delay_alu instid0(VALU_DEP_2) | instskip(NEXT) | instid1(VALU_DEP_2)
	v_lshl_add_u32 v108, v108, 23, 0x3b800000
	v_cndmask_b32_e32 v107, v107, v109, vcc_lo
	v_and_b32_e32 v109, 0x80000000, v15
	s_delay_alu instid0(VALU_DEP_2) | instskip(NEXT) | instid1(VALU_DEP_1)
	v_lshlrev_b32_e32 v107, 20, v107
	v_or3_b32 v107, v109, v108, v107
.LBB6_7566:                             ;   in Loop: Header=BB6_5734 Depth=3
	s_or_b32 exec_lo, exec_lo, s13
	s_mov_b32 s13, 0
	s_mov_b32 s31, exec_lo
                                        ; implicit-def: $sgpr17
	v_cmpx_lt_i16_e32 0x7f, v105
	s_xor_b32 s31, exec_lo, s31
	s_cbranch_execnz .LBB6_8600
; %bb.7567:                             ;   in Loop: Header=BB6_5734 Depth=3
	s_or_saveexec_b32 s31, s31
	v_mov_b32_e32 v108, s17
	s_xor_b32 exec_lo, exec_lo, s31
	s_cbranch_execnz .LBB6_8603
.LBB6_7568:                             ;   in Loop: Header=BB6_5734 Depth=3
	s_or_b32 exec_lo, exec_lo, s31
	s_and_saveexec_b32 s17, s13
	s_cbranch_execz .LBB6_7570
.LBB6_7569:                             ;   in Loop: Header=BB6_5734 Depth=3
	v_bfe_u32 v108, v11, 24, 3
	v_bfe_u32 v111, v11, 27, 4
	s_delay_alu instid0(VALU_DEP_2) | instskip(NEXT) | instid1(VALU_DEP_2)
	v_clz_i32_u32_e32 v109, v108
	v_cmp_eq_u32_e32 vcc_lo, 0, v111
	s_delay_alu instid0(VALU_DEP_2) | instskip(NEXT) | instid1(VALU_DEP_1)
	v_min_u32_e32 v109, 32, v109
	v_subrev_nc_u32_e32 v110, 28, v109
	v_sub_nc_u32_e32 v109, 29, v109
	s_delay_alu instid0(VALU_DEP_2) | instskip(NEXT) | instid1(VALU_DEP_1)
	v_lshlrev_b32_e32 v110, v110, v105
	v_dual_cndmask_b32 v109, v111, v109 :: v_dual_and_b32 v110, 7, v110
	s_delay_alu instid0(VALU_DEP_1) | instskip(NEXT) | instid1(VALU_DEP_2)
	v_lshl_add_u32 v109, v109, 23, 0x3b800000
	v_cndmask_b32_e32 v108, v108, v110, vcc_lo
	v_and_b32_e32 v110, 0x80000000, v11
	s_delay_alu instid0(VALU_DEP_2) | instskip(NEXT) | instid1(VALU_DEP_1)
	v_lshlrev_b32_e32 v108, 20, v108
	v_or3_b32 v108, v110, v109, v108
.LBB6_7570:                             ;   in Loop: Header=BB6_5734 Depth=3
	s_or_b32 exec_lo, exec_lo, s17
	s_delay_alu instid0(VALU_DEP_1) | instskip(SKIP_1) | instid1(VALU_DEP_1)
	v_dual_max_f32 v108, v108, v108 :: v_dual_max_f32 v107, v107, v107
	s_mov_b32 s13, 0
	v_max_f32_e32 v107, v107, v108
	s_branch .LBB6_7572
.LBB6_7571:                             ;   in Loop: Header=BB6_5734 Depth=3
	s_mov_b32 s13, -1
                                        ; implicit-def: $vgpr107
.LBB6_7572:                             ;   in Loop: Header=BB6_5734 Depth=3
	s_delay_alu instid0(SALU_CYCLE_1)
	s_and_b32 vcc_lo, exec_lo, s13
	s_cbranch_vccz .LBB6_7582
; %bb.7573:                             ;   in Loop: Header=BB6_5734 Depth=3
	s_mov_b32 s13, 0
	s_mov_b32 s31, exec_lo
                                        ; implicit-def: $sgpr17
	v_cmpx_lt_i16_e32 0x7f, v106
	s_xor_b32 s31, exec_lo, s31
	s_cbranch_execnz .LBB6_8604
; %bb.7574:                             ;   in Loop: Header=BB6_5734 Depth=3
	s_or_saveexec_b32 s31, s31
	v_mov_b32_e32 v107, s17
	s_xor_b32 exec_lo, exec_lo, s31
	s_cbranch_execnz .LBB6_8607
.LBB6_7575:                             ;   in Loop: Header=BB6_5734 Depth=3
	s_or_b32 exec_lo, exec_lo, s31
	s_and_saveexec_b32 s17, s13
	s_cbranch_execz .LBB6_7577
.LBB6_7576:                             ;   in Loop: Header=BB6_5734 Depth=3
	v_bfe_u32 v107, v15, 24, 3
	s_delay_alu instid0(VALU_DEP_1) | instskip(NEXT) | instid1(VALU_DEP_1)
	v_clz_i32_u32_e32 v108, v107
	v_min_u32_e32 v108, 32, v108
	s_delay_alu instid0(VALU_DEP_1) | instskip(SKIP_1) | instid1(VALU_DEP_2)
	v_subrev_nc_u32_e32 v109, 28, v108
	v_sub_nc_u32_e32 v108, 29, v108
	v_lshlrev_b32_e32 v106, v109, v106
	v_bfe_u32 v109, v15, 27, 4
	v_and_b32_e32 v15, 0x80000000, v15
	s_delay_alu instid0(VALU_DEP_3) | instskip(NEXT) | instid1(VALU_DEP_3)
	v_and_b32_e32 v106, 7, v106
	v_cmp_eq_u32_e32 vcc_lo, 0, v109
	v_cndmask_b32_e32 v108, v109, v108, vcc_lo
	s_delay_alu instid0(VALU_DEP_3) | instskip(NEXT) | instid1(VALU_DEP_2)
	v_cndmask_b32_e32 v106, v107, v106, vcc_lo
	v_lshl_add_u32 v107, v108, 23, 0x3b800000
	s_delay_alu instid0(VALU_DEP_2) | instskip(NEXT) | instid1(VALU_DEP_1)
	v_lshlrev_b32_e32 v106, 20, v106
	v_or3_b32 v107, v15, v107, v106
.LBB6_7577:                             ;   in Loop: Header=BB6_5734 Depth=3
	s_or_b32 exec_lo, exec_lo, s17
	s_mov_b32 s13, 0
	s_mov_b32 s31, exec_lo
                                        ; implicit-def: $sgpr17
	v_cmpx_lt_i16_e32 0x7f, v105
	s_xor_b32 s31, exec_lo, s31
	s_cbranch_execnz .LBB6_8608
; %bb.7578:                             ;   in Loop: Header=BB6_5734 Depth=3
	s_or_saveexec_b32 s31, s31
	v_mov_b32_e32 v15, s17
	s_xor_b32 exec_lo, exec_lo, s31
	s_cbranch_execnz .LBB6_8611
.LBB6_7579:                             ;   in Loop: Header=BB6_5734 Depth=3
	s_or_b32 exec_lo, exec_lo, s31
	s_and_saveexec_b32 s17, s13
	s_cbranch_execz .LBB6_7581
.LBB6_7580:                             ;   in Loop: Header=BB6_5734 Depth=3
	v_bfe_u32 v15, v11, 24, 3
	s_delay_alu instid0(VALU_DEP_1) | instskip(NEXT) | instid1(VALU_DEP_1)
	v_clz_i32_u32_e32 v106, v15
	v_min_u32_e32 v106, 32, v106
	s_delay_alu instid0(VALU_DEP_1) | instskip(SKIP_1) | instid1(VALU_DEP_2)
	v_subrev_nc_u32_e32 v108, 28, v106
	v_sub_nc_u32_e32 v106, 29, v106
	v_lshlrev_b32_e32 v105, v108, v105
	v_bfe_u32 v108, v11, 27, 4
	v_and_b32_e32 v11, 0x80000000, v11
	s_delay_alu instid0(VALU_DEP_2) | instskip(NEXT) | instid1(VALU_DEP_4)
	v_cmp_eq_u32_e32 vcc_lo, 0, v108
	v_dual_cndmask_b32 v106, v108, v106 :: v_dual_and_b32 v105, 7, v105
	s_delay_alu instid0(VALU_DEP_1) | instskip(NEXT) | instid1(VALU_DEP_2)
	v_cndmask_b32_e32 v15, v15, v105, vcc_lo
	v_lshl_add_u32 v105, v106, 23, 0x3b800000
	s_delay_alu instid0(VALU_DEP_2) | instskip(NEXT) | instid1(VALU_DEP_1)
	v_lshlrev_b32_e32 v15, 20, v15
	v_or3_b32 v15, v11, v105, v15
.LBB6_7581:                             ;   in Loop: Header=BB6_5734 Depth=3
	s_or_b32 exec_lo, exec_lo, s17
	s_delay_alu instid0(VALU_DEP_1) | instskip(SKIP_1) | instid1(VALU_DEP_1)
	v_max_f32_e32 v11, v15, v15
	v_max_f32_e32 v15, v107, v107
	v_min_f32_e32 v107, v15, v11
.LBB6_7582:                             ;   in Loop: Header=BB6_5734 Depth=3
	s_delay_alu instid0(VALU_DEP_1) | instskip(NEXT) | instid1(VALU_DEP_1)
	v_and_b32_e32 v11, 0x7f800000, v107
	v_cmp_ne_u32_e32 vcc_lo, 0x7f800000, v11
	v_mov_b32_e32 v11, 0x8000
	s_and_saveexec_b32 s17, vcc_lo
	s_cbranch_execz .LBB6_5733
; %bb.7583:                             ;   in Loop: Header=BB6_5734 Depth=3
	v_mov_b32_e32 v11, 0
	s_mov_b32 s31, exec_lo
	v_cmpx_ne_u32_e32 0, v107
	s_cbranch_execz .LBB6_5732
; %bb.7584:                             ;   in Loop: Header=BB6_5734 Depth=3
	v_bfe_u32 v11, v107, 23, 8
	v_and_b32_e32 v15, 0x7fffff, v107
	s_delay_alu instid0(VALU_DEP_2) | instskip(SKIP_1) | instid1(VALU_DEP_3)
	v_sub_nc_u32_e32 v105, 0x78, v11
	v_cmp_gt_u32_e32 vcc_lo, 0x79, v11
	v_or_b32_e32 v106, 0x800000, v15
	s_delay_alu instid0(VALU_DEP_3) | instskip(SKIP_2) | instid1(VALU_DEP_3)
	v_cndmask_b32_e32 v105, 0, v105, vcc_lo
	v_cmp_eq_u32_e32 vcc_lo, 0, v11
	v_add_nc_u32_e32 v11, 0xffffff89, v11
	v_cndmask_b32_e64 v105, v105, 0x77, vcc_lo
	v_cndmask_b32_e32 v15, v106, v15, vcc_lo
	s_delay_alu instid0(VALU_DEP_3) | instskip(NEXT) | instid1(VALU_DEP_3)
	v_cndmask_b32_e64 v11, v11, 0xffffff8a, vcc_lo
	v_lshl_add_u32 v106, 0x100000, v105, -1
	s_delay_alu instid0(VALU_DEP_3) | instskip(SKIP_1) | instid1(VALU_DEP_4)
	v_lshrrev_b32_e32 v108, v105, v15
	v_lshlrev_b32_e64 v110, v105, 0x80000
	v_add_nc_u32_e32 v105, v105, v11
	s_delay_alu instid0(VALU_DEP_4) | instskip(NEXT) | instid1(VALU_DEP_4)
	v_and_b32_e32 v15, v106, v15
	v_bfe_u32 v109, v108, 20, 1
	s_delay_alu instid0(VALU_DEP_2) | instskip(NEXT) | instid1(VALU_DEP_2)
	v_cmp_eq_u32_e64 s13, v15, v110
	v_add_nc_u32_e32 v106, -1, v109
	s_delay_alu instid0(VALU_DEP_1) | instskip(SKIP_2) | instid1(VALU_DEP_2)
	v_cndmask_b32_e64 v15, 0, v106, s13
	v_lshrrev_b32_e32 v106, 23, v108
	s_mov_b32 s13, exec_lo
	v_add_nc_u32_e32 v15, v15, v108
	s_delay_alu instid0(VALU_DEP_2) | instskip(NEXT) | instid1(VALU_DEP_2)
	v_xor_b32_e32 v106, 1, v106
	v_and_b32_e32 v11, 0xfffff, v15
	s_delay_alu instid0(VALU_DEP_1) | instskip(NEXT) | instid1(VALU_DEP_3)
	v_add_nc_u32_e32 v15, v11, v108
                                        ; implicit-def: $vgpr11
	v_cmpx_ne_u32_e64 v105, v106
	s_xor_b32 s13, exec_lo, s13
; %bb.7585:                             ;   in Loop: Header=BB6_5734 Depth=3
	s_delay_alu instid0(VALU_DEP_2) | instskip(SKIP_2) | instid1(VALU_DEP_2)
	v_cmp_lt_u32_e32 vcc_lo, 0xffffff, v15
	v_sub_nc_u32_e32 v11, v105, v106
	v_cndmask_b32_e64 v105, 0, 1, vcc_lo
	v_add_co_ci_u32_e32 v11, vcc_lo, 0, v11, vcc_lo
	s_delay_alu instid0(VALU_DEP_2)
	v_lshrrev_b32_e32 v15, v105, v15
; %bb.7586:                             ;   in Loop: Header=BB6_5734 Depth=3
	s_and_not1_saveexec_b32 s13, s13
	s_cbranch_execz .LBB6_5731
; %bb.7587:                             ;   in Loop: Header=BB6_5734 Depth=3
	s_delay_alu instid0(VALU_DEP_1)
	v_bfe_u32 v11, v15, 23, 1
	s_branch .LBB6_5731
.LBB6_7588:                             ;   in Loop: Header=BB6_5734 Depth=3
	s_mov_b32 s17, -1
	s_mov_b32 s34, exec_lo
                                        ; implicit-def: $sgpr31
	v_cmpx_eq_u16_e32 0x80, v40
; %bb.7589:                             ;   in Loop: Header=BB6_5734 Depth=3
	s_mov_b32 s31, 0x7f800001
	s_xor_b32 s17, exec_lo, -1
; %bb.7590:                             ;   in Loop: Header=BB6_5734 Depth=3
	s_or_b32 exec_lo, exec_lo, s34
	s_delay_alu instid0(SALU_CYCLE_1)
	s_and_b32 s17, s17, exec_lo
	s_or_saveexec_b32 s13, s13
	v_mov_b32_e32 v41, s31
	s_xor_b32 exec_lo, exec_lo, s13
	s_cbranch_execz .LBB6_5737
.LBB6_7591:                             ;   in Loop: Header=BB6_5734 Depth=3
	v_cmp_ne_u16_e32 vcc_lo, 0, v40
	v_mov_b32_e32 v41, 0
	s_and_not1_b32 s17, s17, exec_lo
	s_and_b32 vcc_lo, vcc_lo, exec_lo
	s_delay_alu instid0(SALU_CYCLE_1)
	s_or_b32 s17, s17, vcc_lo
	s_or_b32 exec_lo, exec_lo, s13
	s_and_saveexec_b32 s13, s17
	s_cbranch_execnz .LBB6_5738
	s_branch .LBB6_5739
.LBB6_7592:                             ;   in Loop: Header=BB6_5734 Depth=3
	s_mov_b32 s13, -1
	s_mov_b32 s34, exec_lo
                                        ; implicit-def: $sgpr17
	v_cmpx_eq_u16_e32 0x80, v43
; %bb.7593:                             ;   in Loop: Header=BB6_5734 Depth=3
	s_mov_b32 s17, 0x7f800001
	s_xor_b32 s13, exec_lo, -1
; %bb.7594:                             ;   in Loop: Header=BB6_5734 Depth=3
	s_or_b32 exec_lo, exec_lo, s34
	s_delay_alu instid0(SALU_CYCLE_1)
	s_and_b32 s13, s13, exec_lo
                                        ; implicit-def: $vgpr43
	s_or_saveexec_b32 s31, s31
	v_mov_b32_e32 v42, s17
	s_xor_b32 exec_lo, exec_lo, s31
	s_cbranch_execz .LBB6_5741
.LBB6_7595:                             ;   in Loop: Header=BB6_5734 Depth=3
	v_cmp_ne_u16_e32 vcc_lo, 0, v43
	v_mov_b32_e32 v42, 0
	s_and_not1_b32 s13, s13, exec_lo
	s_and_b32 s17, vcc_lo, exec_lo
	s_delay_alu instid0(SALU_CYCLE_1)
	s_or_b32 s13, s13, s17
	s_or_b32 exec_lo, exec_lo, s31
	s_and_saveexec_b32 s17, s13
	s_cbranch_execnz .LBB6_5742
	s_branch .LBB6_5743
.LBB6_7596:                             ;   in Loop: Header=BB6_5734 Depth=3
	s_mov_b32 s13, -1
	s_mov_b32 s34, exec_lo
                                        ; implicit-def: $sgpr17
	v_cmpx_eq_u16_e32 0x80, v40
; %bb.7597:                             ;   in Loop: Header=BB6_5734 Depth=3
	s_mov_b32 s17, 0x7f800001
	s_xor_b32 s13, exec_lo, -1
; %bb.7598:                             ;   in Loop: Header=BB6_5734 Depth=3
	s_or_b32 exec_lo, exec_lo, s34
	s_delay_alu instid0(SALU_CYCLE_1)
	s_and_b32 s13, s13, exec_lo
                                        ; implicit-def: $vgpr40
	s_or_saveexec_b32 s31, s31
	v_mov_b32_e32 v41, s17
	s_xor_b32 exec_lo, exec_lo, s31
	s_cbranch_execz .LBB6_5748
.LBB6_7599:                             ;   in Loop: Header=BB6_5734 Depth=3
	v_cmp_ne_u16_e32 vcc_lo, 0, v40
	v_mov_b32_e32 v41, 0
	s_and_not1_b32 s13, s13, exec_lo
	s_and_b32 s17, vcc_lo, exec_lo
	s_delay_alu instid0(SALU_CYCLE_1)
	s_or_b32 s13, s13, s17
	s_or_b32 exec_lo, exec_lo, s31
	s_and_saveexec_b32 s17, s13
	s_cbranch_execnz .LBB6_5749
	s_branch .LBB6_5750
.LBB6_7600:                             ;   in Loop: Header=BB6_5734 Depth=3
	s_mov_b32 s13, -1
	s_mov_b32 s34, exec_lo
                                        ; implicit-def: $sgpr17
	v_cmpx_eq_u16_e32 0x80, v42
; %bb.7601:                             ;   in Loop: Header=BB6_5734 Depth=3
	s_mov_b32 s17, 0x7f800001
	s_xor_b32 s13, exec_lo, -1
; %bb.7602:                             ;   in Loop: Header=BB6_5734 Depth=3
	s_or_b32 exec_lo, exec_lo, s34
	s_delay_alu instid0(SALU_CYCLE_1)
	s_and_b32 s13, s13, exec_lo
                                        ; implicit-def: $vgpr42
	s_or_saveexec_b32 s31, s31
	v_mov_b32_e32 v40, s17
	s_xor_b32 exec_lo, exec_lo, s31
	s_cbranch_execz .LBB6_5752
.LBB6_7603:                             ;   in Loop: Header=BB6_5734 Depth=3
	v_cmp_ne_u16_e32 vcc_lo, 0, v42
	v_mov_b32_e32 v40, 0
	s_and_not1_b32 s13, s13, exec_lo
	s_and_b32 s17, vcc_lo, exec_lo
	s_delay_alu instid0(SALU_CYCLE_1)
	s_or_b32 s13, s13, s17
	s_or_b32 exec_lo, exec_lo, s31
	s_and_saveexec_b32 s17, s13
	s_cbranch_execnz .LBB6_5753
	s_branch .LBB6_5754
.LBB6_7604:                             ;   in Loop: Header=BB6_5734 Depth=3
	s_mov_b32 s17, -1
	s_mov_b32 s34, exec_lo
                                        ; implicit-def: $sgpr31
	v_cmpx_eq_u16_e32 0x80, v42
; %bb.7605:                             ;   in Loop: Header=BB6_5734 Depth=3
	s_mov_b32 s31, 0x7f800001
	s_xor_b32 s17, exec_lo, -1
; %bb.7606:                             ;   in Loop: Header=BB6_5734 Depth=3
	s_or_b32 exec_lo, exec_lo, s34
	s_delay_alu instid0(SALU_CYCLE_1)
	s_and_b32 s17, s17, exec_lo
	s_or_saveexec_b32 s13, s13
	v_mov_b32_e32 v43, s31
	s_xor_b32 exec_lo, exec_lo, s13
	s_cbranch_execz .LBB6_5766
.LBB6_7607:                             ;   in Loop: Header=BB6_5734 Depth=3
	v_cmp_ne_u16_e32 vcc_lo, 0, v42
	v_mov_b32_e32 v43, 0
	s_and_not1_b32 s17, s17, exec_lo
	s_and_b32 vcc_lo, vcc_lo, exec_lo
	s_delay_alu instid0(SALU_CYCLE_1)
	s_or_b32 s17, s17, vcc_lo
	s_or_b32 exec_lo, exec_lo, s13
	s_and_saveexec_b32 s13, s17
	s_cbranch_execnz .LBB6_5767
	s_branch .LBB6_5768
.LBB6_7608:                             ;   in Loop: Header=BB6_5734 Depth=3
	s_mov_b32 s13, -1
	s_mov_b32 s34, exec_lo
                                        ; implicit-def: $sgpr17
	v_cmpx_eq_u16_e32 0x80, v41
; %bb.7609:                             ;   in Loop: Header=BB6_5734 Depth=3
	s_mov_b32 s17, 0x7f800001
	s_xor_b32 s13, exec_lo, -1
; %bb.7610:                             ;   in Loop: Header=BB6_5734 Depth=3
	s_or_b32 exec_lo, exec_lo, s34
	s_delay_alu instid0(SALU_CYCLE_1)
	s_and_b32 s13, s13, exec_lo
	s_or_saveexec_b32 s31, s31
	v_mov_b32_e32 v44, s17
	s_xor_b32 exec_lo, exec_lo, s31
	s_cbranch_execz .LBB6_5770
.LBB6_7611:                             ;   in Loop: Header=BB6_5734 Depth=3
	v_cmp_ne_u16_e32 vcc_lo, 0, v41
	v_mov_b32_e32 v44, 0
	s_and_not1_b32 s13, s13, exec_lo
	s_and_b32 s17, vcc_lo, exec_lo
	s_delay_alu instid0(SALU_CYCLE_1)
	s_or_b32 s13, s13, s17
	s_or_b32 exec_lo, exec_lo, s31
	s_and_saveexec_b32 s17, s13
	s_cbranch_execnz .LBB6_5771
	s_branch .LBB6_5772
.LBB6_7612:                             ;   in Loop: Header=BB6_5734 Depth=3
	s_mov_b32 s13, -1
	s_mov_b32 s34, exec_lo
                                        ; implicit-def: $sgpr17
	v_cmpx_eq_u16_e32 0x80, v42
; %bb.7613:                             ;   in Loop: Header=BB6_5734 Depth=3
	s_mov_b32 s17, 0x7f800001
	s_xor_b32 s13, exec_lo, -1
; %bb.7614:                             ;   in Loop: Header=BB6_5734 Depth=3
	s_or_b32 exec_lo, exec_lo, s34
	s_delay_alu instid0(SALU_CYCLE_1)
	s_and_b32 s13, s13, exec_lo
	s_or_saveexec_b32 s31, s31
	v_mov_b32_e32 v43, s17
	s_xor_b32 exec_lo, exec_lo, s31
	s_cbranch_execz .LBB6_5777
.LBB6_7615:                             ;   in Loop: Header=BB6_5734 Depth=3
	v_cmp_ne_u16_e32 vcc_lo, 0, v42
	v_mov_b32_e32 v43, 0
	s_and_not1_b32 s13, s13, exec_lo
	s_and_b32 s17, vcc_lo, exec_lo
	s_delay_alu instid0(SALU_CYCLE_1)
	s_or_b32 s13, s13, s17
	s_or_b32 exec_lo, exec_lo, s31
	s_and_saveexec_b32 s17, s13
	s_cbranch_execnz .LBB6_5778
	s_branch .LBB6_5779
.LBB6_7616:                             ;   in Loop: Header=BB6_5734 Depth=3
	s_mov_b32 s13, -1
	s_mov_b32 s34, exec_lo
                                        ; implicit-def: $sgpr17
	v_cmpx_eq_u16_e32 0x80, v41
; %bb.7617:                             ;   in Loop: Header=BB6_5734 Depth=3
	s_mov_b32 s17, 0x7f800001
	s_xor_b32 s13, exec_lo, -1
; %bb.7618:                             ;   in Loop: Header=BB6_5734 Depth=3
	s_or_b32 exec_lo, exec_lo, s34
	s_delay_alu instid0(SALU_CYCLE_1)
	s_and_b32 s13, s13, exec_lo
	s_or_saveexec_b32 s31, s31
	v_mov_b32_e32 v42, s17
	s_xor_b32 exec_lo, exec_lo, s31
	s_cbranch_execz .LBB6_5781
.LBB6_7619:                             ;   in Loop: Header=BB6_5734 Depth=3
	v_cmp_ne_u16_e32 vcc_lo, 0, v41
	v_mov_b32_e32 v42, 0
	s_and_not1_b32 s13, s13, exec_lo
	s_and_b32 s17, vcc_lo, exec_lo
	s_delay_alu instid0(SALU_CYCLE_1)
	s_or_b32 s13, s13, s17
	s_or_b32 exec_lo, exec_lo, s31
	s_and_saveexec_b32 s17, s13
	s_cbranch_execnz .LBB6_5782
	s_branch .LBB6_5783
.LBB6_7620:                             ;   in Loop: Header=BB6_5734 Depth=3
	s_mov_b32 s17, -1
	s_mov_b32 s34, exec_lo
                                        ; implicit-def: $sgpr31
	v_cmpx_eq_u16_e32 0x80, v44
; %bb.7621:                             ;   in Loop: Header=BB6_5734 Depth=3
	s_mov_b32 s31, 0x7f800001
	s_xor_b32 s17, exec_lo, -1
; %bb.7622:                             ;   in Loop: Header=BB6_5734 Depth=3
	s_or_b32 exec_lo, exec_lo, s34
	s_delay_alu instid0(SALU_CYCLE_1)
	s_and_b32 s17, s17, exec_lo
	s_or_saveexec_b32 s13, s13
	v_mov_b32_e32 v45, s31
	s_xor_b32 exec_lo, exec_lo, s13
	s_cbranch_execz .LBB6_5795
.LBB6_7623:                             ;   in Loop: Header=BB6_5734 Depth=3
	v_cmp_ne_u16_e32 vcc_lo, 0, v44
	v_mov_b32_e32 v45, 0
	s_and_not1_b32 s17, s17, exec_lo
	s_and_b32 vcc_lo, vcc_lo, exec_lo
	s_delay_alu instid0(SALU_CYCLE_1)
	s_or_b32 s17, s17, vcc_lo
	s_or_b32 exec_lo, exec_lo, s13
	s_and_saveexec_b32 s13, s17
	s_cbranch_execnz .LBB6_5796
	s_branch .LBB6_5797
.LBB6_7624:                             ;   in Loop: Header=BB6_5734 Depth=3
	s_mov_b32 s13, -1
	s_mov_b32 s34, exec_lo
                                        ; implicit-def: $sgpr17
	v_cmpx_eq_u16_e32 0x80, v47
; %bb.7625:                             ;   in Loop: Header=BB6_5734 Depth=3
	s_mov_b32 s17, 0x7f800001
	s_xor_b32 s13, exec_lo, -1
; %bb.7626:                             ;   in Loop: Header=BB6_5734 Depth=3
	s_or_b32 exec_lo, exec_lo, s34
	s_delay_alu instid0(SALU_CYCLE_1)
	s_and_b32 s13, s13, exec_lo
                                        ; implicit-def: $vgpr47
	s_or_saveexec_b32 s31, s31
	v_mov_b32_e32 v46, s17
	s_xor_b32 exec_lo, exec_lo, s31
	s_cbranch_execz .LBB6_5799
.LBB6_7627:                             ;   in Loop: Header=BB6_5734 Depth=3
	v_cmp_ne_u16_e32 vcc_lo, 0, v47
	v_mov_b32_e32 v46, 0
	s_and_not1_b32 s13, s13, exec_lo
	s_and_b32 s17, vcc_lo, exec_lo
	s_delay_alu instid0(SALU_CYCLE_1)
	s_or_b32 s13, s13, s17
	s_or_b32 exec_lo, exec_lo, s31
	s_and_saveexec_b32 s17, s13
	s_cbranch_execnz .LBB6_5800
	s_branch .LBB6_5801
.LBB6_7628:                             ;   in Loop: Header=BB6_5734 Depth=3
	s_mov_b32 s13, -1
	s_mov_b32 s34, exec_lo
                                        ; implicit-def: $sgpr17
	v_cmpx_eq_u16_e32 0x80, v44
; %bb.7629:                             ;   in Loop: Header=BB6_5734 Depth=3
	s_mov_b32 s17, 0x7f800001
	s_xor_b32 s13, exec_lo, -1
; %bb.7630:                             ;   in Loop: Header=BB6_5734 Depth=3
	s_or_b32 exec_lo, exec_lo, s34
	s_delay_alu instid0(SALU_CYCLE_1)
	s_and_b32 s13, s13, exec_lo
                                        ; implicit-def: $vgpr44
	s_or_saveexec_b32 s31, s31
	v_mov_b32_e32 v45, s17
	s_xor_b32 exec_lo, exec_lo, s31
	s_cbranch_execz .LBB6_5806
.LBB6_7631:                             ;   in Loop: Header=BB6_5734 Depth=3
	v_cmp_ne_u16_e32 vcc_lo, 0, v44
	v_mov_b32_e32 v45, 0
	s_and_not1_b32 s13, s13, exec_lo
	s_and_b32 s17, vcc_lo, exec_lo
	s_delay_alu instid0(SALU_CYCLE_1)
	s_or_b32 s13, s13, s17
	s_or_b32 exec_lo, exec_lo, s31
	s_and_saveexec_b32 s17, s13
	s_cbranch_execnz .LBB6_5807
	s_branch .LBB6_5808
.LBB6_7632:                             ;   in Loop: Header=BB6_5734 Depth=3
	s_mov_b32 s13, -1
	s_mov_b32 s34, exec_lo
                                        ; implicit-def: $sgpr17
	v_cmpx_eq_u16_e32 0x80, v44
; %bb.7633:                             ;   in Loop: Header=BB6_5734 Depth=3
	s_mov_b32 s17, 0x7f800001
	s_xor_b32 s13, exec_lo, -1
; %bb.7634:                             ;   in Loop: Header=BB6_5734 Depth=3
	s_or_b32 exec_lo, exec_lo, s34
	s_delay_alu instid0(SALU_CYCLE_1)
	s_and_b32 s13, s13, exec_lo
                                        ; implicit-def: $vgpr44
	s_or_saveexec_b32 s31, s31
	v_mov_b32_e32 v43, s17
	s_xor_b32 exec_lo, exec_lo, s31
	s_cbranch_execz .LBB6_5810
.LBB6_7635:                             ;   in Loop: Header=BB6_5734 Depth=3
	v_cmp_ne_u16_e32 vcc_lo, 0, v44
	v_mov_b32_e32 v43, 0
	s_and_not1_b32 s13, s13, exec_lo
	s_and_b32 s17, vcc_lo, exec_lo
	s_delay_alu instid0(SALU_CYCLE_1)
	s_or_b32 s13, s13, s17
	s_or_b32 exec_lo, exec_lo, s31
	s_and_saveexec_b32 s17, s13
	s_cbranch_execnz .LBB6_5811
	s_branch .LBB6_5812
.LBB6_7636:                             ;   in Loop: Header=BB6_5734 Depth=3
	s_mov_b32 s17, -1
	s_mov_b32 s34, exec_lo
                                        ; implicit-def: $sgpr31
	v_cmpx_eq_u16_e32 0x80, v44
; %bb.7637:                             ;   in Loop: Header=BB6_5734 Depth=3
	s_mov_b32 s31, 0x7f800001
	s_xor_b32 s17, exec_lo, -1
; %bb.7638:                             ;   in Loop: Header=BB6_5734 Depth=3
	s_or_b32 exec_lo, exec_lo, s34
	s_delay_alu instid0(SALU_CYCLE_1)
	s_and_b32 s17, s17, exec_lo
	s_or_saveexec_b32 s13, s13
	v_mov_b32_e32 v45, s31
	s_xor_b32 exec_lo, exec_lo, s13
	s_cbranch_execz .LBB6_5824
.LBB6_7639:                             ;   in Loop: Header=BB6_5734 Depth=3
	v_cmp_ne_u16_e32 vcc_lo, 0, v44
	v_mov_b32_e32 v45, 0
	s_and_not1_b32 s17, s17, exec_lo
	s_and_b32 vcc_lo, vcc_lo, exec_lo
	s_delay_alu instid0(SALU_CYCLE_1)
	s_or_b32 s17, s17, vcc_lo
	s_or_b32 exec_lo, exec_lo, s13
	s_and_saveexec_b32 s13, s17
	s_cbranch_execnz .LBB6_5825
	s_branch .LBB6_5826
.LBB6_7640:                             ;   in Loop: Header=BB6_5734 Depth=3
	s_mov_b32 s13, -1
	s_mov_b32 s34, exec_lo
                                        ; implicit-def: $sgpr17
	v_cmpx_eq_u16_e32 0x80, v43
; %bb.7641:                             ;   in Loop: Header=BB6_5734 Depth=3
	s_mov_b32 s17, 0x7f800001
	s_xor_b32 s13, exec_lo, -1
; %bb.7642:                             ;   in Loop: Header=BB6_5734 Depth=3
	s_or_b32 exec_lo, exec_lo, s34
	s_delay_alu instid0(SALU_CYCLE_1)
	s_and_b32 s13, s13, exec_lo
	s_or_saveexec_b32 s31, s31
	v_mov_b32_e32 v46, s17
	s_xor_b32 exec_lo, exec_lo, s31
	s_cbranch_execz .LBB6_5828
.LBB6_7643:                             ;   in Loop: Header=BB6_5734 Depth=3
	v_cmp_ne_u16_e32 vcc_lo, 0, v43
	v_mov_b32_e32 v46, 0
	s_and_not1_b32 s13, s13, exec_lo
	s_and_b32 s17, vcc_lo, exec_lo
	s_delay_alu instid0(SALU_CYCLE_1)
	s_or_b32 s13, s13, s17
	s_or_b32 exec_lo, exec_lo, s31
	s_and_saveexec_b32 s17, s13
	s_cbranch_execnz .LBB6_5829
	s_branch .LBB6_5830
.LBB6_7644:                             ;   in Loop: Header=BB6_5734 Depth=3
	s_mov_b32 s13, -1
	s_mov_b32 s34, exec_lo
                                        ; implicit-def: $sgpr17
	v_cmpx_eq_u16_e32 0x80, v44
; %bb.7645:                             ;   in Loop: Header=BB6_5734 Depth=3
	s_mov_b32 s17, 0x7f800001
	s_xor_b32 s13, exec_lo, -1
; %bb.7646:                             ;   in Loop: Header=BB6_5734 Depth=3
	s_or_b32 exec_lo, exec_lo, s34
	s_delay_alu instid0(SALU_CYCLE_1)
	s_and_b32 s13, s13, exec_lo
	s_or_saveexec_b32 s31, s31
	v_mov_b32_e32 v45, s17
	s_xor_b32 exec_lo, exec_lo, s31
	s_cbranch_execz .LBB6_5835
.LBB6_7647:                             ;   in Loop: Header=BB6_5734 Depth=3
	v_cmp_ne_u16_e32 vcc_lo, 0, v44
	v_mov_b32_e32 v45, 0
	s_and_not1_b32 s13, s13, exec_lo
	s_and_b32 s17, vcc_lo, exec_lo
	s_delay_alu instid0(SALU_CYCLE_1)
	s_or_b32 s13, s13, s17
	s_or_b32 exec_lo, exec_lo, s31
	s_and_saveexec_b32 s17, s13
	s_cbranch_execnz .LBB6_5836
	s_branch .LBB6_5837
.LBB6_7648:                             ;   in Loop: Header=BB6_5734 Depth=3
	s_mov_b32 s13, -1
	s_mov_b32 s34, exec_lo
                                        ; implicit-def: $sgpr17
	v_cmpx_eq_u16_e32 0x80, v43
; %bb.7649:                             ;   in Loop: Header=BB6_5734 Depth=3
	s_mov_b32 s17, 0x7f800001
	s_xor_b32 s13, exec_lo, -1
; %bb.7650:                             ;   in Loop: Header=BB6_5734 Depth=3
	s_or_b32 exec_lo, exec_lo, s34
	s_delay_alu instid0(SALU_CYCLE_1)
	s_and_b32 s13, s13, exec_lo
	s_or_saveexec_b32 s31, s31
	v_mov_b32_e32 v48, s17
	s_xor_b32 exec_lo, exec_lo, s31
	s_cbranch_execz .LBB6_5839
.LBB6_7651:                             ;   in Loop: Header=BB6_5734 Depth=3
	v_cmp_ne_u16_e32 vcc_lo, 0, v43
	v_mov_b32_e32 v48, 0
	s_and_not1_b32 s13, s13, exec_lo
	s_and_b32 s17, vcc_lo, exec_lo
	s_delay_alu instid0(SALU_CYCLE_1)
	s_or_b32 s13, s13, s17
	s_or_b32 exec_lo, exec_lo, s31
	s_and_saveexec_b32 s17, s13
	s_cbranch_execnz .LBB6_5840
	s_branch .LBB6_5841
.LBB6_7652:                             ;   in Loop: Header=BB6_5734 Depth=3
	s_mov_b32 s17, -1
	s_mov_b32 s34, exec_lo
                                        ; implicit-def: $sgpr31
	v_cmpx_eq_u16_e32 0x80, v48
; %bb.7653:                             ;   in Loop: Header=BB6_5734 Depth=3
	s_mov_b32 s31, 0x7f800001
	s_xor_b32 s17, exec_lo, -1
; %bb.7654:                             ;   in Loop: Header=BB6_5734 Depth=3
	s_or_b32 exec_lo, exec_lo, s34
	s_delay_alu instid0(SALU_CYCLE_1)
	s_and_b32 s17, s17, exec_lo
	s_or_saveexec_b32 s13, s13
	v_mov_b32_e32 v43, s31
	s_xor_b32 exec_lo, exec_lo, s13
	s_cbranch_execz .LBB6_5853
.LBB6_7655:                             ;   in Loop: Header=BB6_5734 Depth=3
	v_cmp_ne_u16_e32 vcc_lo, 0, v48
	v_mov_b32_e32 v43, 0
	s_and_not1_b32 s17, s17, exec_lo
	s_and_b32 vcc_lo, vcc_lo, exec_lo
	s_delay_alu instid0(SALU_CYCLE_1)
	s_or_b32 s17, s17, vcc_lo
	s_or_b32 exec_lo, exec_lo, s13
	s_and_saveexec_b32 s13, s17
	s_cbranch_execnz .LBB6_5854
	s_branch .LBB6_5855
.LBB6_7656:                             ;   in Loop: Header=BB6_5734 Depth=3
	s_mov_b32 s13, -1
	s_mov_b32 s34, exec_lo
                                        ; implicit-def: $sgpr17
	v_cmpx_eq_u16_e32 0x80, v45
; %bb.7657:                             ;   in Loop: Header=BB6_5734 Depth=3
	s_mov_b32 s17, 0x7f800001
	s_xor_b32 s13, exec_lo, -1
; %bb.7658:                             ;   in Loop: Header=BB6_5734 Depth=3
	s_or_b32 exec_lo, exec_lo, s34
	s_delay_alu instid0(SALU_CYCLE_1)
	s_and_b32 s13, s13, exec_lo
                                        ; implicit-def: $vgpr45
	s_or_saveexec_b32 s31, s31
	v_mov_b32_e32 v44, s17
	s_xor_b32 exec_lo, exec_lo, s31
	s_cbranch_execz .LBB6_5857
.LBB6_7659:                             ;   in Loop: Header=BB6_5734 Depth=3
	v_cmp_ne_u16_e32 vcc_lo, 0, v45
	v_mov_b32_e32 v44, 0
	s_and_not1_b32 s13, s13, exec_lo
	s_and_b32 s17, vcc_lo, exec_lo
	s_delay_alu instid0(SALU_CYCLE_1)
	s_or_b32 s13, s13, s17
	s_or_b32 exec_lo, exec_lo, s31
	s_and_saveexec_b32 s17, s13
	s_cbranch_execnz .LBB6_5858
	s_branch .LBB6_5859
.LBB6_7660:                             ;   in Loop: Header=BB6_5734 Depth=3
	s_mov_b32 s13, -1
	s_mov_b32 s34, exec_lo
                                        ; implicit-def: $sgpr17
	v_cmpx_eq_u16_e32 0x80, v48
; %bb.7661:                             ;   in Loop: Header=BB6_5734 Depth=3
	s_mov_b32 s17, 0x7f800001
	s_xor_b32 s13, exec_lo, -1
; %bb.7662:                             ;   in Loop: Header=BB6_5734 Depth=3
	s_or_b32 exec_lo, exec_lo, s34
	s_delay_alu instid0(SALU_CYCLE_1)
	s_and_b32 s13, s13, exec_lo
                                        ; implicit-def: $vgpr48
	s_or_saveexec_b32 s31, s31
	v_mov_b32_e32 v43, s17
	s_xor_b32 exec_lo, exec_lo, s31
	s_cbranch_execz .LBB6_5864
.LBB6_7663:                             ;   in Loop: Header=BB6_5734 Depth=3
	v_cmp_ne_u16_e32 vcc_lo, 0, v48
	v_mov_b32_e32 v43, 0
	s_and_not1_b32 s13, s13, exec_lo
	s_and_b32 s17, vcc_lo, exec_lo
	s_delay_alu instid0(SALU_CYCLE_1)
	s_or_b32 s13, s13, s17
	s_or_b32 exec_lo, exec_lo, s31
	s_and_saveexec_b32 s17, s13
	s_cbranch_execnz .LBB6_5865
	s_branch .LBB6_5866
.LBB6_7664:                             ;   in Loop: Header=BB6_5734 Depth=3
	s_mov_b32 s13, -1
	s_mov_b32 s34, exec_lo
                                        ; implicit-def: $sgpr17
	v_cmpx_eq_u16_e32 0x80, v44
; %bb.7665:                             ;   in Loop: Header=BB6_5734 Depth=3
	s_mov_b32 s17, 0x7f800001
	s_xor_b32 s13, exec_lo, -1
; %bb.7666:                             ;   in Loop: Header=BB6_5734 Depth=3
	s_or_b32 exec_lo, exec_lo, s34
	s_delay_alu instid0(SALU_CYCLE_1)
	s_and_b32 s13, s13, exec_lo
                                        ; implicit-def: $vgpr44
	s_or_saveexec_b32 s31, s31
	v_mov_b32_e32 v48, s17
	s_xor_b32 exec_lo, exec_lo, s31
	s_cbranch_execz .LBB6_5868
.LBB6_7667:                             ;   in Loop: Header=BB6_5734 Depth=3
	v_cmp_ne_u16_e32 vcc_lo, 0, v44
	v_mov_b32_e32 v48, 0
	s_and_not1_b32 s13, s13, exec_lo
	s_and_b32 s17, vcc_lo, exec_lo
	s_delay_alu instid0(SALU_CYCLE_1)
	s_or_b32 s13, s13, s17
	s_or_b32 exec_lo, exec_lo, s31
	s_and_saveexec_b32 s17, s13
	s_cbranch_execnz .LBB6_5869
	s_branch .LBB6_5870
.LBB6_7668:                             ;   in Loop: Header=BB6_5734 Depth=3
	s_mov_b32 s17, -1
	s_mov_b32 s34, exec_lo
                                        ; implicit-def: $sgpr31
	v_cmpx_eq_u16_e32 0x80, v44
; %bb.7669:                             ;   in Loop: Header=BB6_5734 Depth=3
	s_mov_b32 s31, 0x7f800001
	s_xor_b32 s17, exec_lo, -1
; %bb.7670:                             ;   in Loop: Header=BB6_5734 Depth=3
	s_or_b32 exec_lo, exec_lo, s34
	s_delay_alu instid0(SALU_CYCLE_1)
	s_and_b32 s17, s17, exec_lo
	s_or_saveexec_b32 s13, s13
	v_mov_b32_e32 v45, s31
	s_xor_b32 exec_lo, exec_lo, s13
	s_cbranch_execz .LBB6_5882
.LBB6_7671:                             ;   in Loop: Header=BB6_5734 Depth=3
	v_cmp_ne_u16_e32 vcc_lo, 0, v44
	v_mov_b32_e32 v45, 0
	s_and_not1_b32 s17, s17, exec_lo
	s_and_b32 vcc_lo, vcc_lo, exec_lo
	s_delay_alu instid0(SALU_CYCLE_1)
	s_or_b32 s17, s17, vcc_lo
	s_or_b32 exec_lo, exec_lo, s13
	s_and_saveexec_b32 s13, s17
	s_cbranch_execnz .LBB6_5883
	s_branch .LBB6_5884
.LBB6_7672:                             ;   in Loop: Header=BB6_5734 Depth=3
	s_mov_b32 s13, -1
	s_mov_b32 s34, exec_lo
                                        ; implicit-def: $sgpr17
	v_cmpx_eq_u16_e32 0x80, v43
; %bb.7673:                             ;   in Loop: Header=BB6_5734 Depth=3
	s_mov_b32 s17, 0x7f800001
	s_xor_b32 s13, exec_lo, -1
; %bb.7674:                             ;   in Loop: Header=BB6_5734 Depth=3
	s_or_b32 exec_lo, exec_lo, s34
	s_delay_alu instid0(SALU_CYCLE_1)
	s_and_b32 s13, s13, exec_lo
	s_or_saveexec_b32 s31, s31
	v_mov_b32_e32 v46, s17
	s_xor_b32 exec_lo, exec_lo, s31
	s_cbranch_execz .LBB6_5886
.LBB6_7675:                             ;   in Loop: Header=BB6_5734 Depth=3
	v_cmp_ne_u16_e32 vcc_lo, 0, v43
	v_mov_b32_e32 v46, 0
	s_and_not1_b32 s13, s13, exec_lo
	s_and_b32 s17, vcc_lo, exec_lo
	s_delay_alu instid0(SALU_CYCLE_1)
	s_or_b32 s13, s13, s17
	s_or_b32 exec_lo, exec_lo, s31
	s_and_saveexec_b32 s17, s13
	s_cbranch_execnz .LBB6_5887
	s_branch .LBB6_5888
.LBB6_7676:                             ;   in Loop: Header=BB6_5734 Depth=3
	s_mov_b32 s13, -1
	s_mov_b32 s34, exec_lo
                                        ; implicit-def: $sgpr17
	v_cmpx_eq_u16_e32 0x80, v44
; %bb.7677:                             ;   in Loop: Header=BB6_5734 Depth=3
	s_mov_b32 s17, 0x7f800001
	s_xor_b32 s13, exec_lo, -1
; %bb.7678:                             ;   in Loop: Header=BB6_5734 Depth=3
	s_or_b32 exec_lo, exec_lo, s34
	s_delay_alu instid0(SALU_CYCLE_1)
	s_and_b32 s13, s13, exec_lo
	s_or_saveexec_b32 s31, s31
	v_mov_b32_e32 v45, s17
	s_xor_b32 exec_lo, exec_lo, s31
	s_cbranch_execz .LBB6_5893
.LBB6_7679:                             ;   in Loop: Header=BB6_5734 Depth=3
	v_cmp_ne_u16_e32 vcc_lo, 0, v44
	v_mov_b32_e32 v45, 0
	s_and_not1_b32 s13, s13, exec_lo
	s_and_b32 s17, vcc_lo, exec_lo
	s_delay_alu instid0(SALU_CYCLE_1)
	s_or_b32 s13, s13, s17
	s_or_b32 exec_lo, exec_lo, s31
	s_and_saveexec_b32 s17, s13
	s_cbranch_execnz .LBB6_5894
	s_branch .LBB6_5895
.LBB6_7680:                             ;   in Loop: Header=BB6_5734 Depth=3
	s_mov_b32 s13, -1
	s_mov_b32 s34, exec_lo
                                        ; implicit-def: $sgpr17
	v_cmpx_eq_u16_e32 0x80, v43
; %bb.7681:                             ;   in Loop: Header=BB6_5734 Depth=3
	s_mov_b32 s17, 0x7f800001
	s_xor_b32 s13, exec_lo, -1
; %bb.7682:                             ;   in Loop: Header=BB6_5734 Depth=3
	s_or_b32 exec_lo, exec_lo, s34
	s_delay_alu instid0(SALU_CYCLE_1)
	s_and_b32 s13, s13, exec_lo
	s_or_saveexec_b32 s31, s31
	v_mov_b32_e32 v44, s17
	s_xor_b32 exec_lo, exec_lo, s31
	s_cbranch_execz .LBB6_5897
.LBB6_7683:                             ;   in Loop: Header=BB6_5734 Depth=3
	v_cmp_ne_u16_e32 vcc_lo, 0, v43
	v_mov_b32_e32 v44, 0
	s_and_not1_b32 s13, s13, exec_lo
	s_and_b32 s17, vcc_lo, exec_lo
	s_delay_alu instid0(SALU_CYCLE_1)
	s_or_b32 s13, s13, s17
	s_or_b32 exec_lo, exec_lo, s31
	s_and_saveexec_b32 s17, s13
	s_cbranch_execnz .LBB6_5898
	s_branch .LBB6_5899
.LBB6_7684:                             ;   in Loop: Header=BB6_5734 Depth=3
	s_mov_b32 s17, -1
	s_mov_b32 s34, exec_lo
                                        ; implicit-def: $sgpr31
	v_cmpx_eq_u16_e32 0x80, v46
; %bb.7685:                             ;   in Loop: Header=BB6_5734 Depth=3
	s_mov_b32 s31, 0x7f800001
	s_xor_b32 s17, exec_lo, -1
; %bb.7686:                             ;   in Loop: Header=BB6_5734 Depth=3
	s_or_b32 exec_lo, exec_lo, s34
	s_delay_alu instid0(SALU_CYCLE_1)
	s_and_b32 s17, s17, exec_lo
	s_or_saveexec_b32 s13, s13
	v_mov_b32_e32 v47, s31
	s_xor_b32 exec_lo, exec_lo, s13
	s_cbranch_execz .LBB6_5911
.LBB6_7687:                             ;   in Loop: Header=BB6_5734 Depth=3
	v_cmp_ne_u16_e32 vcc_lo, 0, v46
	v_mov_b32_e32 v47, 0
	s_and_not1_b32 s17, s17, exec_lo
	s_and_b32 vcc_lo, vcc_lo, exec_lo
	s_delay_alu instid0(SALU_CYCLE_1)
	s_or_b32 s17, s17, vcc_lo
	s_or_b32 exec_lo, exec_lo, s13
	s_and_saveexec_b32 s13, s17
	s_cbranch_execnz .LBB6_5912
	s_branch .LBB6_5913
.LBB6_7688:                             ;   in Loop: Header=BB6_5734 Depth=3
	s_mov_b32 s13, -1
	s_mov_b32 s34, exec_lo
                                        ; implicit-def: $sgpr17
	v_cmpx_eq_u16_e32 0x80, v57
; %bb.7689:                             ;   in Loop: Header=BB6_5734 Depth=3
	s_mov_b32 s17, 0x7f800001
	s_xor_b32 s13, exec_lo, -1
; %bb.7690:                             ;   in Loop: Header=BB6_5734 Depth=3
	s_or_b32 exec_lo, exec_lo, s34
	s_delay_alu instid0(SALU_CYCLE_1)
	s_and_b32 s13, s13, exec_lo
                                        ; implicit-def: $vgpr57
	s_or_saveexec_b32 s31, s31
	v_mov_b32_e32 v56, s17
	s_xor_b32 exec_lo, exec_lo, s31
	s_cbranch_execz .LBB6_5915
.LBB6_7691:                             ;   in Loop: Header=BB6_5734 Depth=3
	v_cmp_ne_u16_e32 vcc_lo, 0, v57
	v_mov_b32_e32 v56, 0
	s_and_not1_b32 s13, s13, exec_lo
	s_and_b32 s17, vcc_lo, exec_lo
	s_delay_alu instid0(SALU_CYCLE_1)
	s_or_b32 s13, s13, s17
	s_or_b32 exec_lo, exec_lo, s31
	s_and_saveexec_b32 s17, s13
	s_cbranch_execnz .LBB6_5916
	s_branch .LBB6_5917
.LBB6_7692:                             ;   in Loop: Header=BB6_5734 Depth=3
	s_mov_b32 s13, -1
	s_mov_b32 s34, exec_lo
                                        ; implicit-def: $sgpr17
	v_cmpx_eq_u16_e32 0x80, v46
; %bb.7693:                             ;   in Loop: Header=BB6_5734 Depth=3
	s_mov_b32 s17, 0x7f800001
	s_xor_b32 s13, exec_lo, -1
; %bb.7694:                             ;   in Loop: Header=BB6_5734 Depth=3
	s_or_b32 exec_lo, exec_lo, s34
	s_delay_alu instid0(SALU_CYCLE_1)
	s_and_b32 s13, s13, exec_lo
                                        ; implicit-def: $vgpr46
	s_or_saveexec_b32 s31, s31
	v_mov_b32_e32 v47, s17
	s_xor_b32 exec_lo, exec_lo, s31
	s_cbranch_execz .LBB6_5922
.LBB6_7695:                             ;   in Loop: Header=BB6_5734 Depth=3
	v_cmp_ne_u16_e32 vcc_lo, 0, v46
	v_mov_b32_e32 v47, 0
	s_and_not1_b32 s13, s13, exec_lo
	s_and_b32 s17, vcc_lo, exec_lo
	s_delay_alu instid0(SALU_CYCLE_1)
	s_or_b32 s13, s13, s17
	s_or_b32 exec_lo, exec_lo, s31
	s_and_saveexec_b32 s17, s13
	s_cbranch_execnz .LBB6_5923
	s_branch .LBB6_5924
.LBB6_7696:                             ;   in Loop: Header=BB6_5734 Depth=3
	s_mov_b32 s13, -1
	s_mov_b32 s34, exec_lo
                                        ; implicit-def: $sgpr17
	v_cmpx_eq_u16_e32 0x80, v46
; %bb.7697:                             ;   in Loop: Header=BB6_5734 Depth=3
	s_mov_b32 s17, 0x7f800001
	s_xor_b32 s13, exec_lo, -1
; %bb.7698:                             ;   in Loop: Header=BB6_5734 Depth=3
	s_or_b32 exec_lo, exec_lo, s34
	s_delay_alu instid0(SALU_CYCLE_1)
	s_and_b32 s13, s13, exec_lo
                                        ; implicit-def: $vgpr46
	s_or_saveexec_b32 s31, s31
	v_mov_b32_e32 v45, s17
	s_xor_b32 exec_lo, exec_lo, s31
	s_cbranch_execz .LBB6_5926
.LBB6_7699:                             ;   in Loop: Header=BB6_5734 Depth=3
	v_cmp_ne_u16_e32 vcc_lo, 0, v46
	v_mov_b32_e32 v45, 0
	s_and_not1_b32 s13, s13, exec_lo
	s_and_b32 s17, vcc_lo, exec_lo
	s_delay_alu instid0(SALU_CYCLE_1)
	s_or_b32 s13, s13, s17
	s_or_b32 exec_lo, exec_lo, s31
	s_and_saveexec_b32 s17, s13
	s_cbranch_execnz .LBB6_5927
	s_branch .LBB6_5928
.LBB6_7700:                             ;   in Loop: Header=BB6_5734 Depth=3
	s_mov_b32 s17, -1
	s_mov_b32 s34, exec_lo
                                        ; implicit-def: $sgpr31
	v_cmpx_eq_u16_e32 0x80, v46
; %bb.7701:                             ;   in Loop: Header=BB6_5734 Depth=3
	s_mov_b32 s31, 0x7f800001
	s_xor_b32 s17, exec_lo, -1
; %bb.7702:                             ;   in Loop: Header=BB6_5734 Depth=3
	s_or_b32 exec_lo, exec_lo, s34
	s_delay_alu instid0(SALU_CYCLE_1)
	s_and_b32 s17, s17, exec_lo
	s_or_saveexec_b32 s13, s13
	v_mov_b32_e32 v47, s31
	s_xor_b32 exec_lo, exec_lo, s13
	s_cbranch_execz .LBB6_5940
.LBB6_7703:                             ;   in Loop: Header=BB6_5734 Depth=3
	v_cmp_ne_u16_e32 vcc_lo, 0, v46
	v_mov_b32_e32 v47, 0
	s_and_not1_b32 s17, s17, exec_lo
	s_and_b32 vcc_lo, vcc_lo, exec_lo
	s_delay_alu instid0(SALU_CYCLE_1)
	s_or_b32 s17, s17, vcc_lo
	s_or_b32 exec_lo, exec_lo, s13
	s_and_saveexec_b32 s13, s17
	s_cbranch_execnz .LBB6_5941
	s_branch .LBB6_5942
.LBB6_7704:                             ;   in Loop: Header=BB6_5734 Depth=3
	s_mov_b32 s13, -1
	s_mov_b32 s34, exec_lo
                                        ; implicit-def: $sgpr17
	v_cmpx_eq_u16_e32 0x80, v45
; %bb.7705:                             ;   in Loop: Header=BB6_5734 Depth=3
	s_mov_b32 s17, 0x7f800001
	s_xor_b32 s13, exec_lo, -1
; %bb.7706:                             ;   in Loop: Header=BB6_5734 Depth=3
	s_or_b32 exec_lo, exec_lo, s34
	s_delay_alu instid0(SALU_CYCLE_1)
	s_and_b32 s13, s13, exec_lo
	s_or_saveexec_b32 s31, s31
	v_mov_b32_e32 v56, s17
	s_xor_b32 exec_lo, exec_lo, s31
	s_cbranch_execz .LBB6_5944
.LBB6_7707:                             ;   in Loop: Header=BB6_5734 Depth=3
	v_cmp_ne_u16_e32 vcc_lo, 0, v45
	v_mov_b32_e32 v56, 0
	s_and_not1_b32 s13, s13, exec_lo
	s_and_b32 s17, vcc_lo, exec_lo
	s_delay_alu instid0(SALU_CYCLE_1)
	s_or_b32 s13, s13, s17
	s_or_b32 exec_lo, exec_lo, s31
	s_and_saveexec_b32 s17, s13
	s_cbranch_execnz .LBB6_5945
	s_branch .LBB6_5946
.LBB6_7708:                             ;   in Loop: Header=BB6_5734 Depth=3
	s_mov_b32 s13, -1
	s_mov_b32 s34, exec_lo
                                        ; implicit-def: $sgpr17
	v_cmpx_eq_u16_e32 0x80, v46
; %bb.7709:                             ;   in Loop: Header=BB6_5734 Depth=3
	s_mov_b32 s17, 0x7f800001
	s_xor_b32 s13, exec_lo, -1
; %bb.7710:                             ;   in Loop: Header=BB6_5734 Depth=3
	s_or_b32 exec_lo, exec_lo, s34
	s_delay_alu instid0(SALU_CYCLE_1)
	s_and_b32 s13, s13, exec_lo
	s_or_saveexec_b32 s31, s31
	v_mov_b32_e32 v47, s17
	s_xor_b32 exec_lo, exec_lo, s31
	s_cbranch_execz .LBB6_5951
.LBB6_7711:                             ;   in Loop: Header=BB6_5734 Depth=3
	v_cmp_ne_u16_e32 vcc_lo, 0, v46
	v_mov_b32_e32 v47, 0
	s_and_not1_b32 s13, s13, exec_lo
	s_and_b32 s17, vcc_lo, exec_lo
	s_delay_alu instid0(SALU_CYCLE_1)
	s_or_b32 s13, s13, s17
	s_or_b32 exec_lo, exec_lo, s31
	s_and_saveexec_b32 s17, s13
	s_cbranch_execnz .LBB6_5952
	s_branch .LBB6_5953
.LBB6_7712:                             ;   in Loop: Header=BB6_5734 Depth=3
	s_mov_b32 s13, -1
	s_mov_b32 s34, exec_lo
                                        ; implicit-def: $sgpr17
	v_cmpx_eq_u16_e32 0x80, v45
; %bb.7713:                             ;   in Loop: Header=BB6_5734 Depth=3
	s_mov_b32 s17, 0x7f800001
	s_xor_b32 s13, exec_lo, -1
; %bb.7714:                             ;   in Loop: Header=BB6_5734 Depth=3
	s_or_b32 exec_lo, exec_lo, s34
	s_delay_alu instid0(SALU_CYCLE_1)
	s_and_b32 s13, s13, exec_lo
	s_or_saveexec_b32 s31, s31
	v_mov_b32_e32 v49, s17
	s_xor_b32 exec_lo, exec_lo, s31
	s_cbranch_execz .LBB6_5955
.LBB6_7715:                             ;   in Loop: Header=BB6_5734 Depth=3
	v_cmp_ne_u16_e32 vcc_lo, 0, v45
	v_mov_b32_e32 v49, 0
	s_and_not1_b32 s13, s13, exec_lo
	s_and_b32 s17, vcc_lo, exec_lo
	s_delay_alu instid0(SALU_CYCLE_1)
	s_or_b32 s13, s13, s17
	s_or_b32 exec_lo, exec_lo, s31
	s_and_saveexec_b32 s17, s13
	s_cbranch_execnz .LBB6_5956
	s_branch .LBB6_5957
.LBB6_7716:                             ;   in Loop: Header=BB6_5734 Depth=3
	s_mov_b32 s17, -1
	s_mov_b32 s34, exec_lo
                                        ; implicit-def: $sgpr31
	v_cmpx_eq_u16_e32 0x80, v49
; %bb.7717:                             ;   in Loop: Header=BB6_5734 Depth=3
	s_mov_b32 s31, 0x7f800001
	s_xor_b32 s17, exec_lo, -1
; %bb.7718:                             ;   in Loop: Header=BB6_5734 Depth=3
	s_or_b32 exec_lo, exec_lo, s34
	s_delay_alu instid0(SALU_CYCLE_1)
	s_and_b32 s17, s17, exec_lo
	s_or_saveexec_b32 s13, s13
	v_mov_b32_e32 v45, s31
	s_xor_b32 exec_lo, exec_lo, s13
	s_cbranch_execz .LBB6_5969
.LBB6_7719:                             ;   in Loop: Header=BB6_5734 Depth=3
	v_cmp_ne_u16_e32 vcc_lo, 0, v49
	v_mov_b32_e32 v45, 0
	s_and_not1_b32 s17, s17, exec_lo
	s_and_b32 vcc_lo, vcc_lo, exec_lo
	s_delay_alu instid0(SALU_CYCLE_1)
	s_or_b32 s17, s17, vcc_lo
	s_or_b32 exec_lo, exec_lo, s13
	s_and_saveexec_b32 s13, s17
	s_cbranch_execnz .LBB6_5970
	s_branch .LBB6_5971
.LBB6_7720:                             ;   in Loop: Header=BB6_5734 Depth=3
	s_mov_b32 s13, -1
	s_mov_b32 s34, exec_lo
                                        ; implicit-def: $sgpr17
	v_cmpx_eq_u16_e32 0x80, v47
; %bb.7721:                             ;   in Loop: Header=BB6_5734 Depth=3
	s_mov_b32 s17, 0x7f800001
	s_xor_b32 s13, exec_lo, -1
; %bb.7722:                             ;   in Loop: Header=BB6_5734 Depth=3
	s_or_b32 exec_lo, exec_lo, s34
	s_delay_alu instid0(SALU_CYCLE_1)
	s_and_b32 s13, s13, exec_lo
                                        ; implicit-def: $vgpr47
	s_or_saveexec_b32 s31, s31
	v_mov_b32_e32 v46, s17
	s_xor_b32 exec_lo, exec_lo, s31
	s_cbranch_execz .LBB6_5973
.LBB6_7723:                             ;   in Loop: Header=BB6_5734 Depth=3
	v_cmp_ne_u16_e32 vcc_lo, 0, v47
	v_mov_b32_e32 v46, 0
	s_and_not1_b32 s13, s13, exec_lo
	s_and_b32 s17, vcc_lo, exec_lo
	s_delay_alu instid0(SALU_CYCLE_1)
	s_or_b32 s13, s13, s17
	s_or_b32 exec_lo, exec_lo, s31
	s_and_saveexec_b32 s17, s13
	s_cbranch_execnz .LBB6_5974
	s_branch .LBB6_5975
.LBB6_7724:                             ;   in Loop: Header=BB6_5734 Depth=3
	s_mov_b32 s13, -1
	s_mov_b32 s34, exec_lo
                                        ; implicit-def: $sgpr17
	v_cmpx_eq_u16_e32 0x80, v49
; %bb.7725:                             ;   in Loop: Header=BB6_5734 Depth=3
	s_mov_b32 s17, 0x7f800001
	s_xor_b32 s13, exec_lo, -1
; %bb.7726:                             ;   in Loop: Header=BB6_5734 Depth=3
	s_or_b32 exec_lo, exec_lo, s34
	s_delay_alu instid0(SALU_CYCLE_1)
	s_and_b32 s13, s13, exec_lo
                                        ; implicit-def: $vgpr49
	s_or_saveexec_b32 s31, s31
	v_mov_b32_e32 v45, s17
	s_xor_b32 exec_lo, exec_lo, s31
	s_cbranch_execz .LBB6_5980
.LBB6_7727:                             ;   in Loop: Header=BB6_5734 Depth=3
	v_cmp_ne_u16_e32 vcc_lo, 0, v49
	v_mov_b32_e32 v45, 0
	s_and_not1_b32 s13, s13, exec_lo
	s_and_b32 s17, vcc_lo, exec_lo
	s_delay_alu instid0(SALU_CYCLE_1)
	s_or_b32 s13, s13, s17
	s_or_b32 exec_lo, exec_lo, s31
	s_and_saveexec_b32 s17, s13
	s_cbranch_execnz .LBB6_5981
	s_branch .LBB6_5982
.LBB6_7728:                             ;   in Loop: Header=BB6_5734 Depth=3
	s_mov_b32 s13, -1
	s_mov_b32 s34, exec_lo
                                        ; implicit-def: $sgpr17
	v_cmpx_eq_u16_e32 0x80, v46
; %bb.7729:                             ;   in Loop: Header=BB6_5734 Depth=3
	s_mov_b32 s17, 0x7f800001
	s_xor_b32 s13, exec_lo, -1
; %bb.7730:                             ;   in Loop: Header=BB6_5734 Depth=3
	s_or_b32 exec_lo, exec_lo, s34
	s_delay_alu instid0(SALU_CYCLE_1)
	s_and_b32 s13, s13, exec_lo
                                        ; implicit-def: $vgpr46
	s_or_saveexec_b32 s31, s31
	v_mov_b32_e32 v49, s17
	s_xor_b32 exec_lo, exec_lo, s31
	s_cbranch_execz .LBB6_5984
.LBB6_7731:                             ;   in Loop: Header=BB6_5734 Depth=3
	v_cmp_ne_u16_e32 vcc_lo, 0, v46
	v_mov_b32_e32 v49, 0
	s_and_not1_b32 s13, s13, exec_lo
	s_and_b32 s17, vcc_lo, exec_lo
	s_delay_alu instid0(SALU_CYCLE_1)
	s_or_b32 s13, s13, s17
	s_or_b32 exec_lo, exec_lo, s31
	s_and_saveexec_b32 s17, s13
	s_cbranch_execnz .LBB6_5985
	s_branch .LBB6_5986
.LBB6_7732:                             ;   in Loop: Header=BB6_5734 Depth=3
	s_mov_b32 s17, -1
	s_mov_b32 s34, exec_lo
                                        ; implicit-def: $sgpr31
	v_cmpx_eq_u16_e32 0x80, v46
; %bb.7733:                             ;   in Loop: Header=BB6_5734 Depth=3
	s_mov_b32 s31, 0x7f800001
	s_xor_b32 s17, exec_lo, -1
; %bb.7734:                             ;   in Loop: Header=BB6_5734 Depth=3
	s_or_b32 exec_lo, exec_lo, s34
	s_delay_alu instid0(SALU_CYCLE_1)
	s_and_b32 s17, s17, exec_lo
	s_or_saveexec_b32 s13, s13
	v_mov_b32_e32 v47, s31
	s_xor_b32 exec_lo, exec_lo, s13
	s_cbranch_execz .LBB6_5998
.LBB6_7735:                             ;   in Loop: Header=BB6_5734 Depth=3
	v_cmp_ne_u16_e32 vcc_lo, 0, v46
	v_mov_b32_e32 v47, 0
	s_and_not1_b32 s17, s17, exec_lo
	s_and_b32 vcc_lo, vcc_lo, exec_lo
	s_delay_alu instid0(SALU_CYCLE_1)
	s_or_b32 s17, s17, vcc_lo
	s_or_b32 exec_lo, exec_lo, s13
	s_and_saveexec_b32 s13, s17
	s_cbranch_execnz .LBB6_5999
	s_branch .LBB6_6000
.LBB6_7736:                             ;   in Loop: Header=BB6_5734 Depth=3
	s_mov_b32 s13, -1
	s_mov_b32 s34, exec_lo
                                        ; implicit-def: $sgpr17
	v_cmpx_eq_u16_e32 0x80, v45
; %bb.7737:                             ;   in Loop: Header=BB6_5734 Depth=3
	s_mov_b32 s17, 0x7f800001
	s_xor_b32 s13, exec_lo, -1
; %bb.7738:                             ;   in Loop: Header=BB6_5734 Depth=3
	s_or_b32 exec_lo, exec_lo, s34
	s_delay_alu instid0(SALU_CYCLE_1)
	s_and_b32 s13, s13, exec_lo
	s_or_saveexec_b32 s31, s31
	v_mov_b32_e32 v56, s17
	s_xor_b32 exec_lo, exec_lo, s31
	s_cbranch_execz .LBB6_6002
.LBB6_7739:                             ;   in Loop: Header=BB6_5734 Depth=3
	v_cmp_ne_u16_e32 vcc_lo, 0, v45
	v_mov_b32_e32 v56, 0
	s_and_not1_b32 s13, s13, exec_lo
	s_and_b32 s17, vcc_lo, exec_lo
	s_delay_alu instid0(SALU_CYCLE_1)
	s_or_b32 s13, s13, s17
	s_or_b32 exec_lo, exec_lo, s31
	s_and_saveexec_b32 s17, s13
	s_cbranch_execnz .LBB6_6003
	s_branch .LBB6_6004
.LBB6_7740:                             ;   in Loop: Header=BB6_5734 Depth=3
	s_mov_b32 s13, -1
	s_mov_b32 s34, exec_lo
                                        ; implicit-def: $sgpr17
	v_cmpx_eq_u16_e32 0x80, v46
; %bb.7741:                             ;   in Loop: Header=BB6_5734 Depth=3
	s_mov_b32 s17, 0x7f800001
	s_xor_b32 s13, exec_lo, -1
; %bb.7742:                             ;   in Loop: Header=BB6_5734 Depth=3
	s_or_b32 exec_lo, exec_lo, s34
	s_delay_alu instid0(SALU_CYCLE_1)
	s_and_b32 s13, s13, exec_lo
	s_or_saveexec_b32 s31, s31
	v_mov_b32_e32 v47, s17
	s_xor_b32 exec_lo, exec_lo, s31
	s_cbranch_execz .LBB6_6009
.LBB6_7743:                             ;   in Loop: Header=BB6_5734 Depth=3
	v_cmp_ne_u16_e32 vcc_lo, 0, v46
	v_mov_b32_e32 v47, 0
	s_and_not1_b32 s13, s13, exec_lo
	s_and_b32 s17, vcc_lo, exec_lo
	s_delay_alu instid0(SALU_CYCLE_1)
	s_or_b32 s13, s13, s17
	s_or_b32 exec_lo, exec_lo, s31
	s_and_saveexec_b32 s17, s13
	s_cbranch_execnz .LBB6_6010
	s_branch .LBB6_6011
.LBB6_7744:                             ;   in Loop: Header=BB6_5734 Depth=3
	s_mov_b32 s13, -1
	s_mov_b32 s34, exec_lo
                                        ; implicit-def: $sgpr17
	v_cmpx_eq_u16_e32 0x80, v45
; %bb.7745:                             ;   in Loop: Header=BB6_5734 Depth=3
	s_mov_b32 s17, 0x7f800001
	s_xor_b32 s13, exec_lo, -1
; %bb.7746:                             ;   in Loop: Header=BB6_5734 Depth=3
	s_or_b32 exec_lo, exec_lo, s34
	s_delay_alu instid0(SALU_CYCLE_1)
	s_and_b32 s13, s13, exec_lo
	s_or_saveexec_b32 s31, s31
	v_mov_b32_e32 v46, s17
	s_xor_b32 exec_lo, exec_lo, s31
	s_cbranch_execz .LBB6_6013
.LBB6_7747:                             ;   in Loop: Header=BB6_5734 Depth=3
	v_cmp_ne_u16_e32 vcc_lo, 0, v45
	v_mov_b32_e32 v46, 0
	s_and_not1_b32 s13, s13, exec_lo
	s_and_b32 s17, vcc_lo, exec_lo
	s_delay_alu instid0(SALU_CYCLE_1)
	s_or_b32 s13, s13, s17
	s_or_b32 exec_lo, exec_lo, s31
	s_and_saveexec_b32 s17, s13
	s_cbranch_execnz .LBB6_6014
	s_branch .LBB6_6015
.LBB6_7748:                             ;   in Loop: Header=BB6_5734 Depth=3
	s_mov_b32 s17, -1
	s_mov_b32 s34, exec_lo
                                        ; implicit-def: $sgpr31
	v_cmpx_eq_u16_e32 0x80, v56
; %bb.7749:                             ;   in Loop: Header=BB6_5734 Depth=3
	s_mov_b32 s31, 0x7f800001
	s_xor_b32 s17, exec_lo, -1
; %bb.7750:                             ;   in Loop: Header=BB6_5734 Depth=3
	s_or_b32 exec_lo, exec_lo, s34
	s_delay_alu instid0(SALU_CYCLE_1)
	s_and_b32 s17, s17, exec_lo
	s_or_saveexec_b32 s13, s13
	v_mov_b32_e32 v57, s31
	s_xor_b32 exec_lo, exec_lo, s13
	s_cbranch_execz .LBB6_6027
.LBB6_7751:                             ;   in Loop: Header=BB6_5734 Depth=3
	v_cmp_ne_u16_e32 vcc_lo, 0, v56
	v_mov_b32_e32 v57, 0
	s_and_not1_b32 s17, s17, exec_lo
	s_and_b32 vcc_lo, vcc_lo, exec_lo
	s_delay_alu instid0(SALU_CYCLE_1)
	s_or_b32 s17, s17, vcc_lo
	s_or_b32 exec_lo, exec_lo, s13
	s_and_saveexec_b32 s13, s17
	s_cbranch_execnz .LBB6_6028
	s_branch .LBB6_6029
.LBB6_7752:                             ;   in Loop: Header=BB6_5734 Depth=3
	s_mov_b32 s13, -1
	s_mov_b32 s34, exec_lo
                                        ; implicit-def: $sgpr17
	v_cmpx_eq_u16_e32 0x80, v59
; %bb.7753:                             ;   in Loop: Header=BB6_5734 Depth=3
	s_mov_b32 s17, 0x7f800001
	s_xor_b32 s13, exec_lo, -1
; %bb.7754:                             ;   in Loop: Header=BB6_5734 Depth=3
	s_or_b32 exec_lo, exec_lo, s34
	s_delay_alu instid0(SALU_CYCLE_1)
	s_and_b32 s13, s13, exec_lo
                                        ; implicit-def: $vgpr59
	s_or_saveexec_b32 s31, s31
	v_mov_b32_e32 v58, s17
	s_xor_b32 exec_lo, exec_lo, s31
	s_cbranch_execz .LBB6_6031
.LBB6_7755:                             ;   in Loop: Header=BB6_5734 Depth=3
	v_cmp_ne_u16_e32 vcc_lo, 0, v59
	v_mov_b32_e32 v58, 0
	s_and_not1_b32 s13, s13, exec_lo
	s_and_b32 s17, vcc_lo, exec_lo
	s_delay_alu instid0(SALU_CYCLE_1)
	s_or_b32 s13, s13, s17
	s_or_b32 exec_lo, exec_lo, s31
	s_and_saveexec_b32 s17, s13
	s_cbranch_execnz .LBB6_6032
	s_branch .LBB6_6033
.LBB6_7756:                             ;   in Loop: Header=BB6_5734 Depth=3
	s_mov_b32 s13, -1
	s_mov_b32 s34, exec_lo
                                        ; implicit-def: $sgpr17
	v_cmpx_eq_u16_e32 0x80, v56
; %bb.7757:                             ;   in Loop: Header=BB6_5734 Depth=3
	s_mov_b32 s17, 0x7f800001
	s_xor_b32 s13, exec_lo, -1
; %bb.7758:                             ;   in Loop: Header=BB6_5734 Depth=3
	s_or_b32 exec_lo, exec_lo, s34
	s_delay_alu instid0(SALU_CYCLE_1)
	s_and_b32 s13, s13, exec_lo
                                        ; implicit-def: $vgpr56
	s_or_saveexec_b32 s31, s31
	v_mov_b32_e32 v57, s17
	s_xor_b32 exec_lo, exec_lo, s31
	s_cbranch_execz .LBB6_6038
.LBB6_7759:                             ;   in Loop: Header=BB6_5734 Depth=3
	v_cmp_ne_u16_e32 vcc_lo, 0, v56
	v_mov_b32_e32 v57, 0
	s_and_not1_b32 s13, s13, exec_lo
	s_and_b32 s17, vcc_lo, exec_lo
	s_delay_alu instid0(SALU_CYCLE_1)
	s_or_b32 s13, s13, s17
	s_or_b32 exec_lo, exec_lo, s31
	s_and_saveexec_b32 s17, s13
	s_cbranch_execnz .LBB6_6039
	s_branch .LBB6_6040
.LBB6_7760:                             ;   in Loop: Header=BB6_5734 Depth=3
	s_mov_b32 s13, -1
	s_mov_b32 s34, exec_lo
                                        ; implicit-def: $sgpr17
	v_cmpx_eq_u16_e32 0x80, v56
; %bb.7761:                             ;   in Loop: Header=BB6_5734 Depth=3
	s_mov_b32 s17, 0x7f800001
	s_xor_b32 s13, exec_lo, -1
; %bb.7762:                             ;   in Loop: Header=BB6_5734 Depth=3
	s_or_b32 exec_lo, exec_lo, s34
	s_delay_alu instid0(SALU_CYCLE_1)
	s_and_b32 s13, s13, exec_lo
                                        ; implicit-def: $vgpr56
	s_or_saveexec_b32 s31, s31
	v_mov_b32_e32 v47, s17
	s_xor_b32 exec_lo, exec_lo, s31
	s_cbranch_execz .LBB6_6042
.LBB6_7763:                             ;   in Loop: Header=BB6_5734 Depth=3
	v_cmp_ne_u16_e32 vcc_lo, 0, v56
	v_mov_b32_e32 v47, 0
	s_and_not1_b32 s13, s13, exec_lo
	s_and_b32 s17, vcc_lo, exec_lo
	s_delay_alu instid0(SALU_CYCLE_1)
	s_or_b32 s13, s13, s17
	s_or_b32 exec_lo, exec_lo, s31
	s_and_saveexec_b32 s17, s13
	s_cbranch_execnz .LBB6_6043
	s_branch .LBB6_6044
.LBB6_7764:                             ;   in Loop: Header=BB6_5734 Depth=3
	s_mov_b32 s17, -1
	s_mov_b32 s34, exec_lo
                                        ; implicit-def: $sgpr31
	v_cmpx_eq_u16_e32 0x80, v56
; %bb.7765:                             ;   in Loop: Header=BB6_5734 Depth=3
	s_mov_b32 s31, 0x7f800001
	s_xor_b32 s17, exec_lo, -1
; %bb.7766:                             ;   in Loop: Header=BB6_5734 Depth=3
	s_or_b32 exec_lo, exec_lo, s34
	s_delay_alu instid0(SALU_CYCLE_1)
	s_and_b32 s17, s17, exec_lo
	s_or_saveexec_b32 s13, s13
	v_mov_b32_e32 v57, s31
	s_xor_b32 exec_lo, exec_lo, s13
	s_cbranch_execz .LBB6_6056
.LBB6_7767:                             ;   in Loop: Header=BB6_5734 Depth=3
	v_cmp_ne_u16_e32 vcc_lo, 0, v56
	v_mov_b32_e32 v57, 0
	s_and_not1_b32 s17, s17, exec_lo
	s_and_b32 vcc_lo, vcc_lo, exec_lo
	s_delay_alu instid0(SALU_CYCLE_1)
	s_or_b32 s17, s17, vcc_lo
	s_or_b32 exec_lo, exec_lo, s13
	s_and_saveexec_b32 s13, s17
	s_cbranch_execnz .LBB6_6057
	s_branch .LBB6_6058
.LBB6_7768:                             ;   in Loop: Header=BB6_5734 Depth=3
	s_mov_b32 s13, -1
	s_mov_b32 s34, exec_lo
                                        ; implicit-def: $sgpr17
	v_cmpx_eq_u16_e32 0x80, v47
; %bb.7769:                             ;   in Loop: Header=BB6_5734 Depth=3
	s_mov_b32 s17, 0x7f800001
	s_xor_b32 s13, exec_lo, -1
; %bb.7770:                             ;   in Loop: Header=BB6_5734 Depth=3
	s_or_b32 exec_lo, exec_lo, s34
	s_delay_alu instid0(SALU_CYCLE_1)
	s_and_b32 s13, s13, exec_lo
	s_or_saveexec_b32 s31, s31
	v_mov_b32_e32 v58, s17
	s_xor_b32 exec_lo, exec_lo, s31
	s_cbranch_execz .LBB6_6060
.LBB6_7771:                             ;   in Loop: Header=BB6_5734 Depth=3
	v_cmp_ne_u16_e32 vcc_lo, 0, v47
	v_mov_b32_e32 v58, 0
	s_and_not1_b32 s13, s13, exec_lo
	s_and_b32 s17, vcc_lo, exec_lo
	s_delay_alu instid0(SALU_CYCLE_1)
	s_or_b32 s13, s13, s17
	s_or_b32 exec_lo, exec_lo, s31
	s_and_saveexec_b32 s17, s13
	s_cbranch_execnz .LBB6_6061
	s_branch .LBB6_6062
.LBB6_7772:                             ;   in Loop: Header=BB6_5734 Depth=3
	s_mov_b32 s13, -1
	s_mov_b32 s34, exec_lo
                                        ; implicit-def: $sgpr17
	v_cmpx_eq_u16_e32 0x80, v56
; %bb.7773:                             ;   in Loop: Header=BB6_5734 Depth=3
	s_mov_b32 s17, 0x7f800001
	s_xor_b32 s13, exec_lo, -1
; %bb.7774:                             ;   in Loop: Header=BB6_5734 Depth=3
	s_or_b32 exec_lo, exec_lo, s34
	s_delay_alu instid0(SALU_CYCLE_1)
	s_and_b32 s13, s13, exec_lo
	s_or_saveexec_b32 s31, s31
	v_mov_b32_e32 v57, s17
	s_xor_b32 exec_lo, exec_lo, s31
	s_cbranch_execz .LBB6_6067
.LBB6_7775:                             ;   in Loop: Header=BB6_5734 Depth=3
	v_cmp_ne_u16_e32 vcc_lo, 0, v56
	v_mov_b32_e32 v57, 0
	s_and_not1_b32 s13, s13, exec_lo
	s_and_b32 s17, vcc_lo, exec_lo
	s_delay_alu instid0(SALU_CYCLE_1)
	s_or_b32 s13, s13, s17
	s_or_b32 exec_lo, exec_lo, s31
	s_and_saveexec_b32 s17, s13
	s_cbranch_execnz .LBB6_6068
	s_branch .LBB6_6069
.LBB6_7776:                             ;   in Loop: Header=BB6_5734 Depth=3
	s_mov_b32 s13, -1
	s_mov_b32 s34, exec_lo
                                        ; implicit-def: $sgpr17
	v_cmpx_eq_u16_e32 0x80, v47
; %bb.7777:                             ;   in Loop: Header=BB6_5734 Depth=3
	s_mov_b32 s17, 0x7f800001
	s_xor_b32 s13, exec_lo, -1
; %bb.7778:                             ;   in Loop: Header=BB6_5734 Depth=3
	s_or_b32 exec_lo, exec_lo, s34
	s_delay_alu instid0(SALU_CYCLE_1)
	s_and_b32 s13, s13, exec_lo
	s_or_saveexec_b32 s31, s31
	v_mov_b32_e32 v50, s17
	s_xor_b32 exec_lo, exec_lo, s31
	s_cbranch_execz .LBB6_6071
.LBB6_7779:                             ;   in Loop: Header=BB6_5734 Depth=3
	v_cmp_ne_u16_e32 vcc_lo, 0, v47
	v_mov_b32_e32 v50, 0
	s_and_not1_b32 s13, s13, exec_lo
	s_and_b32 s17, vcc_lo, exec_lo
	s_delay_alu instid0(SALU_CYCLE_1)
	s_or_b32 s13, s13, s17
	s_or_b32 exec_lo, exec_lo, s31
	s_and_saveexec_b32 s17, s13
	s_cbranch_execnz .LBB6_6072
	s_branch .LBB6_6073
.LBB6_7780:                             ;   in Loop: Header=BB6_5734 Depth=3
	s_mov_b32 s17, -1
	s_mov_b32 s34, exec_lo
                                        ; implicit-def: $sgpr31
	v_cmpx_eq_u16_e32 0x80, v50
; %bb.7781:                             ;   in Loop: Header=BB6_5734 Depth=3
	s_mov_b32 s31, 0x7f800001
	s_xor_b32 s17, exec_lo, -1
; %bb.7782:                             ;   in Loop: Header=BB6_5734 Depth=3
	s_or_b32 exec_lo, exec_lo, s34
	s_delay_alu instid0(SALU_CYCLE_1)
	s_and_b32 s17, s17, exec_lo
	s_or_saveexec_b32 s13, s13
	v_mov_b32_e32 v47, s31
	s_xor_b32 exec_lo, exec_lo, s13
	s_cbranch_execz .LBB6_6085
.LBB6_7783:                             ;   in Loop: Header=BB6_5734 Depth=3
	v_cmp_ne_u16_e32 vcc_lo, 0, v50
	v_mov_b32_e32 v47, 0
	s_and_not1_b32 s17, s17, exec_lo
	s_and_b32 vcc_lo, vcc_lo, exec_lo
	s_delay_alu instid0(SALU_CYCLE_1)
	s_or_b32 s17, s17, vcc_lo
	s_or_b32 exec_lo, exec_lo, s13
	s_and_saveexec_b32 s13, s17
	s_cbranch_execnz .LBB6_6086
	s_branch .LBB6_6087
.LBB6_7784:                             ;   in Loop: Header=BB6_5734 Depth=3
	s_mov_b32 s13, -1
	s_mov_b32 s34, exec_lo
                                        ; implicit-def: $sgpr17
	v_cmpx_eq_u16_e32 0x80, v57
; %bb.7785:                             ;   in Loop: Header=BB6_5734 Depth=3
	s_mov_b32 s17, 0x7f800001
	s_xor_b32 s13, exec_lo, -1
; %bb.7786:                             ;   in Loop: Header=BB6_5734 Depth=3
	s_or_b32 exec_lo, exec_lo, s34
	s_delay_alu instid0(SALU_CYCLE_1)
	s_and_b32 s13, s13, exec_lo
                                        ; implicit-def: $vgpr57
	s_or_saveexec_b32 s31, s31
	v_mov_b32_e32 v56, s17
	s_xor_b32 exec_lo, exec_lo, s31
	s_cbranch_execz .LBB6_6089
.LBB6_7787:                             ;   in Loop: Header=BB6_5734 Depth=3
	v_cmp_ne_u16_e32 vcc_lo, 0, v57
	v_mov_b32_e32 v56, 0
	s_and_not1_b32 s13, s13, exec_lo
	s_and_b32 s17, vcc_lo, exec_lo
	s_delay_alu instid0(SALU_CYCLE_1)
	s_or_b32 s13, s13, s17
	s_or_b32 exec_lo, exec_lo, s31
	s_and_saveexec_b32 s17, s13
	s_cbranch_execnz .LBB6_6090
	s_branch .LBB6_6091
.LBB6_7788:                             ;   in Loop: Header=BB6_5734 Depth=3
	s_mov_b32 s13, -1
	s_mov_b32 s34, exec_lo
                                        ; implicit-def: $sgpr17
	v_cmpx_eq_u16_e32 0x80, v50
; %bb.7789:                             ;   in Loop: Header=BB6_5734 Depth=3
	s_mov_b32 s17, 0x7f800001
	s_xor_b32 s13, exec_lo, -1
; %bb.7790:                             ;   in Loop: Header=BB6_5734 Depth=3
	s_or_b32 exec_lo, exec_lo, s34
	s_delay_alu instid0(SALU_CYCLE_1)
	s_and_b32 s13, s13, exec_lo
                                        ; implicit-def: $vgpr50
	s_or_saveexec_b32 s31, s31
	v_mov_b32_e32 v47, s17
	s_xor_b32 exec_lo, exec_lo, s31
	s_cbranch_execz .LBB6_6096
.LBB6_7791:                             ;   in Loop: Header=BB6_5734 Depth=3
	v_cmp_ne_u16_e32 vcc_lo, 0, v50
	v_mov_b32_e32 v47, 0
	s_and_not1_b32 s13, s13, exec_lo
	s_and_b32 s17, vcc_lo, exec_lo
	s_delay_alu instid0(SALU_CYCLE_1)
	s_or_b32 s13, s13, s17
	s_or_b32 exec_lo, exec_lo, s31
	s_and_saveexec_b32 s17, s13
	s_cbranch_execnz .LBB6_6097
	s_branch .LBB6_6098
.LBB6_7792:                             ;   in Loop: Header=BB6_5734 Depth=3
	s_mov_b32 s13, -1
	s_mov_b32 s34, exec_lo
                                        ; implicit-def: $sgpr17
	v_cmpx_eq_u16_e32 0x80, v56
; %bb.7793:                             ;   in Loop: Header=BB6_5734 Depth=3
	s_mov_b32 s17, 0x7f800001
	s_xor_b32 s13, exec_lo, -1
; %bb.7794:                             ;   in Loop: Header=BB6_5734 Depth=3
	s_or_b32 exec_lo, exec_lo, s34
	s_delay_alu instid0(SALU_CYCLE_1)
	s_and_b32 s13, s13, exec_lo
                                        ; implicit-def: $vgpr56
	s_or_saveexec_b32 s31, s31
	v_mov_b32_e32 v50, s17
	s_xor_b32 exec_lo, exec_lo, s31
	s_cbranch_execz .LBB6_6100
.LBB6_7795:                             ;   in Loop: Header=BB6_5734 Depth=3
	v_cmp_ne_u16_e32 vcc_lo, 0, v56
	v_mov_b32_e32 v50, 0
	s_and_not1_b32 s13, s13, exec_lo
	s_and_b32 s17, vcc_lo, exec_lo
	s_delay_alu instid0(SALU_CYCLE_1)
	s_or_b32 s13, s13, s17
	s_or_b32 exec_lo, exec_lo, s31
	s_and_saveexec_b32 s17, s13
	s_cbranch_execnz .LBB6_6101
	s_branch .LBB6_6102
.LBB6_7796:                             ;   in Loop: Header=BB6_5734 Depth=3
	s_mov_b32 s17, -1
	s_mov_b32 s34, exec_lo
                                        ; implicit-def: $sgpr31
	v_cmpx_eq_u16_e32 0x80, v56
; %bb.7797:                             ;   in Loop: Header=BB6_5734 Depth=3
	s_mov_b32 s31, 0x7f800001
	s_xor_b32 s17, exec_lo, -1
; %bb.7798:                             ;   in Loop: Header=BB6_5734 Depth=3
	s_or_b32 exec_lo, exec_lo, s34
	s_delay_alu instid0(SALU_CYCLE_1)
	s_and_b32 s17, s17, exec_lo
	s_or_saveexec_b32 s13, s13
	v_mov_b32_e32 v57, s31
	s_xor_b32 exec_lo, exec_lo, s13
	s_cbranch_execz .LBB6_6114
.LBB6_7799:                             ;   in Loop: Header=BB6_5734 Depth=3
	v_cmp_ne_u16_e32 vcc_lo, 0, v56
	v_mov_b32_e32 v57, 0
	s_and_not1_b32 s17, s17, exec_lo
	s_and_b32 vcc_lo, vcc_lo, exec_lo
	s_delay_alu instid0(SALU_CYCLE_1)
	s_or_b32 s17, s17, vcc_lo
	s_or_b32 exec_lo, exec_lo, s13
	s_and_saveexec_b32 s13, s17
	s_cbranch_execnz .LBB6_6115
	s_branch .LBB6_6116
.LBB6_7800:                             ;   in Loop: Header=BB6_5734 Depth=3
	s_mov_b32 s13, -1
	s_mov_b32 s34, exec_lo
                                        ; implicit-def: $sgpr17
	v_cmpx_eq_u16_e32 0x80, v47
; %bb.7801:                             ;   in Loop: Header=BB6_5734 Depth=3
	s_mov_b32 s17, 0x7f800001
	s_xor_b32 s13, exec_lo, -1
; %bb.7802:                             ;   in Loop: Header=BB6_5734 Depth=3
	s_or_b32 exec_lo, exec_lo, s34
	s_delay_alu instid0(SALU_CYCLE_1)
	s_and_b32 s13, s13, exec_lo
	s_or_saveexec_b32 s31, s31
	v_mov_b32_e32 v58, s17
	s_xor_b32 exec_lo, exec_lo, s31
	s_cbranch_execz .LBB6_6118
.LBB6_7803:                             ;   in Loop: Header=BB6_5734 Depth=3
	v_cmp_ne_u16_e32 vcc_lo, 0, v47
	v_mov_b32_e32 v58, 0
	s_and_not1_b32 s13, s13, exec_lo
	s_and_b32 s17, vcc_lo, exec_lo
	s_delay_alu instid0(SALU_CYCLE_1)
	s_or_b32 s13, s13, s17
	s_or_b32 exec_lo, exec_lo, s31
	s_and_saveexec_b32 s17, s13
	s_cbranch_execnz .LBB6_6119
	s_branch .LBB6_6120
.LBB6_7804:                             ;   in Loop: Header=BB6_5734 Depth=3
	s_mov_b32 s13, -1
	s_mov_b32 s34, exec_lo
                                        ; implicit-def: $sgpr17
	v_cmpx_eq_u16_e32 0x80, v56
; %bb.7805:                             ;   in Loop: Header=BB6_5734 Depth=3
	s_mov_b32 s17, 0x7f800001
	s_xor_b32 s13, exec_lo, -1
; %bb.7806:                             ;   in Loop: Header=BB6_5734 Depth=3
	s_or_b32 exec_lo, exec_lo, s34
	s_delay_alu instid0(SALU_CYCLE_1)
	s_and_b32 s13, s13, exec_lo
	s_or_saveexec_b32 s31, s31
	v_mov_b32_e32 v57, s17
	s_xor_b32 exec_lo, exec_lo, s31
	s_cbranch_execz .LBB6_6125
.LBB6_7807:                             ;   in Loop: Header=BB6_5734 Depth=3
	v_cmp_ne_u16_e32 vcc_lo, 0, v56
	v_mov_b32_e32 v57, 0
	s_and_not1_b32 s13, s13, exec_lo
	s_and_b32 s17, vcc_lo, exec_lo
	s_delay_alu instid0(SALU_CYCLE_1)
	s_or_b32 s13, s13, s17
	s_or_b32 exec_lo, exec_lo, s31
	s_and_saveexec_b32 s17, s13
	s_cbranch_execnz .LBB6_6126
	s_branch .LBB6_6127
.LBB6_7808:                             ;   in Loop: Header=BB6_5734 Depth=3
	s_mov_b32 s13, -1
	s_mov_b32 s34, exec_lo
                                        ; implicit-def: $sgpr17
	v_cmpx_eq_u16_e32 0x80, v47
; %bb.7809:                             ;   in Loop: Header=BB6_5734 Depth=3
	s_mov_b32 s17, 0x7f800001
	s_xor_b32 s13, exec_lo, -1
; %bb.7810:                             ;   in Loop: Header=BB6_5734 Depth=3
	s_or_b32 exec_lo, exec_lo, s34
	s_delay_alu instid0(SALU_CYCLE_1)
	s_and_b32 s13, s13, exec_lo
	s_or_saveexec_b32 s31, s31
	v_mov_b32_e32 v56, s17
	s_xor_b32 exec_lo, exec_lo, s31
	s_cbranch_execz .LBB6_6129
.LBB6_7811:                             ;   in Loop: Header=BB6_5734 Depth=3
	v_cmp_ne_u16_e32 vcc_lo, 0, v47
	v_mov_b32_e32 v56, 0
	s_and_not1_b32 s13, s13, exec_lo
	s_and_b32 s17, vcc_lo, exec_lo
	s_delay_alu instid0(SALU_CYCLE_1)
	s_or_b32 s13, s13, s17
	s_or_b32 exec_lo, exec_lo, s31
	s_and_saveexec_b32 s17, s13
	s_cbranch_execnz .LBB6_6130
	s_branch .LBB6_6131
.LBB6_7812:                             ;   in Loop: Header=BB6_5734 Depth=3
	s_mov_b32 s17, -1
	s_mov_b32 s34, exec_lo
                                        ; implicit-def: $sgpr31
	v_cmpx_eq_u16_e32 0x80, v58
; %bb.7813:                             ;   in Loop: Header=BB6_5734 Depth=3
	s_mov_b32 s31, 0x7f800001
	s_xor_b32 s17, exec_lo, -1
; %bb.7814:                             ;   in Loop: Header=BB6_5734 Depth=3
	s_or_b32 exec_lo, exec_lo, s34
	s_delay_alu instid0(SALU_CYCLE_1)
	s_and_b32 s17, s17, exec_lo
	s_or_saveexec_b32 s13, s13
	v_mov_b32_e32 v59, s31
	s_xor_b32 exec_lo, exec_lo, s13
	s_cbranch_execz .LBB6_6143
.LBB6_7815:                             ;   in Loop: Header=BB6_5734 Depth=3
	v_cmp_ne_u16_e32 vcc_lo, 0, v58
	v_mov_b32_e32 v59, 0
	s_and_not1_b32 s17, s17, exec_lo
	s_and_b32 vcc_lo, vcc_lo, exec_lo
	s_delay_alu instid0(SALU_CYCLE_1)
	s_or_b32 s17, s17, vcc_lo
	s_or_b32 exec_lo, exec_lo, s13
	s_and_saveexec_b32 s13, s17
	s_cbranch_execnz .LBB6_6144
	s_branch .LBB6_6145
.LBB6_7816:                             ;   in Loop: Header=BB6_5734 Depth=3
	s_mov_b32 s13, -1
	s_mov_b32 s34, exec_lo
                                        ; implicit-def: $sgpr17
	v_cmpx_eq_u16_e32 0x80, v61
; %bb.7817:                             ;   in Loop: Header=BB6_5734 Depth=3
	s_mov_b32 s17, 0x7f800001
	s_xor_b32 s13, exec_lo, -1
; %bb.7818:                             ;   in Loop: Header=BB6_5734 Depth=3
	s_or_b32 exec_lo, exec_lo, s34
	s_delay_alu instid0(SALU_CYCLE_1)
	s_and_b32 s13, s13, exec_lo
                                        ; implicit-def: $vgpr61
	s_or_saveexec_b32 s31, s31
	v_mov_b32_e32 v60, s17
	s_xor_b32 exec_lo, exec_lo, s31
	s_cbranch_execz .LBB6_6147
.LBB6_7819:                             ;   in Loop: Header=BB6_5734 Depth=3
	v_cmp_ne_u16_e32 vcc_lo, 0, v61
	v_mov_b32_e32 v60, 0
	s_and_not1_b32 s13, s13, exec_lo
	s_and_b32 s17, vcc_lo, exec_lo
	s_delay_alu instid0(SALU_CYCLE_1)
	s_or_b32 s13, s13, s17
	s_or_b32 exec_lo, exec_lo, s31
	s_and_saveexec_b32 s17, s13
	s_cbranch_execnz .LBB6_6148
	s_branch .LBB6_6149
.LBB6_7820:                             ;   in Loop: Header=BB6_5734 Depth=3
	s_mov_b32 s13, -1
	s_mov_b32 s34, exec_lo
                                        ; implicit-def: $sgpr17
	v_cmpx_eq_u16_e32 0x80, v58
; %bb.7821:                             ;   in Loop: Header=BB6_5734 Depth=3
	s_mov_b32 s17, 0x7f800001
	s_xor_b32 s13, exec_lo, -1
; %bb.7822:                             ;   in Loop: Header=BB6_5734 Depth=3
	s_or_b32 exec_lo, exec_lo, s34
	s_delay_alu instid0(SALU_CYCLE_1)
	s_and_b32 s13, s13, exec_lo
                                        ; implicit-def: $vgpr58
	s_or_saveexec_b32 s31, s31
	v_mov_b32_e32 v59, s17
	s_xor_b32 exec_lo, exec_lo, s31
	s_cbranch_execz .LBB6_6154
.LBB6_7823:                             ;   in Loop: Header=BB6_5734 Depth=3
	v_cmp_ne_u16_e32 vcc_lo, 0, v58
	v_mov_b32_e32 v59, 0
	s_and_not1_b32 s13, s13, exec_lo
	s_and_b32 s17, vcc_lo, exec_lo
	s_delay_alu instid0(SALU_CYCLE_1)
	s_or_b32 s13, s13, s17
	s_or_b32 exec_lo, exec_lo, s31
	s_and_saveexec_b32 s17, s13
	s_cbranch_execnz .LBB6_6155
	s_branch .LBB6_6156
.LBB6_7824:                             ;   in Loop: Header=BB6_5734 Depth=3
	s_mov_b32 s13, -1
	s_mov_b32 s34, exec_lo
                                        ; implicit-def: $sgpr17
	v_cmpx_eq_u16_e32 0x80, v58
; %bb.7825:                             ;   in Loop: Header=BB6_5734 Depth=3
	s_mov_b32 s17, 0x7f800001
	s_xor_b32 s13, exec_lo, -1
; %bb.7826:                             ;   in Loop: Header=BB6_5734 Depth=3
	s_or_b32 exec_lo, exec_lo, s34
	s_delay_alu instid0(SALU_CYCLE_1)
	s_and_b32 s13, s13, exec_lo
                                        ; implicit-def: $vgpr58
	s_or_saveexec_b32 s31, s31
	v_mov_b32_e32 v57, s17
	s_xor_b32 exec_lo, exec_lo, s31
	s_cbranch_execz .LBB6_6158
.LBB6_7827:                             ;   in Loop: Header=BB6_5734 Depth=3
	v_cmp_ne_u16_e32 vcc_lo, 0, v58
	v_mov_b32_e32 v57, 0
	s_and_not1_b32 s13, s13, exec_lo
	s_and_b32 s17, vcc_lo, exec_lo
	s_delay_alu instid0(SALU_CYCLE_1)
	s_or_b32 s13, s13, s17
	s_or_b32 exec_lo, exec_lo, s31
	s_and_saveexec_b32 s17, s13
	s_cbranch_execnz .LBB6_6159
	s_branch .LBB6_6160
.LBB6_7828:                             ;   in Loop: Header=BB6_5734 Depth=3
	s_mov_b32 s17, -1
	s_mov_b32 s34, exec_lo
                                        ; implicit-def: $sgpr31
	v_cmpx_eq_u16_e32 0x80, v58
; %bb.7829:                             ;   in Loop: Header=BB6_5734 Depth=3
	s_mov_b32 s31, 0x7f800001
	s_xor_b32 s17, exec_lo, -1
; %bb.7830:                             ;   in Loop: Header=BB6_5734 Depth=3
	s_or_b32 exec_lo, exec_lo, s34
	s_delay_alu instid0(SALU_CYCLE_1)
	s_and_b32 s17, s17, exec_lo
	s_or_saveexec_b32 s13, s13
	v_mov_b32_e32 v59, s31
	s_xor_b32 exec_lo, exec_lo, s13
	s_cbranch_execz .LBB6_6172
.LBB6_7831:                             ;   in Loop: Header=BB6_5734 Depth=3
	v_cmp_ne_u16_e32 vcc_lo, 0, v58
	v_mov_b32_e32 v59, 0
	s_and_not1_b32 s17, s17, exec_lo
	s_and_b32 vcc_lo, vcc_lo, exec_lo
	s_delay_alu instid0(SALU_CYCLE_1)
	s_or_b32 s17, s17, vcc_lo
	s_or_b32 exec_lo, exec_lo, s13
	s_and_saveexec_b32 s13, s17
	s_cbranch_execnz .LBB6_6173
	s_branch .LBB6_6174
.LBB6_7832:                             ;   in Loop: Header=BB6_5734 Depth=3
	s_mov_b32 s13, -1
	s_mov_b32 s34, exec_lo
                                        ; implicit-def: $sgpr17
	v_cmpx_eq_u16_e32 0x80, v57
; %bb.7833:                             ;   in Loop: Header=BB6_5734 Depth=3
	s_mov_b32 s17, 0x7f800001
	s_xor_b32 s13, exec_lo, -1
; %bb.7834:                             ;   in Loop: Header=BB6_5734 Depth=3
	s_or_b32 exec_lo, exec_lo, s34
	s_delay_alu instid0(SALU_CYCLE_1)
	s_and_b32 s13, s13, exec_lo
	s_or_saveexec_b32 s31, s31
	v_mov_b32_e32 v60, s17
	s_xor_b32 exec_lo, exec_lo, s31
	s_cbranch_execz .LBB6_6176
.LBB6_7835:                             ;   in Loop: Header=BB6_5734 Depth=3
	v_cmp_ne_u16_e32 vcc_lo, 0, v57
	v_mov_b32_e32 v60, 0
	s_and_not1_b32 s13, s13, exec_lo
	s_and_b32 s17, vcc_lo, exec_lo
	s_delay_alu instid0(SALU_CYCLE_1)
	s_or_b32 s13, s13, s17
	s_or_b32 exec_lo, exec_lo, s31
	s_and_saveexec_b32 s17, s13
	s_cbranch_execnz .LBB6_6177
	s_branch .LBB6_6178
.LBB6_7836:                             ;   in Loop: Header=BB6_5734 Depth=3
	s_mov_b32 s13, -1
	s_mov_b32 s34, exec_lo
                                        ; implicit-def: $sgpr17
	v_cmpx_eq_u16_e32 0x80, v58
; %bb.7837:                             ;   in Loop: Header=BB6_5734 Depth=3
	s_mov_b32 s17, 0x7f800001
	s_xor_b32 s13, exec_lo, -1
; %bb.7838:                             ;   in Loop: Header=BB6_5734 Depth=3
	s_or_b32 exec_lo, exec_lo, s34
	s_delay_alu instid0(SALU_CYCLE_1)
	s_and_b32 s13, s13, exec_lo
	s_or_saveexec_b32 s31, s31
	v_mov_b32_e32 v59, s17
	s_xor_b32 exec_lo, exec_lo, s31
	s_cbranch_execz .LBB6_6183
.LBB6_7839:                             ;   in Loop: Header=BB6_5734 Depth=3
	v_cmp_ne_u16_e32 vcc_lo, 0, v58
	v_mov_b32_e32 v59, 0
	s_and_not1_b32 s13, s13, exec_lo
	s_and_b32 s17, vcc_lo, exec_lo
	s_delay_alu instid0(SALU_CYCLE_1)
	s_or_b32 s13, s13, s17
	s_or_b32 exec_lo, exec_lo, s31
	s_and_saveexec_b32 s17, s13
	s_cbranch_execnz .LBB6_6184
	s_branch .LBB6_6185
.LBB6_7840:                             ;   in Loop: Header=BB6_5734 Depth=3
	s_mov_b32 s13, -1
	s_mov_b32 s34, exec_lo
                                        ; implicit-def: $sgpr17
	v_cmpx_eq_u16_e32 0x80, v57
; %bb.7841:                             ;   in Loop: Header=BB6_5734 Depth=3
	s_mov_b32 s17, 0x7f800001
	s_xor_b32 s13, exec_lo, -1
; %bb.7842:                             ;   in Loop: Header=BB6_5734 Depth=3
	s_or_b32 exec_lo, exec_lo, s34
	s_delay_alu instid0(SALU_CYCLE_1)
	s_and_b32 s13, s13, exec_lo
	s_or_saveexec_b32 s31, s31
	v_mov_b32_e32 v51, s17
	s_xor_b32 exec_lo, exec_lo, s31
	s_cbranch_execz .LBB6_6187
.LBB6_7843:                             ;   in Loop: Header=BB6_5734 Depth=3
	v_cmp_ne_u16_e32 vcc_lo, 0, v57
	v_mov_b32_e32 v51, 0
	s_and_not1_b32 s13, s13, exec_lo
	s_and_b32 s17, vcc_lo, exec_lo
	s_delay_alu instid0(SALU_CYCLE_1)
	s_or_b32 s13, s13, s17
	s_or_b32 exec_lo, exec_lo, s31
	s_and_saveexec_b32 s17, s13
	s_cbranch_execnz .LBB6_6188
	s_branch .LBB6_6189
.LBB6_7844:                             ;   in Loop: Header=BB6_5734 Depth=3
	s_mov_b32 s17, -1
	s_mov_b32 s34, exec_lo
                                        ; implicit-def: $sgpr31
	v_cmpx_eq_u16_e32 0x80, v51
; %bb.7845:                             ;   in Loop: Header=BB6_5734 Depth=3
	s_mov_b32 s31, 0x7f800001
	s_xor_b32 s17, exec_lo, -1
; %bb.7846:                             ;   in Loop: Header=BB6_5734 Depth=3
	s_or_b32 exec_lo, exec_lo, s34
	s_delay_alu instid0(SALU_CYCLE_1)
	s_and_b32 s17, s17, exec_lo
	s_or_saveexec_b32 s13, s13
	v_mov_b32_e32 v57, s31
	s_xor_b32 exec_lo, exec_lo, s13
	s_cbranch_execz .LBB6_6201
.LBB6_7847:                             ;   in Loop: Header=BB6_5734 Depth=3
	v_cmp_ne_u16_e32 vcc_lo, 0, v51
	v_mov_b32_e32 v57, 0
	s_and_not1_b32 s17, s17, exec_lo
	s_and_b32 vcc_lo, vcc_lo, exec_lo
	s_delay_alu instid0(SALU_CYCLE_1)
	s_or_b32 s17, s17, vcc_lo
	s_or_b32 exec_lo, exec_lo, s13
	s_and_saveexec_b32 s13, s17
	s_cbranch_execnz .LBB6_6202
	s_branch .LBB6_6203
.LBB6_7848:                             ;   in Loop: Header=BB6_5734 Depth=3
	s_mov_b32 s13, -1
	s_mov_b32 s34, exec_lo
                                        ; implicit-def: $sgpr17
	v_cmpx_eq_u16_e32 0x80, v59
; %bb.7849:                             ;   in Loop: Header=BB6_5734 Depth=3
	s_mov_b32 s17, 0x7f800001
	s_xor_b32 s13, exec_lo, -1
; %bb.7850:                             ;   in Loop: Header=BB6_5734 Depth=3
	s_or_b32 exec_lo, exec_lo, s34
	s_delay_alu instid0(SALU_CYCLE_1)
	s_and_b32 s13, s13, exec_lo
                                        ; implicit-def: $vgpr59
	s_or_saveexec_b32 s31, s31
	v_mov_b32_e32 v58, s17
	s_xor_b32 exec_lo, exec_lo, s31
	s_cbranch_execz .LBB6_6205
.LBB6_7851:                             ;   in Loop: Header=BB6_5734 Depth=3
	v_cmp_ne_u16_e32 vcc_lo, 0, v59
	v_mov_b32_e32 v58, 0
	s_and_not1_b32 s13, s13, exec_lo
	s_and_b32 s17, vcc_lo, exec_lo
	s_delay_alu instid0(SALU_CYCLE_1)
	s_or_b32 s13, s13, s17
	s_or_b32 exec_lo, exec_lo, s31
	s_and_saveexec_b32 s17, s13
	s_cbranch_execnz .LBB6_6206
	s_branch .LBB6_6207
.LBB6_7852:                             ;   in Loop: Header=BB6_5734 Depth=3
	s_mov_b32 s13, -1
	s_mov_b32 s34, exec_lo
                                        ; implicit-def: $sgpr17
	v_cmpx_eq_u16_e32 0x80, v51
; %bb.7853:                             ;   in Loop: Header=BB6_5734 Depth=3
	s_mov_b32 s17, 0x7f800001
	s_xor_b32 s13, exec_lo, -1
; %bb.7854:                             ;   in Loop: Header=BB6_5734 Depth=3
	s_or_b32 exec_lo, exec_lo, s34
	s_delay_alu instid0(SALU_CYCLE_1)
	s_and_b32 s13, s13, exec_lo
                                        ; implicit-def: $vgpr51
	s_or_saveexec_b32 s31, s31
	v_mov_b32_e32 v57, s17
	s_xor_b32 exec_lo, exec_lo, s31
	s_cbranch_execz .LBB6_6212
.LBB6_7855:                             ;   in Loop: Header=BB6_5734 Depth=3
	v_cmp_ne_u16_e32 vcc_lo, 0, v51
	v_mov_b32_e32 v57, 0
	s_and_not1_b32 s13, s13, exec_lo
	s_and_b32 s17, vcc_lo, exec_lo
	s_delay_alu instid0(SALU_CYCLE_1)
	s_or_b32 s13, s13, s17
	s_or_b32 exec_lo, exec_lo, s31
	s_and_saveexec_b32 s17, s13
	s_cbranch_execnz .LBB6_6213
	s_branch .LBB6_6214
.LBB6_7856:                             ;   in Loop: Header=BB6_5734 Depth=3
	s_mov_b32 s13, -1
	s_mov_b32 s34, exec_lo
                                        ; implicit-def: $sgpr17
	v_cmpx_eq_u16_e32 0x80, v58
; %bb.7857:                             ;   in Loop: Header=BB6_5734 Depth=3
	s_mov_b32 s17, 0x7f800001
	s_xor_b32 s13, exec_lo, -1
; %bb.7858:                             ;   in Loop: Header=BB6_5734 Depth=3
	s_or_b32 exec_lo, exec_lo, s34
	s_delay_alu instid0(SALU_CYCLE_1)
	s_and_b32 s13, s13, exec_lo
                                        ; implicit-def: $vgpr58
	s_or_saveexec_b32 s31, s31
	v_mov_b32_e32 v51, s17
	s_xor_b32 exec_lo, exec_lo, s31
	s_cbranch_execz .LBB6_6216
.LBB6_7859:                             ;   in Loop: Header=BB6_5734 Depth=3
	v_cmp_ne_u16_e32 vcc_lo, 0, v58
	v_mov_b32_e32 v51, 0
	s_and_not1_b32 s13, s13, exec_lo
	s_and_b32 s17, vcc_lo, exec_lo
	s_delay_alu instid0(SALU_CYCLE_1)
	s_or_b32 s13, s13, s17
	s_or_b32 exec_lo, exec_lo, s31
	s_and_saveexec_b32 s17, s13
	s_cbranch_execnz .LBB6_6217
	s_branch .LBB6_6218
.LBB6_7860:                             ;   in Loop: Header=BB6_5734 Depth=3
	s_mov_b32 s17, -1
	s_mov_b32 s34, exec_lo
                                        ; implicit-def: $sgpr31
	v_cmpx_eq_u16_e32 0x80, v58
; %bb.7861:                             ;   in Loop: Header=BB6_5734 Depth=3
	s_mov_b32 s31, 0x7f800001
	s_xor_b32 s17, exec_lo, -1
; %bb.7862:                             ;   in Loop: Header=BB6_5734 Depth=3
	s_or_b32 exec_lo, exec_lo, s34
	s_delay_alu instid0(SALU_CYCLE_1)
	s_and_b32 s17, s17, exec_lo
	s_or_saveexec_b32 s13, s13
	v_mov_b32_e32 v59, s31
	s_xor_b32 exec_lo, exec_lo, s13
	s_cbranch_execz .LBB6_6230
.LBB6_7863:                             ;   in Loop: Header=BB6_5734 Depth=3
	v_cmp_ne_u16_e32 vcc_lo, 0, v58
	v_mov_b32_e32 v59, 0
	s_and_not1_b32 s17, s17, exec_lo
	s_and_b32 vcc_lo, vcc_lo, exec_lo
	s_delay_alu instid0(SALU_CYCLE_1)
	s_or_b32 s17, s17, vcc_lo
	s_or_b32 exec_lo, exec_lo, s13
	s_and_saveexec_b32 s13, s17
	s_cbranch_execnz .LBB6_6231
	s_branch .LBB6_6232
.LBB6_7864:                             ;   in Loop: Header=BB6_5734 Depth=3
	s_mov_b32 s13, -1
	s_mov_b32 s34, exec_lo
                                        ; implicit-def: $sgpr17
	v_cmpx_eq_u16_e32 0x80, v57
; %bb.7865:                             ;   in Loop: Header=BB6_5734 Depth=3
	s_mov_b32 s17, 0x7f800001
	s_xor_b32 s13, exec_lo, -1
; %bb.7866:                             ;   in Loop: Header=BB6_5734 Depth=3
	s_or_b32 exec_lo, exec_lo, s34
	s_delay_alu instid0(SALU_CYCLE_1)
	s_and_b32 s13, s13, exec_lo
	s_or_saveexec_b32 s31, s31
	v_mov_b32_e32 v60, s17
	s_xor_b32 exec_lo, exec_lo, s31
	s_cbranch_execz .LBB6_6234
.LBB6_7867:                             ;   in Loop: Header=BB6_5734 Depth=3
	v_cmp_ne_u16_e32 vcc_lo, 0, v57
	v_mov_b32_e32 v60, 0
	s_and_not1_b32 s13, s13, exec_lo
	s_and_b32 s17, vcc_lo, exec_lo
	s_delay_alu instid0(SALU_CYCLE_1)
	s_or_b32 s13, s13, s17
	s_or_b32 exec_lo, exec_lo, s31
	s_and_saveexec_b32 s17, s13
	s_cbranch_execnz .LBB6_6235
	s_branch .LBB6_6236
.LBB6_7868:                             ;   in Loop: Header=BB6_5734 Depth=3
	s_mov_b32 s13, -1
	s_mov_b32 s34, exec_lo
                                        ; implicit-def: $sgpr17
	v_cmpx_eq_u16_e32 0x80, v58
; %bb.7869:                             ;   in Loop: Header=BB6_5734 Depth=3
	s_mov_b32 s17, 0x7f800001
	s_xor_b32 s13, exec_lo, -1
; %bb.7870:                             ;   in Loop: Header=BB6_5734 Depth=3
	s_or_b32 exec_lo, exec_lo, s34
	s_delay_alu instid0(SALU_CYCLE_1)
	s_and_b32 s13, s13, exec_lo
	s_or_saveexec_b32 s31, s31
	v_mov_b32_e32 v59, s17
	s_xor_b32 exec_lo, exec_lo, s31
	s_cbranch_execz .LBB6_6241
.LBB6_7871:                             ;   in Loop: Header=BB6_5734 Depth=3
	v_cmp_ne_u16_e32 vcc_lo, 0, v58
	v_mov_b32_e32 v59, 0
	s_and_not1_b32 s13, s13, exec_lo
	s_and_b32 s17, vcc_lo, exec_lo
	s_delay_alu instid0(SALU_CYCLE_1)
	s_or_b32 s13, s13, s17
	s_or_b32 exec_lo, exec_lo, s31
	s_and_saveexec_b32 s17, s13
	s_cbranch_execnz .LBB6_6242
	s_branch .LBB6_6243
.LBB6_7872:                             ;   in Loop: Header=BB6_5734 Depth=3
	s_mov_b32 s13, -1
	s_mov_b32 s34, exec_lo
                                        ; implicit-def: $sgpr17
	v_cmpx_eq_u16_e32 0x80, v57
; %bb.7873:                             ;   in Loop: Header=BB6_5734 Depth=3
	s_mov_b32 s17, 0x7f800001
	s_xor_b32 s13, exec_lo, -1
; %bb.7874:                             ;   in Loop: Header=BB6_5734 Depth=3
	s_or_b32 exec_lo, exec_lo, s34
	s_delay_alu instid0(SALU_CYCLE_1)
	s_and_b32 s13, s13, exec_lo
	s_or_saveexec_b32 s31, s31
	v_mov_b32_e32 v58, s17
	s_xor_b32 exec_lo, exec_lo, s31
	s_cbranch_execz .LBB6_6245
.LBB6_7875:                             ;   in Loop: Header=BB6_5734 Depth=3
	v_cmp_ne_u16_e32 vcc_lo, 0, v57
	v_mov_b32_e32 v58, 0
	s_and_not1_b32 s13, s13, exec_lo
	s_and_b32 s17, vcc_lo, exec_lo
	s_delay_alu instid0(SALU_CYCLE_1)
	s_or_b32 s13, s13, s17
	s_or_b32 exec_lo, exec_lo, s31
	s_and_saveexec_b32 s17, s13
	s_cbranch_execnz .LBB6_6246
	s_branch .LBB6_6247
.LBB6_7876:                             ;   in Loop: Header=BB6_5734 Depth=3
	s_mov_b32 s17, -1
	s_mov_b32 s34, exec_lo
                                        ; implicit-def: $sgpr31
	v_cmpx_eq_u16_e32 0x80, v60
; %bb.7877:                             ;   in Loop: Header=BB6_5734 Depth=3
	s_mov_b32 s31, 0x7f800001
	s_xor_b32 s17, exec_lo, -1
; %bb.7878:                             ;   in Loop: Header=BB6_5734 Depth=3
	s_or_b32 exec_lo, exec_lo, s34
	s_delay_alu instid0(SALU_CYCLE_1)
	s_and_b32 s17, s17, exec_lo
	s_or_saveexec_b32 s13, s13
	v_mov_b32_e32 v61, s31
	s_xor_b32 exec_lo, exec_lo, s13
	s_cbranch_execz .LBB6_6259
.LBB6_7879:                             ;   in Loop: Header=BB6_5734 Depth=3
	v_cmp_ne_u16_e32 vcc_lo, 0, v60
	v_mov_b32_e32 v61, 0
	s_and_not1_b32 s17, s17, exec_lo
	s_and_b32 vcc_lo, vcc_lo, exec_lo
	s_delay_alu instid0(SALU_CYCLE_1)
	s_or_b32 s17, s17, vcc_lo
	s_or_b32 exec_lo, exec_lo, s13
	s_and_saveexec_b32 s13, s17
	s_cbranch_execnz .LBB6_6260
	s_branch .LBB6_6261
.LBB6_7880:                             ;   in Loop: Header=BB6_5734 Depth=3
	s_mov_b32 s13, -1
	s_mov_b32 s34, exec_lo
                                        ; implicit-def: $sgpr17
	v_cmpx_eq_u16_e32 0x80, v63
; %bb.7881:                             ;   in Loop: Header=BB6_5734 Depth=3
	s_mov_b32 s17, 0x7f800001
	s_xor_b32 s13, exec_lo, -1
; %bb.7882:                             ;   in Loop: Header=BB6_5734 Depth=3
	s_or_b32 exec_lo, exec_lo, s34
	s_delay_alu instid0(SALU_CYCLE_1)
	s_and_b32 s13, s13, exec_lo
                                        ; implicit-def: $vgpr63
	s_or_saveexec_b32 s31, s31
	v_mov_b32_e32 v62, s17
	s_xor_b32 exec_lo, exec_lo, s31
	s_cbranch_execz .LBB6_6263
.LBB6_7883:                             ;   in Loop: Header=BB6_5734 Depth=3
	v_cmp_ne_u16_e32 vcc_lo, 0, v63
	v_mov_b32_e32 v62, 0
	s_and_not1_b32 s13, s13, exec_lo
	s_and_b32 s17, vcc_lo, exec_lo
	s_delay_alu instid0(SALU_CYCLE_1)
	s_or_b32 s13, s13, s17
	s_or_b32 exec_lo, exec_lo, s31
	s_and_saveexec_b32 s17, s13
	s_cbranch_execnz .LBB6_6264
	s_branch .LBB6_6265
.LBB6_7884:                             ;   in Loop: Header=BB6_5734 Depth=3
	s_mov_b32 s13, -1
	s_mov_b32 s34, exec_lo
                                        ; implicit-def: $sgpr17
	v_cmpx_eq_u16_e32 0x80, v60
; %bb.7885:                             ;   in Loop: Header=BB6_5734 Depth=3
	s_mov_b32 s17, 0x7f800001
	s_xor_b32 s13, exec_lo, -1
; %bb.7886:                             ;   in Loop: Header=BB6_5734 Depth=3
	s_or_b32 exec_lo, exec_lo, s34
	s_delay_alu instid0(SALU_CYCLE_1)
	s_and_b32 s13, s13, exec_lo
                                        ; implicit-def: $vgpr60
	s_or_saveexec_b32 s31, s31
	v_mov_b32_e32 v61, s17
	s_xor_b32 exec_lo, exec_lo, s31
	s_cbranch_execz .LBB6_6270
.LBB6_7887:                             ;   in Loop: Header=BB6_5734 Depth=3
	v_cmp_ne_u16_e32 vcc_lo, 0, v60
	v_mov_b32_e32 v61, 0
	s_and_not1_b32 s13, s13, exec_lo
	s_and_b32 s17, vcc_lo, exec_lo
	s_delay_alu instid0(SALU_CYCLE_1)
	s_or_b32 s13, s13, s17
	s_or_b32 exec_lo, exec_lo, s31
	s_and_saveexec_b32 s17, s13
	s_cbranch_execnz .LBB6_6271
	s_branch .LBB6_6272
.LBB6_7888:                             ;   in Loop: Header=BB6_5734 Depth=3
	s_mov_b32 s13, -1
	s_mov_b32 s34, exec_lo
                                        ; implicit-def: $sgpr17
	v_cmpx_eq_u16_e32 0x80, v60
; %bb.7889:                             ;   in Loop: Header=BB6_5734 Depth=3
	s_mov_b32 s17, 0x7f800001
	s_xor_b32 s13, exec_lo, -1
; %bb.7890:                             ;   in Loop: Header=BB6_5734 Depth=3
	s_or_b32 exec_lo, exec_lo, s34
	s_delay_alu instid0(SALU_CYCLE_1)
	s_and_b32 s13, s13, exec_lo
                                        ; implicit-def: $vgpr60
	s_or_saveexec_b32 s31, s31
	v_mov_b32_e32 v59, s17
	s_xor_b32 exec_lo, exec_lo, s31
	s_cbranch_execz .LBB6_6274
.LBB6_7891:                             ;   in Loop: Header=BB6_5734 Depth=3
	v_cmp_ne_u16_e32 vcc_lo, 0, v60
	v_mov_b32_e32 v59, 0
	s_and_not1_b32 s13, s13, exec_lo
	s_and_b32 s17, vcc_lo, exec_lo
	s_delay_alu instid0(SALU_CYCLE_1)
	s_or_b32 s13, s13, s17
	s_or_b32 exec_lo, exec_lo, s31
	s_and_saveexec_b32 s17, s13
	s_cbranch_execnz .LBB6_6275
	s_branch .LBB6_6276
.LBB6_7892:                             ;   in Loop: Header=BB6_5734 Depth=3
	s_mov_b32 s17, -1
	s_mov_b32 s34, exec_lo
                                        ; implicit-def: $sgpr31
	v_cmpx_eq_u16_e32 0x80, v60
; %bb.7893:                             ;   in Loop: Header=BB6_5734 Depth=3
	s_mov_b32 s31, 0x7f800001
	s_xor_b32 s17, exec_lo, -1
; %bb.7894:                             ;   in Loop: Header=BB6_5734 Depth=3
	s_or_b32 exec_lo, exec_lo, s34
	s_delay_alu instid0(SALU_CYCLE_1)
	s_and_b32 s17, s17, exec_lo
	s_or_saveexec_b32 s13, s13
	v_mov_b32_e32 v61, s31
	s_xor_b32 exec_lo, exec_lo, s13
	s_cbranch_execz .LBB6_6288
.LBB6_7895:                             ;   in Loop: Header=BB6_5734 Depth=3
	v_cmp_ne_u16_e32 vcc_lo, 0, v60
	v_mov_b32_e32 v61, 0
	s_and_not1_b32 s17, s17, exec_lo
	s_and_b32 vcc_lo, vcc_lo, exec_lo
	s_delay_alu instid0(SALU_CYCLE_1)
	s_or_b32 s17, s17, vcc_lo
	s_or_b32 exec_lo, exec_lo, s13
	s_and_saveexec_b32 s13, s17
	s_cbranch_execnz .LBB6_6289
	s_branch .LBB6_6290
.LBB6_7896:                             ;   in Loop: Header=BB6_5734 Depth=3
	s_mov_b32 s13, -1
	s_mov_b32 s34, exec_lo
                                        ; implicit-def: $sgpr17
	v_cmpx_eq_u16_e32 0x80, v59
; %bb.7897:                             ;   in Loop: Header=BB6_5734 Depth=3
	s_mov_b32 s17, 0x7f800001
	s_xor_b32 s13, exec_lo, -1
; %bb.7898:                             ;   in Loop: Header=BB6_5734 Depth=3
	s_or_b32 exec_lo, exec_lo, s34
	s_delay_alu instid0(SALU_CYCLE_1)
	s_and_b32 s13, s13, exec_lo
	s_or_saveexec_b32 s31, s31
	v_mov_b32_e32 v62, s17
	s_xor_b32 exec_lo, exec_lo, s31
	s_cbranch_execz .LBB6_6292
.LBB6_7899:                             ;   in Loop: Header=BB6_5734 Depth=3
	v_cmp_ne_u16_e32 vcc_lo, 0, v59
	v_mov_b32_e32 v62, 0
	s_and_not1_b32 s13, s13, exec_lo
	s_and_b32 s17, vcc_lo, exec_lo
	s_delay_alu instid0(SALU_CYCLE_1)
	s_or_b32 s13, s13, s17
	s_or_b32 exec_lo, exec_lo, s31
	s_and_saveexec_b32 s17, s13
	s_cbranch_execnz .LBB6_6293
	s_branch .LBB6_6294
.LBB6_7900:                             ;   in Loop: Header=BB6_5734 Depth=3
	s_mov_b32 s13, -1
	s_mov_b32 s34, exec_lo
                                        ; implicit-def: $sgpr17
	v_cmpx_eq_u16_e32 0x80, v60
; %bb.7901:                             ;   in Loop: Header=BB6_5734 Depth=3
	s_mov_b32 s17, 0x7f800001
	s_xor_b32 s13, exec_lo, -1
; %bb.7902:                             ;   in Loop: Header=BB6_5734 Depth=3
	s_or_b32 exec_lo, exec_lo, s34
	s_delay_alu instid0(SALU_CYCLE_1)
	s_and_b32 s13, s13, exec_lo
	s_or_saveexec_b32 s31, s31
	v_mov_b32_e32 v61, s17
	s_xor_b32 exec_lo, exec_lo, s31
	s_cbranch_execz .LBB6_6299
.LBB6_7903:                             ;   in Loop: Header=BB6_5734 Depth=3
	v_cmp_ne_u16_e32 vcc_lo, 0, v60
	v_mov_b32_e32 v61, 0
	s_and_not1_b32 s13, s13, exec_lo
	s_and_b32 s17, vcc_lo, exec_lo
	s_delay_alu instid0(SALU_CYCLE_1)
	s_or_b32 s13, s13, s17
	s_or_b32 exec_lo, exec_lo, s31
	s_and_saveexec_b32 s17, s13
	s_cbranch_execnz .LBB6_6300
	s_branch .LBB6_6301
.LBB6_7904:                             ;   in Loop: Header=BB6_5734 Depth=3
	s_mov_b32 s13, -1
	s_mov_b32 s34, exec_lo
                                        ; implicit-def: $sgpr17
	v_cmpx_eq_u16_e32 0x80, v59
; %bb.7905:                             ;   in Loop: Header=BB6_5734 Depth=3
	s_mov_b32 s17, 0x7f800001
	s_xor_b32 s13, exec_lo, -1
; %bb.7906:                             ;   in Loop: Header=BB6_5734 Depth=3
	s_or_b32 exec_lo, exec_lo, s34
	s_delay_alu instid0(SALU_CYCLE_1)
	s_and_b32 s13, s13, exec_lo
	s_or_saveexec_b32 s31, s31
	v_mov_b32_e32 v32, s17
	s_xor_b32 exec_lo, exec_lo, s31
	s_cbranch_execz .LBB6_6303
.LBB6_7907:                             ;   in Loop: Header=BB6_5734 Depth=3
	v_cmp_ne_u16_e32 vcc_lo, 0, v59
	v_mov_b32_e32 v32, 0
	s_and_not1_b32 s13, s13, exec_lo
	s_and_b32 s17, vcc_lo, exec_lo
	s_delay_alu instid0(SALU_CYCLE_1)
	s_or_b32 s13, s13, s17
	s_or_b32 exec_lo, exec_lo, s31
	s_and_saveexec_b32 s17, s13
	s_cbranch_execnz .LBB6_6304
	s_branch .LBB6_6305
.LBB6_7908:                             ;   in Loop: Header=BB6_5734 Depth=3
	s_mov_b32 s17, -1
	s_mov_b32 s34, exec_lo
                                        ; implicit-def: $sgpr31
	v_cmpx_eq_u16_e32 0x80, v32
; %bb.7909:                             ;   in Loop: Header=BB6_5734 Depth=3
	s_mov_b32 s31, 0x7f800001
	s_xor_b32 s17, exec_lo, -1
; %bb.7910:                             ;   in Loop: Header=BB6_5734 Depth=3
	s_or_b32 exec_lo, exec_lo, s34
	s_delay_alu instid0(SALU_CYCLE_1)
	s_and_b32 s17, s17, exec_lo
	s_or_saveexec_b32 s13, s13
	v_mov_b32_e32 v59, s31
	s_xor_b32 exec_lo, exec_lo, s13
	s_cbranch_execz .LBB6_6317
.LBB6_7911:                             ;   in Loop: Header=BB6_5734 Depth=3
	v_cmp_ne_u16_e32 vcc_lo, 0, v32
	v_mov_b32_e32 v59, 0
	s_and_not1_b32 s17, s17, exec_lo
	s_and_b32 vcc_lo, vcc_lo, exec_lo
	s_delay_alu instid0(SALU_CYCLE_1)
	s_or_b32 s17, s17, vcc_lo
	s_or_b32 exec_lo, exec_lo, s13
	s_and_saveexec_b32 s13, s17
	s_cbranch_execnz .LBB6_6318
	s_branch .LBB6_6319
.LBB6_7912:                             ;   in Loop: Header=BB6_5734 Depth=3
	s_mov_b32 s13, -1
	s_mov_b32 s34, exec_lo
                                        ; implicit-def: $sgpr17
	v_cmpx_eq_u16_e32 0x80, v61
; %bb.7913:                             ;   in Loop: Header=BB6_5734 Depth=3
	s_mov_b32 s17, 0x7f800001
	s_xor_b32 s13, exec_lo, -1
; %bb.7914:                             ;   in Loop: Header=BB6_5734 Depth=3
	s_or_b32 exec_lo, exec_lo, s34
	s_delay_alu instid0(SALU_CYCLE_1)
	s_and_b32 s13, s13, exec_lo
                                        ; implicit-def: $vgpr61
	s_or_saveexec_b32 s31, s31
	v_mov_b32_e32 v60, s17
	s_xor_b32 exec_lo, exec_lo, s31
	s_cbranch_execz .LBB6_6321
.LBB6_7915:                             ;   in Loop: Header=BB6_5734 Depth=3
	v_cmp_ne_u16_e32 vcc_lo, 0, v61
	v_mov_b32_e32 v60, 0
	s_and_not1_b32 s13, s13, exec_lo
	s_and_b32 s17, vcc_lo, exec_lo
	s_delay_alu instid0(SALU_CYCLE_1)
	s_or_b32 s13, s13, s17
	s_or_b32 exec_lo, exec_lo, s31
	s_and_saveexec_b32 s17, s13
	s_cbranch_execnz .LBB6_6322
	s_branch .LBB6_6323
.LBB6_7916:                             ;   in Loop: Header=BB6_5734 Depth=3
	s_mov_b32 s13, -1
	s_mov_b32 s34, exec_lo
                                        ; implicit-def: $sgpr17
	v_cmpx_eq_u16_e32 0x80, v32
; %bb.7917:                             ;   in Loop: Header=BB6_5734 Depth=3
	s_mov_b32 s17, 0x7f800001
	s_xor_b32 s13, exec_lo, -1
; %bb.7918:                             ;   in Loop: Header=BB6_5734 Depth=3
	s_or_b32 exec_lo, exec_lo, s34
	s_delay_alu instid0(SALU_CYCLE_1)
	s_and_b32 s13, s13, exec_lo
                                        ; implicit-def: $vgpr32
	s_or_saveexec_b32 s31, s31
	v_mov_b32_e32 v59, s17
	s_xor_b32 exec_lo, exec_lo, s31
	s_cbranch_execz .LBB6_6328
.LBB6_7919:                             ;   in Loop: Header=BB6_5734 Depth=3
	v_cmp_ne_u16_e32 vcc_lo, 0, v32
	v_mov_b32_e32 v59, 0
	s_and_not1_b32 s13, s13, exec_lo
	s_and_b32 s17, vcc_lo, exec_lo
	s_delay_alu instid0(SALU_CYCLE_1)
	s_or_b32 s13, s13, s17
	s_or_b32 exec_lo, exec_lo, s31
	s_and_saveexec_b32 s17, s13
	s_cbranch_execnz .LBB6_6329
	s_branch .LBB6_6330
.LBB6_7920:                             ;   in Loop: Header=BB6_5734 Depth=3
	s_mov_b32 s13, -1
	s_mov_b32 s34, exec_lo
                                        ; implicit-def: $sgpr17
	v_cmpx_eq_u16_e32 0x80, v60
; %bb.7921:                             ;   in Loop: Header=BB6_5734 Depth=3
	s_mov_b32 s17, 0x7f800001
	s_xor_b32 s13, exec_lo, -1
; %bb.7922:                             ;   in Loop: Header=BB6_5734 Depth=3
	s_or_b32 exec_lo, exec_lo, s34
	s_delay_alu instid0(SALU_CYCLE_1)
	s_and_b32 s13, s13, exec_lo
                                        ; implicit-def: $vgpr60
	s_or_saveexec_b32 s31, s31
	v_mov_b32_e32 v32, s17
	s_xor_b32 exec_lo, exec_lo, s31
	s_cbranch_execz .LBB6_6332
.LBB6_7923:                             ;   in Loop: Header=BB6_5734 Depth=3
	v_cmp_ne_u16_e32 vcc_lo, 0, v60
	v_mov_b32_e32 v32, 0
	s_and_not1_b32 s13, s13, exec_lo
	s_and_b32 s17, vcc_lo, exec_lo
	s_delay_alu instid0(SALU_CYCLE_1)
	s_or_b32 s13, s13, s17
	s_or_b32 exec_lo, exec_lo, s31
	s_and_saveexec_b32 s17, s13
	s_cbranch_execnz .LBB6_6333
	s_branch .LBB6_6334
.LBB6_7924:                             ;   in Loop: Header=BB6_5734 Depth=3
	s_mov_b32 s17, -1
	s_mov_b32 s34, exec_lo
                                        ; implicit-def: $sgpr31
	v_cmpx_eq_u16_e32 0x80, v60
; %bb.7925:                             ;   in Loop: Header=BB6_5734 Depth=3
	s_mov_b32 s31, 0x7f800001
	s_xor_b32 s17, exec_lo, -1
; %bb.7926:                             ;   in Loop: Header=BB6_5734 Depth=3
	s_or_b32 exec_lo, exec_lo, s34
	s_delay_alu instid0(SALU_CYCLE_1)
	s_and_b32 s17, s17, exec_lo
	s_or_saveexec_b32 s13, s13
	v_mov_b32_e32 v61, s31
	s_xor_b32 exec_lo, exec_lo, s13
	s_cbranch_execz .LBB6_6346
.LBB6_7927:                             ;   in Loop: Header=BB6_5734 Depth=3
	v_cmp_ne_u16_e32 vcc_lo, 0, v60
	v_mov_b32_e32 v61, 0
	s_and_not1_b32 s17, s17, exec_lo
	s_and_b32 vcc_lo, vcc_lo, exec_lo
	s_delay_alu instid0(SALU_CYCLE_1)
	s_or_b32 s17, s17, vcc_lo
	s_or_b32 exec_lo, exec_lo, s13
	s_and_saveexec_b32 s13, s17
	s_cbranch_execnz .LBB6_6347
	s_branch .LBB6_6348
.LBB6_7928:                             ;   in Loop: Header=BB6_5734 Depth=3
	s_mov_b32 s13, -1
	s_mov_b32 s34, exec_lo
                                        ; implicit-def: $sgpr17
	v_cmpx_eq_u16_e32 0x80, v59
; %bb.7929:                             ;   in Loop: Header=BB6_5734 Depth=3
	s_mov_b32 s17, 0x7f800001
	s_xor_b32 s13, exec_lo, -1
; %bb.7930:                             ;   in Loop: Header=BB6_5734 Depth=3
	s_or_b32 exec_lo, exec_lo, s34
	s_delay_alu instid0(SALU_CYCLE_1)
	s_and_b32 s13, s13, exec_lo
	s_or_saveexec_b32 s31, s31
	v_mov_b32_e32 v62, s17
	s_xor_b32 exec_lo, exec_lo, s31
	s_cbranch_execz .LBB6_6350
.LBB6_7931:                             ;   in Loop: Header=BB6_5734 Depth=3
	v_cmp_ne_u16_e32 vcc_lo, 0, v59
	v_mov_b32_e32 v62, 0
	s_and_not1_b32 s13, s13, exec_lo
	s_and_b32 s17, vcc_lo, exec_lo
	s_delay_alu instid0(SALU_CYCLE_1)
	s_or_b32 s13, s13, s17
	s_or_b32 exec_lo, exec_lo, s31
	s_and_saveexec_b32 s17, s13
	s_cbranch_execnz .LBB6_6351
	s_branch .LBB6_6352
.LBB6_7932:                             ;   in Loop: Header=BB6_5734 Depth=3
	s_mov_b32 s13, -1
	s_mov_b32 s34, exec_lo
                                        ; implicit-def: $sgpr17
	v_cmpx_eq_u16_e32 0x80, v60
; %bb.7933:                             ;   in Loop: Header=BB6_5734 Depth=3
	s_mov_b32 s17, 0x7f800001
	s_xor_b32 s13, exec_lo, -1
; %bb.7934:                             ;   in Loop: Header=BB6_5734 Depth=3
	s_or_b32 exec_lo, exec_lo, s34
	s_delay_alu instid0(SALU_CYCLE_1)
	s_and_b32 s13, s13, exec_lo
	s_or_saveexec_b32 s31, s31
	v_mov_b32_e32 v61, s17
	s_xor_b32 exec_lo, exec_lo, s31
	s_cbranch_execz .LBB6_6357
.LBB6_7935:                             ;   in Loop: Header=BB6_5734 Depth=3
	v_cmp_ne_u16_e32 vcc_lo, 0, v60
	v_mov_b32_e32 v61, 0
	s_and_not1_b32 s13, s13, exec_lo
	s_and_b32 s17, vcc_lo, exec_lo
	s_delay_alu instid0(SALU_CYCLE_1)
	s_or_b32 s13, s13, s17
	s_or_b32 exec_lo, exec_lo, s31
	s_and_saveexec_b32 s17, s13
	s_cbranch_execnz .LBB6_6358
	s_branch .LBB6_6359
.LBB6_7936:                             ;   in Loop: Header=BB6_5734 Depth=3
	s_mov_b32 s13, -1
	s_mov_b32 s34, exec_lo
                                        ; implicit-def: $sgpr17
	v_cmpx_eq_u16_e32 0x80, v59
; %bb.7937:                             ;   in Loop: Header=BB6_5734 Depth=3
	s_mov_b32 s17, 0x7f800001
	s_xor_b32 s13, exec_lo, -1
; %bb.7938:                             ;   in Loop: Header=BB6_5734 Depth=3
	s_or_b32 exec_lo, exec_lo, s34
	s_delay_alu instid0(SALU_CYCLE_1)
	s_and_b32 s13, s13, exec_lo
	s_or_saveexec_b32 s31, s31
	v_mov_b32_e32 v60, s17
	s_xor_b32 exec_lo, exec_lo, s31
	s_cbranch_execz .LBB6_6361
.LBB6_7939:                             ;   in Loop: Header=BB6_5734 Depth=3
	v_cmp_ne_u16_e32 vcc_lo, 0, v59
	v_mov_b32_e32 v60, 0
	s_and_not1_b32 s13, s13, exec_lo
	s_and_b32 s17, vcc_lo, exec_lo
	s_delay_alu instid0(SALU_CYCLE_1)
	s_or_b32 s13, s13, s17
	s_or_b32 exec_lo, exec_lo, s31
	s_and_saveexec_b32 s17, s13
	s_cbranch_execnz .LBB6_6362
	s_branch .LBB6_6363
.LBB6_7940:                             ;   in Loop: Header=BB6_5734 Depth=3
	s_mov_b32 s17, -1
	s_mov_b32 s34, exec_lo
                                        ; implicit-def: $sgpr31
	v_cmpx_eq_u16_e32 0x80, v62
; %bb.7941:                             ;   in Loop: Header=BB6_5734 Depth=3
	s_mov_b32 s31, 0x7f800001
	s_xor_b32 s17, exec_lo, -1
; %bb.7942:                             ;   in Loop: Header=BB6_5734 Depth=3
	s_or_b32 exec_lo, exec_lo, s34
	s_delay_alu instid0(SALU_CYCLE_1)
	s_and_b32 s17, s17, exec_lo
	s_or_saveexec_b32 s13, s13
	v_mov_b32_e32 v63, s31
	s_xor_b32 exec_lo, exec_lo, s13
	s_cbranch_execz .LBB6_6375
.LBB6_7943:                             ;   in Loop: Header=BB6_5734 Depth=3
	v_cmp_ne_u16_e32 vcc_lo, 0, v62
	v_mov_b32_e32 v63, 0
	s_and_not1_b32 s17, s17, exec_lo
	s_and_b32 vcc_lo, vcc_lo, exec_lo
	s_delay_alu instid0(SALU_CYCLE_1)
	s_or_b32 s17, s17, vcc_lo
	s_or_b32 exec_lo, exec_lo, s13
	s_and_saveexec_b32 s13, s17
	s_cbranch_execnz .LBB6_6376
	s_branch .LBB6_6377
.LBB6_7944:                             ;   in Loop: Header=BB6_5734 Depth=3
	s_mov_b32 s13, -1
	s_mov_b32 s34, exec_lo
                                        ; implicit-def: $sgpr17
	v_cmpx_eq_u16_e32 0x80, v73
; %bb.7945:                             ;   in Loop: Header=BB6_5734 Depth=3
	s_mov_b32 s17, 0x7f800001
	s_xor_b32 s13, exec_lo, -1
; %bb.7946:                             ;   in Loop: Header=BB6_5734 Depth=3
	s_or_b32 exec_lo, exec_lo, s34
	s_delay_alu instid0(SALU_CYCLE_1)
	s_and_b32 s13, s13, exec_lo
                                        ; implicit-def: $vgpr73
	s_or_saveexec_b32 s31, s31
	v_mov_b32_e32 v72, s17
	s_xor_b32 exec_lo, exec_lo, s31
	s_cbranch_execz .LBB6_6379
.LBB6_7947:                             ;   in Loop: Header=BB6_5734 Depth=3
	v_cmp_ne_u16_e32 vcc_lo, 0, v73
	v_mov_b32_e32 v72, 0
	s_and_not1_b32 s13, s13, exec_lo
	s_and_b32 s17, vcc_lo, exec_lo
	s_delay_alu instid0(SALU_CYCLE_1)
	s_or_b32 s13, s13, s17
	s_or_b32 exec_lo, exec_lo, s31
	s_and_saveexec_b32 s17, s13
	s_cbranch_execnz .LBB6_6380
	s_branch .LBB6_6381
.LBB6_7948:                             ;   in Loop: Header=BB6_5734 Depth=3
	s_mov_b32 s13, -1
	s_mov_b32 s34, exec_lo
                                        ; implicit-def: $sgpr17
	v_cmpx_eq_u16_e32 0x80, v62
; %bb.7949:                             ;   in Loop: Header=BB6_5734 Depth=3
	s_mov_b32 s17, 0x7f800001
	s_xor_b32 s13, exec_lo, -1
; %bb.7950:                             ;   in Loop: Header=BB6_5734 Depth=3
	s_or_b32 exec_lo, exec_lo, s34
	s_delay_alu instid0(SALU_CYCLE_1)
	s_and_b32 s13, s13, exec_lo
                                        ; implicit-def: $vgpr62
	s_or_saveexec_b32 s31, s31
	v_mov_b32_e32 v63, s17
	s_xor_b32 exec_lo, exec_lo, s31
	s_cbranch_execz .LBB6_6386
.LBB6_7951:                             ;   in Loop: Header=BB6_5734 Depth=3
	v_cmp_ne_u16_e32 vcc_lo, 0, v62
	v_mov_b32_e32 v63, 0
	s_and_not1_b32 s13, s13, exec_lo
	s_and_b32 s17, vcc_lo, exec_lo
	s_delay_alu instid0(SALU_CYCLE_1)
	s_or_b32 s13, s13, s17
	s_or_b32 exec_lo, exec_lo, s31
	s_and_saveexec_b32 s17, s13
	s_cbranch_execnz .LBB6_6387
	s_branch .LBB6_6388
.LBB6_7952:                             ;   in Loop: Header=BB6_5734 Depth=3
	s_mov_b32 s13, -1
	s_mov_b32 s34, exec_lo
                                        ; implicit-def: $sgpr17
	v_cmpx_eq_u16_e32 0x80, v62
; %bb.7953:                             ;   in Loop: Header=BB6_5734 Depth=3
	s_mov_b32 s17, 0x7f800001
	s_xor_b32 s13, exec_lo, -1
; %bb.7954:                             ;   in Loop: Header=BB6_5734 Depth=3
	s_or_b32 exec_lo, exec_lo, s34
	s_delay_alu instid0(SALU_CYCLE_1)
	s_and_b32 s13, s13, exec_lo
                                        ; implicit-def: $vgpr62
	s_or_saveexec_b32 s31, s31
	v_mov_b32_e32 v61, s17
	s_xor_b32 exec_lo, exec_lo, s31
	s_cbranch_execz .LBB6_6390
.LBB6_7955:                             ;   in Loop: Header=BB6_5734 Depth=3
	v_cmp_ne_u16_e32 vcc_lo, 0, v62
	v_mov_b32_e32 v61, 0
	s_and_not1_b32 s13, s13, exec_lo
	s_and_b32 s17, vcc_lo, exec_lo
	s_delay_alu instid0(SALU_CYCLE_1)
	s_or_b32 s13, s13, s17
	s_or_b32 exec_lo, exec_lo, s31
	s_and_saveexec_b32 s17, s13
	s_cbranch_execnz .LBB6_6391
	s_branch .LBB6_6392
.LBB6_7956:                             ;   in Loop: Header=BB6_5734 Depth=3
	s_mov_b32 s17, -1
	s_mov_b32 s34, exec_lo
                                        ; implicit-def: $sgpr31
	v_cmpx_eq_u16_e32 0x80, v62
; %bb.7957:                             ;   in Loop: Header=BB6_5734 Depth=3
	s_mov_b32 s31, 0x7f800001
	s_xor_b32 s17, exec_lo, -1
; %bb.7958:                             ;   in Loop: Header=BB6_5734 Depth=3
	s_or_b32 exec_lo, exec_lo, s34
	s_delay_alu instid0(SALU_CYCLE_1)
	s_and_b32 s17, s17, exec_lo
	s_or_saveexec_b32 s13, s13
	v_mov_b32_e32 v63, s31
	s_xor_b32 exec_lo, exec_lo, s13
	s_cbranch_execz .LBB6_6404
.LBB6_7959:                             ;   in Loop: Header=BB6_5734 Depth=3
	v_cmp_ne_u16_e32 vcc_lo, 0, v62
	v_mov_b32_e32 v63, 0
	s_and_not1_b32 s17, s17, exec_lo
	s_and_b32 vcc_lo, vcc_lo, exec_lo
	s_delay_alu instid0(SALU_CYCLE_1)
	s_or_b32 s17, s17, vcc_lo
	s_or_b32 exec_lo, exec_lo, s13
	s_and_saveexec_b32 s13, s17
	s_cbranch_execnz .LBB6_6405
	s_branch .LBB6_6406
.LBB6_7960:                             ;   in Loop: Header=BB6_5734 Depth=3
	s_mov_b32 s13, -1
	s_mov_b32 s34, exec_lo
                                        ; implicit-def: $sgpr17
	v_cmpx_eq_u16_e32 0x80, v61
; %bb.7961:                             ;   in Loop: Header=BB6_5734 Depth=3
	s_mov_b32 s17, 0x7f800001
	s_xor_b32 s13, exec_lo, -1
; %bb.7962:                             ;   in Loop: Header=BB6_5734 Depth=3
	s_or_b32 exec_lo, exec_lo, s34
	s_delay_alu instid0(SALU_CYCLE_1)
	s_and_b32 s13, s13, exec_lo
	s_or_saveexec_b32 s31, s31
	v_mov_b32_e32 v72, s17
	s_xor_b32 exec_lo, exec_lo, s31
	s_cbranch_execz .LBB6_6408
.LBB6_7963:                             ;   in Loop: Header=BB6_5734 Depth=3
	v_cmp_ne_u16_e32 vcc_lo, 0, v61
	v_mov_b32_e32 v72, 0
	s_and_not1_b32 s13, s13, exec_lo
	s_and_b32 s17, vcc_lo, exec_lo
	s_delay_alu instid0(SALU_CYCLE_1)
	s_or_b32 s13, s13, s17
	s_or_b32 exec_lo, exec_lo, s31
	s_and_saveexec_b32 s17, s13
	s_cbranch_execnz .LBB6_6409
	s_branch .LBB6_6410
.LBB6_7964:                             ;   in Loop: Header=BB6_5734 Depth=3
	s_mov_b32 s13, -1
	s_mov_b32 s34, exec_lo
                                        ; implicit-def: $sgpr17
	v_cmpx_eq_u16_e32 0x80, v62
; %bb.7965:                             ;   in Loop: Header=BB6_5734 Depth=3
	s_mov_b32 s17, 0x7f800001
	s_xor_b32 s13, exec_lo, -1
; %bb.7966:                             ;   in Loop: Header=BB6_5734 Depth=3
	s_or_b32 exec_lo, exec_lo, s34
	s_delay_alu instid0(SALU_CYCLE_1)
	s_and_b32 s13, s13, exec_lo
	s_or_saveexec_b32 s31, s31
	v_mov_b32_e32 v63, s17
	s_xor_b32 exec_lo, exec_lo, s31
	s_cbranch_execz .LBB6_6415
.LBB6_7967:                             ;   in Loop: Header=BB6_5734 Depth=3
	v_cmp_ne_u16_e32 vcc_lo, 0, v62
	v_mov_b32_e32 v63, 0
	s_and_not1_b32 s13, s13, exec_lo
	s_and_b32 s17, vcc_lo, exec_lo
	s_delay_alu instid0(SALU_CYCLE_1)
	s_or_b32 s13, s13, s17
	s_or_b32 exec_lo, exec_lo, s31
	s_and_saveexec_b32 s17, s13
	s_cbranch_execnz .LBB6_6416
	s_branch .LBB6_6417
.LBB6_7968:                             ;   in Loop: Header=BB6_5734 Depth=3
	s_mov_b32 s13, -1
	s_mov_b32 s34, exec_lo
                                        ; implicit-def: $sgpr17
	v_cmpx_eq_u16_e32 0x80, v61
; %bb.7969:                             ;   in Loop: Header=BB6_5734 Depth=3
	s_mov_b32 s17, 0x7f800001
	s_xor_b32 s13, exec_lo, -1
; %bb.7970:                             ;   in Loop: Header=BB6_5734 Depth=3
	s_or_b32 exec_lo, exec_lo, s34
	s_delay_alu instid0(SALU_CYCLE_1)
	s_and_b32 s13, s13, exec_lo
	s_or_saveexec_b32 s31, s31
	v_mov_b32_e32 v33, s17
	s_xor_b32 exec_lo, exec_lo, s31
	s_cbranch_execz .LBB6_6419
.LBB6_7971:                             ;   in Loop: Header=BB6_5734 Depth=3
	v_cmp_ne_u16_e32 vcc_lo, 0, v61
	v_mov_b32_e32 v33, 0
	s_and_not1_b32 s13, s13, exec_lo
	s_and_b32 s17, vcc_lo, exec_lo
	s_delay_alu instid0(SALU_CYCLE_1)
	s_or_b32 s13, s13, s17
	s_or_b32 exec_lo, exec_lo, s31
	s_and_saveexec_b32 s17, s13
	s_cbranch_execnz .LBB6_6420
	s_branch .LBB6_6421
.LBB6_7972:                             ;   in Loop: Header=BB6_5734 Depth=3
	s_mov_b32 s17, -1
	s_mov_b32 s34, exec_lo
                                        ; implicit-def: $sgpr31
	v_cmpx_eq_u16_e32 0x80, v33
; %bb.7973:                             ;   in Loop: Header=BB6_5734 Depth=3
	s_mov_b32 s31, 0x7f800001
	s_xor_b32 s17, exec_lo, -1
; %bb.7974:                             ;   in Loop: Header=BB6_5734 Depth=3
	s_or_b32 exec_lo, exec_lo, s34
	s_delay_alu instid0(SALU_CYCLE_1)
	s_and_b32 s17, s17, exec_lo
	s_or_saveexec_b32 s13, s13
	v_mov_b32_e32 v61, s31
	s_xor_b32 exec_lo, exec_lo, s13
	s_cbranch_execz .LBB6_6433
.LBB6_7975:                             ;   in Loop: Header=BB6_5734 Depth=3
	v_cmp_ne_u16_e32 vcc_lo, 0, v33
	v_mov_b32_e32 v61, 0
	s_and_not1_b32 s17, s17, exec_lo
	s_and_b32 vcc_lo, vcc_lo, exec_lo
	s_delay_alu instid0(SALU_CYCLE_1)
	s_or_b32 s17, s17, vcc_lo
	s_or_b32 exec_lo, exec_lo, s13
	s_and_saveexec_b32 s13, s17
	s_cbranch_execnz .LBB6_6434
	s_branch .LBB6_6435
.LBB6_7976:                             ;   in Loop: Header=BB6_5734 Depth=3
	s_mov_b32 s13, -1
	s_mov_b32 s34, exec_lo
                                        ; implicit-def: $sgpr17
	v_cmpx_eq_u16_e32 0x80, v63
; %bb.7977:                             ;   in Loop: Header=BB6_5734 Depth=3
	s_mov_b32 s17, 0x7f800001
	s_xor_b32 s13, exec_lo, -1
; %bb.7978:                             ;   in Loop: Header=BB6_5734 Depth=3
	s_or_b32 exec_lo, exec_lo, s34
	s_delay_alu instid0(SALU_CYCLE_1)
	s_and_b32 s13, s13, exec_lo
                                        ; implicit-def: $vgpr63
	s_or_saveexec_b32 s31, s31
	v_mov_b32_e32 v62, s17
	s_xor_b32 exec_lo, exec_lo, s31
	s_cbranch_execz .LBB6_6437
.LBB6_7979:                             ;   in Loop: Header=BB6_5734 Depth=3
	v_cmp_ne_u16_e32 vcc_lo, 0, v63
	v_mov_b32_e32 v62, 0
	s_and_not1_b32 s13, s13, exec_lo
	s_and_b32 s17, vcc_lo, exec_lo
	s_delay_alu instid0(SALU_CYCLE_1)
	s_or_b32 s13, s13, s17
	s_or_b32 exec_lo, exec_lo, s31
	s_and_saveexec_b32 s17, s13
	s_cbranch_execnz .LBB6_6438
	s_branch .LBB6_6439
.LBB6_7980:                             ;   in Loop: Header=BB6_5734 Depth=3
	s_mov_b32 s13, -1
	s_mov_b32 s34, exec_lo
                                        ; implicit-def: $sgpr17
	v_cmpx_eq_u16_e32 0x80, v33
; %bb.7981:                             ;   in Loop: Header=BB6_5734 Depth=3
	s_mov_b32 s17, 0x7f800001
	s_xor_b32 s13, exec_lo, -1
; %bb.7982:                             ;   in Loop: Header=BB6_5734 Depth=3
	s_or_b32 exec_lo, exec_lo, s34
	s_delay_alu instid0(SALU_CYCLE_1)
	s_and_b32 s13, s13, exec_lo
                                        ; implicit-def: $vgpr33
	s_or_saveexec_b32 s31, s31
	v_mov_b32_e32 v61, s17
	s_xor_b32 exec_lo, exec_lo, s31
	s_cbranch_execz .LBB6_6444
.LBB6_7983:                             ;   in Loop: Header=BB6_5734 Depth=3
	v_cmp_ne_u16_e32 vcc_lo, 0, v33
	v_mov_b32_e32 v61, 0
	s_and_not1_b32 s13, s13, exec_lo
	s_and_b32 s17, vcc_lo, exec_lo
	s_delay_alu instid0(SALU_CYCLE_1)
	s_or_b32 s13, s13, s17
	s_or_b32 exec_lo, exec_lo, s31
	s_and_saveexec_b32 s17, s13
	s_cbranch_execnz .LBB6_6445
	s_branch .LBB6_6446
.LBB6_7984:                             ;   in Loop: Header=BB6_5734 Depth=3
	s_mov_b32 s13, -1
	s_mov_b32 s34, exec_lo
                                        ; implicit-def: $sgpr17
	v_cmpx_eq_u16_e32 0x80, v62
; %bb.7985:                             ;   in Loop: Header=BB6_5734 Depth=3
	s_mov_b32 s17, 0x7f800001
	s_xor_b32 s13, exec_lo, -1
; %bb.7986:                             ;   in Loop: Header=BB6_5734 Depth=3
	s_or_b32 exec_lo, exec_lo, s34
	s_delay_alu instid0(SALU_CYCLE_1)
	s_and_b32 s13, s13, exec_lo
                                        ; implicit-def: $vgpr62
	s_or_saveexec_b32 s31, s31
	v_mov_b32_e32 v33, s17
	s_xor_b32 exec_lo, exec_lo, s31
	s_cbranch_execz .LBB6_6448
.LBB6_7987:                             ;   in Loop: Header=BB6_5734 Depth=3
	v_cmp_ne_u16_e32 vcc_lo, 0, v62
	v_mov_b32_e32 v33, 0
	s_and_not1_b32 s13, s13, exec_lo
	s_and_b32 s17, vcc_lo, exec_lo
	s_delay_alu instid0(SALU_CYCLE_1)
	s_or_b32 s13, s13, s17
	s_or_b32 exec_lo, exec_lo, s31
	s_and_saveexec_b32 s17, s13
	s_cbranch_execnz .LBB6_6449
	s_branch .LBB6_6450
.LBB6_7988:                             ;   in Loop: Header=BB6_5734 Depth=3
	s_mov_b32 s17, -1
	s_mov_b32 s34, exec_lo
                                        ; implicit-def: $sgpr31
	v_cmpx_eq_u16_e32 0x80, v62
; %bb.7989:                             ;   in Loop: Header=BB6_5734 Depth=3
	s_mov_b32 s31, 0x7f800001
	s_xor_b32 s17, exec_lo, -1
; %bb.7990:                             ;   in Loop: Header=BB6_5734 Depth=3
	s_or_b32 exec_lo, exec_lo, s34
	s_delay_alu instid0(SALU_CYCLE_1)
	s_and_b32 s17, s17, exec_lo
	s_or_saveexec_b32 s13, s13
	v_mov_b32_e32 v63, s31
	s_xor_b32 exec_lo, exec_lo, s13
	s_cbranch_execz .LBB6_6462
.LBB6_7991:                             ;   in Loop: Header=BB6_5734 Depth=3
	v_cmp_ne_u16_e32 vcc_lo, 0, v62
	v_mov_b32_e32 v63, 0
	s_and_not1_b32 s17, s17, exec_lo
	s_and_b32 vcc_lo, vcc_lo, exec_lo
	s_delay_alu instid0(SALU_CYCLE_1)
	s_or_b32 s17, s17, vcc_lo
	s_or_b32 exec_lo, exec_lo, s13
	s_and_saveexec_b32 s13, s17
	s_cbranch_execnz .LBB6_6463
	s_branch .LBB6_6464
.LBB6_7992:                             ;   in Loop: Header=BB6_5734 Depth=3
	s_mov_b32 s13, -1
	s_mov_b32 s34, exec_lo
                                        ; implicit-def: $sgpr17
	v_cmpx_eq_u16_e32 0x80, v61
; %bb.7993:                             ;   in Loop: Header=BB6_5734 Depth=3
	s_mov_b32 s17, 0x7f800001
	s_xor_b32 s13, exec_lo, -1
; %bb.7994:                             ;   in Loop: Header=BB6_5734 Depth=3
	s_or_b32 exec_lo, exec_lo, s34
	s_delay_alu instid0(SALU_CYCLE_1)
	s_and_b32 s13, s13, exec_lo
	s_or_saveexec_b32 s31, s31
	v_mov_b32_e32 v72, s17
	s_xor_b32 exec_lo, exec_lo, s31
	s_cbranch_execz .LBB6_6466
.LBB6_7995:                             ;   in Loop: Header=BB6_5734 Depth=3
	v_cmp_ne_u16_e32 vcc_lo, 0, v61
	v_mov_b32_e32 v72, 0
	s_and_not1_b32 s13, s13, exec_lo
	s_and_b32 s17, vcc_lo, exec_lo
	s_delay_alu instid0(SALU_CYCLE_1)
	s_or_b32 s13, s13, s17
	s_or_b32 exec_lo, exec_lo, s31
	s_and_saveexec_b32 s17, s13
	s_cbranch_execnz .LBB6_6467
	s_branch .LBB6_6468
.LBB6_7996:                             ;   in Loop: Header=BB6_5734 Depth=3
	s_mov_b32 s13, -1
	s_mov_b32 s34, exec_lo
                                        ; implicit-def: $sgpr17
	v_cmpx_eq_u16_e32 0x80, v62
; %bb.7997:                             ;   in Loop: Header=BB6_5734 Depth=3
	s_mov_b32 s17, 0x7f800001
	s_xor_b32 s13, exec_lo, -1
; %bb.7998:                             ;   in Loop: Header=BB6_5734 Depth=3
	s_or_b32 exec_lo, exec_lo, s34
	s_delay_alu instid0(SALU_CYCLE_1)
	s_and_b32 s13, s13, exec_lo
	s_or_saveexec_b32 s31, s31
	v_mov_b32_e32 v63, s17
	s_xor_b32 exec_lo, exec_lo, s31
	s_cbranch_execz .LBB6_6473
.LBB6_7999:                             ;   in Loop: Header=BB6_5734 Depth=3
	v_cmp_ne_u16_e32 vcc_lo, 0, v62
	v_mov_b32_e32 v63, 0
	s_and_not1_b32 s13, s13, exec_lo
	s_and_b32 s17, vcc_lo, exec_lo
	s_delay_alu instid0(SALU_CYCLE_1)
	s_or_b32 s13, s13, s17
	s_or_b32 exec_lo, exec_lo, s31
	s_and_saveexec_b32 s17, s13
	s_cbranch_execnz .LBB6_6474
	s_branch .LBB6_6475
.LBB6_8000:                             ;   in Loop: Header=BB6_5734 Depth=3
	s_mov_b32 s13, -1
	s_mov_b32 s34, exec_lo
                                        ; implicit-def: $sgpr17
	v_cmpx_eq_u16_e32 0x80, v61
; %bb.8001:                             ;   in Loop: Header=BB6_5734 Depth=3
	s_mov_b32 s17, 0x7f800001
	s_xor_b32 s13, exec_lo, -1
; %bb.8002:                             ;   in Loop: Header=BB6_5734 Depth=3
	s_or_b32 exec_lo, exec_lo, s34
	s_delay_alu instid0(SALU_CYCLE_1)
	s_and_b32 s13, s13, exec_lo
	s_or_saveexec_b32 s31, s31
	v_mov_b32_e32 v62, s17
	s_xor_b32 exec_lo, exec_lo, s31
	s_cbranch_execz .LBB6_6477
.LBB6_8003:                             ;   in Loop: Header=BB6_5734 Depth=3
	v_cmp_ne_u16_e32 vcc_lo, 0, v61
	v_mov_b32_e32 v62, 0
	s_and_not1_b32 s13, s13, exec_lo
	s_and_b32 s17, vcc_lo, exec_lo
	s_delay_alu instid0(SALU_CYCLE_1)
	s_or_b32 s13, s13, s17
	s_or_b32 exec_lo, exec_lo, s31
	s_and_saveexec_b32 s17, s13
	s_cbranch_execnz .LBB6_6478
	s_branch .LBB6_6479
.LBB6_8004:                             ;   in Loop: Header=BB6_5734 Depth=3
	s_mov_b32 s17, -1
	s_mov_b32 s34, exec_lo
                                        ; implicit-def: $sgpr31
	v_cmpx_eq_u16_e32 0x80, v72
; %bb.8005:                             ;   in Loop: Header=BB6_5734 Depth=3
	s_mov_b32 s31, 0x7f800001
	s_xor_b32 s17, exec_lo, -1
; %bb.8006:                             ;   in Loop: Header=BB6_5734 Depth=3
	s_or_b32 exec_lo, exec_lo, s34
	s_delay_alu instid0(SALU_CYCLE_1)
	s_and_b32 s17, s17, exec_lo
	s_or_saveexec_b32 s13, s13
	v_mov_b32_e32 v73, s31
	s_xor_b32 exec_lo, exec_lo, s13
	s_cbranch_execz .LBB6_6491
.LBB6_8007:                             ;   in Loop: Header=BB6_5734 Depth=3
	v_cmp_ne_u16_e32 vcc_lo, 0, v72
	v_mov_b32_e32 v73, 0
	s_and_not1_b32 s17, s17, exec_lo
	s_and_b32 vcc_lo, vcc_lo, exec_lo
	s_delay_alu instid0(SALU_CYCLE_1)
	s_or_b32 s17, s17, vcc_lo
	s_or_b32 exec_lo, exec_lo, s13
	s_and_saveexec_b32 s13, s17
	s_cbranch_execnz .LBB6_6492
	s_branch .LBB6_6493
.LBB6_8008:                             ;   in Loop: Header=BB6_5734 Depth=3
	s_mov_b32 s13, -1
	s_mov_b32 s34, exec_lo
                                        ; implicit-def: $sgpr17
	v_cmpx_eq_u16_e32 0x80, v75
; %bb.8009:                             ;   in Loop: Header=BB6_5734 Depth=3
	s_mov_b32 s17, 0x7f800001
	s_xor_b32 s13, exec_lo, -1
; %bb.8010:                             ;   in Loop: Header=BB6_5734 Depth=3
	s_or_b32 exec_lo, exec_lo, s34
	s_delay_alu instid0(SALU_CYCLE_1)
	s_and_b32 s13, s13, exec_lo
                                        ; implicit-def: $vgpr75
	s_or_saveexec_b32 s31, s31
	v_mov_b32_e32 v74, s17
	s_xor_b32 exec_lo, exec_lo, s31
	s_cbranch_execz .LBB6_6495
.LBB6_8011:                             ;   in Loop: Header=BB6_5734 Depth=3
	v_cmp_ne_u16_e32 vcc_lo, 0, v75
	v_mov_b32_e32 v74, 0
	s_and_not1_b32 s13, s13, exec_lo
	s_and_b32 s17, vcc_lo, exec_lo
	s_delay_alu instid0(SALU_CYCLE_1)
	s_or_b32 s13, s13, s17
	s_or_b32 exec_lo, exec_lo, s31
	s_and_saveexec_b32 s17, s13
	s_cbranch_execnz .LBB6_6496
	s_branch .LBB6_6497
.LBB6_8012:                             ;   in Loop: Header=BB6_5734 Depth=3
	s_mov_b32 s13, -1
	s_mov_b32 s34, exec_lo
                                        ; implicit-def: $sgpr17
	v_cmpx_eq_u16_e32 0x80, v72
; %bb.8013:                             ;   in Loop: Header=BB6_5734 Depth=3
	s_mov_b32 s17, 0x7f800001
	s_xor_b32 s13, exec_lo, -1
; %bb.8014:                             ;   in Loop: Header=BB6_5734 Depth=3
	s_or_b32 exec_lo, exec_lo, s34
	s_delay_alu instid0(SALU_CYCLE_1)
	s_and_b32 s13, s13, exec_lo
                                        ; implicit-def: $vgpr72
	s_or_saveexec_b32 s31, s31
	v_mov_b32_e32 v73, s17
	s_xor_b32 exec_lo, exec_lo, s31
	s_cbranch_execz .LBB6_6502
.LBB6_8015:                             ;   in Loop: Header=BB6_5734 Depth=3
	v_cmp_ne_u16_e32 vcc_lo, 0, v72
	v_mov_b32_e32 v73, 0
	s_and_not1_b32 s13, s13, exec_lo
	s_and_b32 s17, vcc_lo, exec_lo
	s_delay_alu instid0(SALU_CYCLE_1)
	s_or_b32 s13, s13, s17
	s_or_b32 exec_lo, exec_lo, s31
	s_and_saveexec_b32 s17, s13
	s_cbranch_execnz .LBB6_6503
	s_branch .LBB6_6504
.LBB6_8016:                             ;   in Loop: Header=BB6_5734 Depth=3
	s_mov_b32 s13, -1
	s_mov_b32 s34, exec_lo
                                        ; implicit-def: $sgpr17
	v_cmpx_eq_u16_e32 0x80, v72
; %bb.8017:                             ;   in Loop: Header=BB6_5734 Depth=3
	s_mov_b32 s17, 0x7f800001
	s_xor_b32 s13, exec_lo, -1
; %bb.8018:                             ;   in Loop: Header=BB6_5734 Depth=3
	s_or_b32 exec_lo, exec_lo, s34
	s_delay_alu instid0(SALU_CYCLE_1)
	s_and_b32 s13, s13, exec_lo
                                        ; implicit-def: $vgpr72
	s_or_saveexec_b32 s31, s31
	v_mov_b32_e32 v63, s17
	s_xor_b32 exec_lo, exec_lo, s31
	s_cbranch_execz .LBB6_6506
.LBB6_8019:                             ;   in Loop: Header=BB6_5734 Depth=3
	v_cmp_ne_u16_e32 vcc_lo, 0, v72
	v_mov_b32_e32 v63, 0
	s_and_not1_b32 s13, s13, exec_lo
	s_and_b32 s17, vcc_lo, exec_lo
	s_delay_alu instid0(SALU_CYCLE_1)
	s_or_b32 s13, s13, s17
	s_or_b32 exec_lo, exec_lo, s31
	s_and_saveexec_b32 s17, s13
	s_cbranch_execnz .LBB6_6507
	s_branch .LBB6_6508
.LBB6_8020:                             ;   in Loop: Header=BB6_5734 Depth=3
	s_mov_b32 s17, -1
	s_mov_b32 s34, exec_lo
                                        ; implicit-def: $sgpr31
	v_cmpx_eq_u16_e32 0x80, v72
; %bb.8021:                             ;   in Loop: Header=BB6_5734 Depth=3
	s_mov_b32 s31, 0x7f800001
	s_xor_b32 s17, exec_lo, -1
; %bb.8022:                             ;   in Loop: Header=BB6_5734 Depth=3
	s_or_b32 exec_lo, exec_lo, s34
	s_delay_alu instid0(SALU_CYCLE_1)
	s_and_b32 s17, s17, exec_lo
	s_or_saveexec_b32 s13, s13
	v_mov_b32_e32 v73, s31
	s_xor_b32 exec_lo, exec_lo, s13
	s_cbranch_execz .LBB6_6520
.LBB6_8023:                             ;   in Loop: Header=BB6_5734 Depth=3
	v_cmp_ne_u16_e32 vcc_lo, 0, v72
	v_mov_b32_e32 v73, 0
	s_and_not1_b32 s17, s17, exec_lo
	s_and_b32 vcc_lo, vcc_lo, exec_lo
	s_delay_alu instid0(SALU_CYCLE_1)
	s_or_b32 s17, s17, vcc_lo
	s_or_b32 exec_lo, exec_lo, s13
	s_and_saveexec_b32 s13, s17
	s_cbranch_execnz .LBB6_6521
	s_branch .LBB6_6522
.LBB6_8024:                             ;   in Loop: Header=BB6_5734 Depth=3
	s_mov_b32 s13, -1
	s_mov_b32 s34, exec_lo
                                        ; implicit-def: $sgpr17
	v_cmpx_eq_u16_e32 0x80, v63
; %bb.8025:                             ;   in Loop: Header=BB6_5734 Depth=3
	s_mov_b32 s17, 0x7f800001
	s_xor_b32 s13, exec_lo, -1
; %bb.8026:                             ;   in Loop: Header=BB6_5734 Depth=3
	s_or_b32 exec_lo, exec_lo, s34
	s_delay_alu instid0(SALU_CYCLE_1)
	s_and_b32 s13, s13, exec_lo
	s_or_saveexec_b32 s31, s31
	v_mov_b32_e32 v74, s17
	s_xor_b32 exec_lo, exec_lo, s31
	s_cbranch_execz .LBB6_6524
.LBB6_8027:                             ;   in Loop: Header=BB6_5734 Depth=3
	v_cmp_ne_u16_e32 vcc_lo, 0, v63
	v_mov_b32_e32 v74, 0
	s_and_not1_b32 s13, s13, exec_lo
	s_and_b32 s17, vcc_lo, exec_lo
	s_delay_alu instid0(SALU_CYCLE_1)
	s_or_b32 s13, s13, s17
	s_or_b32 exec_lo, exec_lo, s31
	s_and_saveexec_b32 s17, s13
	s_cbranch_execnz .LBB6_6525
	s_branch .LBB6_6526
.LBB6_8028:                             ;   in Loop: Header=BB6_5734 Depth=3
	s_mov_b32 s13, -1
	s_mov_b32 s34, exec_lo
                                        ; implicit-def: $sgpr17
	v_cmpx_eq_u16_e32 0x80, v72
; %bb.8029:                             ;   in Loop: Header=BB6_5734 Depth=3
	s_mov_b32 s17, 0x7f800001
	s_xor_b32 s13, exec_lo, -1
; %bb.8030:                             ;   in Loop: Header=BB6_5734 Depth=3
	s_or_b32 exec_lo, exec_lo, s34
	s_delay_alu instid0(SALU_CYCLE_1)
	s_and_b32 s13, s13, exec_lo
	s_or_saveexec_b32 s31, s31
	v_mov_b32_e32 v73, s17
	s_xor_b32 exec_lo, exec_lo, s31
	s_cbranch_execz .LBB6_6531
.LBB6_8031:                             ;   in Loop: Header=BB6_5734 Depth=3
	v_cmp_ne_u16_e32 vcc_lo, 0, v72
	v_mov_b32_e32 v73, 0
	s_and_not1_b32 s13, s13, exec_lo
	s_and_b32 s17, vcc_lo, exec_lo
	s_delay_alu instid0(SALU_CYCLE_1)
	s_or_b32 s13, s13, s17
	s_or_b32 exec_lo, exec_lo, s31
	s_and_saveexec_b32 s17, s13
	s_cbranch_execnz .LBB6_6532
	s_branch .LBB6_6533
.LBB6_8032:                             ;   in Loop: Header=BB6_5734 Depth=3
	s_mov_b32 s13, -1
	s_mov_b32 s34, exec_lo
                                        ; implicit-def: $sgpr17
	v_cmpx_eq_u16_e32 0x80, v63
; %bb.8033:                             ;   in Loop: Header=BB6_5734 Depth=3
	s_mov_b32 s17, 0x7f800001
	s_xor_b32 s13, exec_lo, -1
; %bb.8034:                             ;   in Loop: Header=BB6_5734 Depth=3
	s_or_b32 exec_lo, exec_lo, s34
	s_delay_alu instid0(SALU_CYCLE_1)
	s_and_b32 s13, s13, exec_lo
	s_or_saveexec_b32 s31, s31
	v_mov_b32_e32 v34, s17
	s_xor_b32 exec_lo, exec_lo, s31
	s_cbranch_execz .LBB6_6535
.LBB6_8035:                             ;   in Loop: Header=BB6_5734 Depth=3
	v_cmp_ne_u16_e32 vcc_lo, 0, v63
	v_mov_b32_e32 v34, 0
	s_and_not1_b32 s13, s13, exec_lo
	s_and_b32 s17, vcc_lo, exec_lo
	s_delay_alu instid0(SALU_CYCLE_1)
	s_or_b32 s13, s13, s17
	s_or_b32 exec_lo, exec_lo, s31
	s_and_saveexec_b32 s17, s13
	s_cbranch_execnz .LBB6_6536
	s_branch .LBB6_6537
.LBB6_8036:                             ;   in Loop: Header=BB6_5734 Depth=3
	s_mov_b32 s17, -1
	s_mov_b32 s34, exec_lo
                                        ; implicit-def: $sgpr31
	v_cmpx_eq_u16_e32 0x80, v34
; %bb.8037:                             ;   in Loop: Header=BB6_5734 Depth=3
	s_mov_b32 s31, 0x7f800001
	s_xor_b32 s17, exec_lo, -1
; %bb.8038:                             ;   in Loop: Header=BB6_5734 Depth=3
	s_or_b32 exec_lo, exec_lo, s34
	s_delay_alu instid0(SALU_CYCLE_1)
	s_and_b32 s17, s17, exec_lo
	s_or_saveexec_b32 s13, s13
	v_mov_b32_e32 v63, s31
	s_xor_b32 exec_lo, exec_lo, s13
	s_cbranch_execz .LBB6_6549
.LBB6_8039:                             ;   in Loop: Header=BB6_5734 Depth=3
	v_cmp_ne_u16_e32 vcc_lo, 0, v34
	v_mov_b32_e32 v63, 0
	s_and_not1_b32 s17, s17, exec_lo
	s_and_b32 vcc_lo, vcc_lo, exec_lo
	s_delay_alu instid0(SALU_CYCLE_1)
	s_or_b32 s17, s17, vcc_lo
	s_or_b32 exec_lo, exec_lo, s13
	s_and_saveexec_b32 s13, s17
	s_cbranch_execnz .LBB6_6550
	s_branch .LBB6_6551
.LBB6_8040:                             ;   in Loop: Header=BB6_5734 Depth=3
	s_mov_b32 s13, -1
	s_mov_b32 s34, exec_lo
                                        ; implicit-def: $sgpr17
	v_cmpx_eq_u16_e32 0x80, v73
; %bb.8041:                             ;   in Loop: Header=BB6_5734 Depth=3
	s_mov_b32 s17, 0x7f800001
	s_xor_b32 s13, exec_lo, -1
; %bb.8042:                             ;   in Loop: Header=BB6_5734 Depth=3
	s_or_b32 exec_lo, exec_lo, s34
	s_delay_alu instid0(SALU_CYCLE_1)
	s_and_b32 s13, s13, exec_lo
                                        ; implicit-def: $vgpr73
	s_or_saveexec_b32 s31, s31
	v_mov_b32_e32 v72, s17
	s_xor_b32 exec_lo, exec_lo, s31
	s_cbranch_execz .LBB6_6553
.LBB6_8043:                             ;   in Loop: Header=BB6_5734 Depth=3
	v_cmp_ne_u16_e32 vcc_lo, 0, v73
	v_mov_b32_e32 v72, 0
	s_and_not1_b32 s13, s13, exec_lo
	s_and_b32 s17, vcc_lo, exec_lo
	s_delay_alu instid0(SALU_CYCLE_1)
	s_or_b32 s13, s13, s17
	s_or_b32 exec_lo, exec_lo, s31
	s_and_saveexec_b32 s17, s13
	s_cbranch_execnz .LBB6_6554
	s_branch .LBB6_6555
.LBB6_8044:                             ;   in Loop: Header=BB6_5734 Depth=3
	s_mov_b32 s13, -1
	s_mov_b32 s34, exec_lo
                                        ; implicit-def: $sgpr17
	v_cmpx_eq_u16_e32 0x80, v34
; %bb.8045:                             ;   in Loop: Header=BB6_5734 Depth=3
	s_mov_b32 s17, 0x7f800001
	s_xor_b32 s13, exec_lo, -1
; %bb.8046:                             ;   in Loop: Header=BB6_5734 Depth=3
	s_or_b32 exec_lo, exec_lo, s34
	s_delay_alu instid0(SALU_CYCLE_1)
	s_and_b32 s13, s13, exec_lo
                                        ; implicit-def: $vgpr34
	s_or_saveexec_b32 s31, s31
	v_mov_b32_e32 v63, s17
	s_xor_b32 exec_lo, exec_lo, s31
	s_cbranch_execz .LBB6_6560
.LBB6_8047:                             ;   in Loop: Header=BB6_5734 Depth=3
	v_cmp_ne_u16_e32 vcc_lo, 0, v34
	v_mov_b32_e32 v63, 0
	s_and_not1_b32 s13, s13, exec_lo
	s_and_b32 s17, vcc_lo, exec_lo
	s_delay_alu instid0(SALU_CYCLE_1)
	s_or_b32 s13, s13, s17
	s_or_b32 exec_lo, exec_lo, s31
	s_and_saveexec_b32 s17, s13
	s_cbranch_execnz .LBB6_6561
	s_branch .LBB6_6562
.LBB6_8048:                             ;   in Loop: Header=BB6_5734 Depth=3
	s_mov_b32 s13, -1
	s_mov_b32 s34, exec_lo
                                        ; implicit-def: $sgpr17
	v_cmpx_eq_u16_e32 0x80, v72
; %bb.8049:                             ;   in Loop: Header=BB6_5734 Depth=3
	s_mov_b32 s17, 0x7f800001
	s_xor_b32 s13, exec_lo, -1
; %bb.8050:                             ;   in Loop: Header=BB6_5734 Depth=3
	s_or_b32 exec_lo, exec_lo, s34
	s_delay_alu instid0(SALU_CYCLE_1)
	s_and_b32 s13, s13, exec_lo
                                        ; implicit-def: $vgpr72
	s_or_saveexec_b32 s31, s31
	v_mov_b32_e32 v34, s17
	s_xor_b32 exec_lo, exec_lo, s31
	s_cbranch_execz .LBB6_6564
.LBB6_8051:                             ;   in Loop: Header=BB6_5734 Depth=3
	v_cmp_ne_u16_e32 vcc_lo, 0, v72
	v_mov_b32_e32 v34, 0
	s_and_not1_b32 s13, s13, exec_lo
	s_and_b32 s17, vcc_lo, exec_lo
	s_delay_alu instid0(SALU_CYCLE_1)
	s_or_b32 s13, s13, s17
	s_or_b32 exec_lo, exec_lo, s31
	s_and_saveexec_b32 s17, s13
	s_cbranch_execnz .LBB6_6565
	s_branch .LBB6_6566
.LBB6_8052:                             ;   in Loop: Header=BB6_5734 Depth=3
	s_mov_b32 s17, -1
	s_mov_b32 s34, exec_lo
                                        ; implicit-def: $sgpr31
	v_cmpx_eq_u16_e32 0x80, v72
; %bb.8053:                             ;   in Loop: Header=BB6_5734 Depth=3
	s_mov_b32 s31, 0x7f800001
	s_xor_b32 s17, exec_lo, -1
; %bb.8054:                             ;   in Loop: Header=BB6_5734 Depth=3
	s_or_b32 exec_lo, exec_lo, s34
	s_delay_alu instid0(SALU_CYCLE_1)
	s_and_b32 s17, s17, exec_lo
	s_or_saveexec_b32 s13, s13
	v_mov_b32_e32 v73, s31
	s_xor_b32 exec_lo, exec_lo, s13
	s_cbranch_execz .LBB6_6578
.LBB6_8055:                             ;   in Loop: Header=BB6_5734 Depth=3
	v_cmp_ne_u16_e32 vcc_lo, 0, v72
	v_mov_b32_e32 v73, 0
	s_and_not1_b32 s17, s17, exec_lo
	s_and_b32 vcc_lo, vcc_lo, exec_lo
	s_delay_alu instid0(SALU_CYCLE_1)
	s_or_b32 s17, s17, vcc_lo
	s_or_b32 exec_lo, exec_lo, s13
	s_and_saveexec_b32 s13, s17
	s_cbranch_execnz .LBB6_6579
	s_branch .LBB6_6580
.LBB6_8056:                             ;   in Loop: Header=BB6_5734 Depth=3
	s_mov_b32 s13, -1
	s_mov_b32 s34, exec_lo
                                        ; implicit-def: $sgpr17
	v_cmpx_eq_u16_e32 0x80, v63
; %bb.8057:                             ;   in Loop: Header=BB6_5734 Depth=3
	s_mov_b32 s17, 0x7f800001
	s_xor_b32 s13, exec_lo, -1
; %bb.8058:                             ;   in Loop: Header=BB6_5734 Depth=3
	s_or_b32 exec_lo, exec_lo, s34
	s_delay_alu instid0(SALU_CYCLE_1)
	s_and_b32 s13, s13, exec_lo
	s_or_saveexec_b32 s31, s31
	v_mov_b32_e32 v74, s17
	s_xor_b32 exec_lo, exec_lo, s31
	s_cbranch_execz .LBB6_6582
.LBB6_8059:                             ;   in Loop: Header=BB6_5734 Depth=3
	v_cmp_ne_u16_e32 vcc_lo, 0, v63
	v_mov_b32_e32 v74, 0
	s_and_not1_b32 s13, s13, exec_lo
	s_and_b32 s17, vcc_lo, exec_lo
	s_delay_alu instid0(SALU_CYCLE_1)
	s_or_b32 s13, s13, s17
	s_or_b32 exec_lo, exec_lo, s31
	s_and_saveexec_b32 s17, s13
	s_cbranch_execnz .LBB6_6583
	s_branch .LBB6_6584
.LBB6_8060:                             ;   in Loop: Header=BB6_5734 Depth=3
	s_mov_b32 s13, -1
	s_mov_b32 s34, exec_lo
                                        ; implicit-def: $sgpr17
	v_cmpx_eq_u16_e32 0x80, v72
; %bb.8061:                             ;   in Loop: Header=BB6_5734 Depth=3
	s_mov_b32 s17, 0x7f800001
	s_xor_b32 s13, exec_lo, -1
; %bb.8062:                             ;   in Loop: Header=BB6_5734 Depth=3
	s_or_b32 exec_lo, exec_lo, s34
	s_delay_alu instid0(SALU_CYCLE_1)
	s_and_b32 s13, s13, exec_lo
	s_or_saveexec_b32 s31, s31
	v_mov_b32_e32 v73, s17
	s_xor_b32 exec_lo, exec_lo, s31
	s_cbranch_execz .LBB6_6589
.LBB6_8063:                             ;   in Loop: Header=BB6_5734 Depth=3
	v_cmp_ne_u16_e32 vcc_lo, 0, v72
	v_mov_b32_e32 v73, 0
	s_and_not1_b32 s13, s13, exec_lo
	s_and_b32 s17, vcc_lo, exec_lo
	s_delay_alu instid0(SALU_CYCLE_1)
	s_or_b32 s13, s13, s17
	s_or_b32 exec_lo, exec_lo, s31
	s_and_saveexec_b32 s17, s13
	s_cbranch_execnz .LBB6_6590
	s_branch .LBB6_6591
.LBB6_8064:                             ;   in Loop: Header=BB6_5734 Depth=3
	s_mov_b32 s13, -1
	s_mov_b32 s34, exec_lo
                                        ; implicit-def: $sgpr17
	v_cmpx_eq_u16_e32 0x80, v63
; %bb.8065:                             ;   in Loop: Header=BB6_5734 Depth=3
	s_mov_b32 s17, 0x7f800001
	s_xor_b32 s13, exec_lo, -1
; %bb.8066:                             ;   in Loop: Header=BB6_5734 Depth=3
	s_or_b32 exec_lo, exec_lo, s34
	s_delay_alu instid0(SALU_CYCLE_1)
	s_and_b32 s13, s13, exec_lo
	s_or_saveexec_b32 s31, s31
	v_mov_b32_e32 v72, s17
	s_xor_b32 exec_lo, exec_lo, s31
	s_cbranch_execz .LBB6_6593
.LBB6_8067:                             ;   in Loop: Header=BB6_5734 Depth=3
	v_cmp_ne_u16_e32 vcc_lo, 0, v63
	v_mov_b32_e32 v72, 0
	s_and_not1_b32 s13, s13, exec_lo
	s_and_b32 s17, vcc_lo, exec_lo
	s_delay_alu instid0(SALU_CYCLE_1)
	s_or_b32 s13, s13, s17
	s_or_b32 exec_lo, exec_lo, s31
	s_and_saveexec_b32 s17, s13
	s_cbranch_execnz .LBB6_6594
	s_branch .LBB6_6595
.LBB6_8068:                             ;   in Loop: Header=BB6_5734 Depth=3
	s_mov_b32 s17, -1
	s_mov_b32 s34, exec_lo
                                        ; implicit-def: $sgpr31
	v_cmpx_eq_u16_e32 0x80, v74
; %bb.8069:                             ;   in Loop: Header=BB6_5734 Depth=3
	s_mov_b32 s31, 0x7f800001
	s_xor_b32 s17, exec_lo, -1
; %bb.8070:                             ;   in Loop: Header=BB6_5734 Depth=3
	s_or_b32 exec_lo, exec_lo, s34
	s_delay_alu instid0(SALU_CYCLE_1)
	s_and_b32 s17, s17, exec_lo
	s_or_saveexec_b32 s13, s13
	v_mov_b32_e32 v75, s31
	s_xor_b32 exec_lo, exec_lo, s13
	s_cbranch_execz .LBB6_6607
.LBB6_8071:                             ;   in Loop: Header=BB6_5734 Depth=3
	v_cmp_ne_u16_e32 vcc_lo, 0, v74
	v_mov_b32_e32 v75, 0
	s_and_not1_b32 s17, s17, exec_lo
	s_and_b32 vcc_lo, vcc_lo, exec_lo
	s_delay_alu instid0(SALU_CYCLE_1)
	s_or_b32 s17, s17, vcc_lo
	s_or_b32 exec_lo, exec_lo, s13
	s_and_saveexec_b32 s13, s17
	s_cbranch_execnz .LBB6_6608
	s_branch .LBB6_6609
.LBB6_8072:                             ;   in Loop: Header=BB6_5734 Depth=3
	s_mov_b32 s13, -1
	s_mov_b32 s34, exec_lo
                                        ; implicit-def: $sgpr17
	v_cmpx_eq_u16_e32 0x80, v77
; %bb.8073:                             ;   in Loop: Header=BB6_5734 Depth=3
	s_mov_b32 s17, 0x7f800001
	s_xor_b32 s13, exec_lo, -1
; %bb.8074:                             ;   in Loop: Header=BB6_5734 Depth=3
	s_or_b32 exec_lo, exec_lo, s34
	s_delay_alu instid0(SALU_CYCLE_1)
	s_and_b32 s13, s13, exec_lo
                                        ; implicit-def: $vgpr77
	s_or_saveexec_b32 s31, s31
	v_mov_b32_e32 v76, s17
	s_xor_b32 exec_lo, exec_lo, s31
	s_cbranch_execz .LBB6_6611
.LBB6_8075:                             ;   in Loop: Header=BB6_5734 Depth=3
	v_cmp_ne_u16_e32 vcc_lo, 0, v77
	v_mov_b32_e32 v76, 0
	s_and_not1_b32 s13, s13, exec_lo
	s_and_b32 s17, vcc_lo, exec_lo
	s_delay_alu instid0(SALU_CYCLE_1)
	s_or_b32 s13, s13, s17
	s_or_b32 exec_lo, exec_lo, s31
	s_and_saveexec_b32 s17, s13
	s_cbranch_execnz .LBB6_6612
	s_branch .LBB6_6613
.LBB6_8076:                             ;   in Loop: Header=BB6_5734 Depth=3
	s_mov_b32 s13, -1
	s_mov_b32 s34, exec_lo
                                        ; implicit-def: $sgpr17
	v_cmpx_eq_u16_e32 0x80, v74
; %bb.8077:                             ;   in Loop: Header=BB6_5734 Depth=3
	s_mov_b32 s17, 0x7f800001
	s_xor_b32 s13, exec_lo, -1
; %bb.8078:                             ;   in Loop: Header=BB6_5734 Depth=3
	s_or_b32 exec_lo, exec_lo, s34
	s_delay_alu instid0(SALU_CYCLE_1)
	s_and_b32 s13, s13, exec_lo
                                        ; implicit-def: $vgpr74
	s_or_saveexec_b32 s31, s31
	v_mov_b32_e32 v75, s17
	s_xor_b32 exec_lo, exec_lo, s31
	s_cbranch_execz .LBB6_6618
.LBB6_8079:                             ;   in Loop: Header=BB6_5734 Depth=3
	v_cmp_ne_u16_e32 vcc_lo, 0, v74
	v_mov_b32_e32 v75, 0
	s_and_not1_b32 s13, s13, exec_lo
	s_and_b32 s17, vcc_lo, exec_lo
	s_delay_alu instid0(SALU_CYCLE_1)
	s_or_b32 s13, s13, s17
	s_or_b32 exec_lo, exec_lo, s31
	s_and_saveexec_b32 s17, s13
	s_cbranch_execnz .LBB6_6619
	s_branch .LBB6_6620
.LBB6_8080:                             ;   in Loop: Header=BB6_5734 Depth=3
	s_mov_b32 s13, -1
	s_mov_b32 s34, exec_lo
                                        ; implicit-def: $sgpr17
	v_cmpx_eq_u16_e32 0x80, v74
; %bb.8081:                             ;   in Loop: Header=BB6_5734 Depth=3
	s_mov_b32 s17, 0x7f800001
	s_xor_b32 s13, exec_lo, -1
; %bb.8082:                             ;   in Loop: Header=BB6_5734 Depth=3
	s_or_b32 exec_lo, exec_lo, s34
	s_delay_alu instid0(SALU_CYCLE_1)
	s_and_b32 s13, s13, exec_lo
                                        ; implicit-def: $vgpr74
	s_or_saveexec_b32 s31, s31
	v_mov_b32_e32 v73, s17
	s_xor_b32 exec_lo, exec_lo, s31
	s_cbranch_execz .LBB6_6622
.LBB6_8083:                             ;   in Loop: Header=BB6_5734 Depth=3
	v_cmp_ne_u16_e32 vcc_lo, 0, v74
	v_mov_b32_e32 v73, 0
	s_and_not1_b32 s13, s13, exec_lo
	s_and_b32 s17, vcc_lo, exec_lo
	s_delay_alu instid0(SALU_CYCLE_1)
	s_or_b32 s13, s13, s17
	s_or_b32 exec_lo, exec_lo, s31
	s_and_saveexec_b32 s17, s13
	s_cbranch_execnz .LBB6_6623
	s_branch .LBB6_6624
.LBB6_8084:                             ;   in Loop: Header=BB6_5734 Depth=3
	s_mov_b32 s17, -1
	s_mov_b32 s34, exec_lo
                                        ; implicit-def: $sgpr31
	v_cmpx_eq_u16_e32 0x80, v74
; %bb.8085:                             ;   in Loop: Header=BB6_5734 Depth=3
	s_mov_b32 s31, 0x7f800001
	s_xor_b32 s17, exec_lo, -1
; %bb.8086:                             ;   in Loop: Header=BB6_5734 Depth=3
	s_or_b32 exec_lo, exec_lo, s34
	s_delay_alu instid0(SALU_CYCLE_1)
	s_and_b32 s17, s17, exec_lo
	s_or_saveexec_b32 s13, s13
	v_mov_b32_e32 v75, s31
	s_xor_b32 exec_lo, exec_lo, s13
	s_cbranch_execz .LBB6_6636
.LBB6_8087:                             ;   in Loop: Header=BB6_5734 Depth=3
	v_cmp_ne_u16_e32 vcc_lo, 0, v74
	v_mov_b32_e32 v75, 0
	s_and_not1_b32 s17, s17, exec_lo
	s_and_b32 vcc_lo, vcc_lo, exec_lo
	s_delay_alu instid0(SALU_CYCLE_1)
	s_or_b32 s17, s17, vcc_lo
	s_or_b32 exec_lo, exec_lo, s13
	s_and_saveexec_b32 s13, s17
	s_cbranch_execnz .LBB6_6637
	s_branch .LBB6_6638
.LBB6_8088:                             ;   in Loop: Header=BB6_5734 Depth=3
	s_mov_b32 s13, -1
	s_mov_b32 s34, exec_lo
                                        ; implicit-def: $sgpr17
	v_cmpx_eq_u16_e32 0x80, v73
; %bb.8089:                             ;   in Loop: Header=BB6_5734 Depth=3
	s_mov_b32 s17, 0x7f800001
	s_xor_b32 s13, exec_lo, -1
; %bb.8090:                             ;   in Loop: Header=BB6_5734 Depth=3
	s_or_b32 exec_lo, exec_lo, s34
	s_delay_alu instid0(SALU_CYCLE_1)
	s_and_b32 s13, s13, exec_lo
	s_or_saveexec_b32 s31, s31
	v_mov_b32_e32 v76, s17
	s_xor_b32 exec_lo, exec_lo, s31
	s_cbranch_execz .LBB6_6640
.LBB6_8091:                             ;   in Loop: Header=BB6_5734 Depth=3
	v_cmp_ne_u16_e32 vcc_lo, 0, v73
	v_mov_b32_e32 v76, 0
	s_and_not1_b32 s13, s13, exec_lo
	s_and_b32 s17, vcc_lo, exec_lo
	s_delay_alu instid0(SALU_CYCLE_1)
	s_or_b32 s13, s13, s17
	s_or_b32 exec_lo, exec_lo, s31
	s_and_saveexec_b32 s17, s13
	s_cbranch_execnz .LBB6_6641
	s_branch .LBB6_6642
.LBB6_8092:                             ;   in Loop: Header=BB6_5734 Depth=3
	s_mov_b32 s13, -1
	s_mov_b32 s34, exec_lo
                                        ; implicit-def: $sgpr17
	v_cmpx_eq_u16_e32 0x80, v74
; %bb.8093:                             ;   in Loop: Header=BB6_5734 Depth=3
	s_mov_b32 s17, 0x7f800001
	s_xor_b32 s13, exec_lo, -1
; %bb.8094:                             ;   in Loop: Header=BB6_5734 Depth=3
	s_or_b32 exec_lo, exec_lo, s34
	s_delay_alu instid0(SALU_CYCLE_1)
	s_and_b32 s13, s13, exec_lo
	s_or_saveexec_b32 s31, s31
	v_mov_b32_e32 v75, s17
	s_xor_b32 exec_lo, exec_lo, s31
	s_cbranch_execz .LBB6_6647
.LBB6_8095:                             ;   in Loop: Header=BB6_5734 Depth=3
	v_cmp_ne_u16_e32 vcc_lo, 0, v74
	v_mov_b32_e32 v75, 0
	s_and_not1_b32 s13, s13, exec_lo
	s_and_b32 s17, vcc_lo, exec_lo
	s_delay_alu instid0(SALU_CYCLE_1)
	s_or_b32 s13, s13, s17
	s_or_b32 exec_lo, exec_lo, s31
	s_and_saveexec_b32 s17, s13
	s_cbranch_execnz .LBB6_6648
	s_branch .LBB6_6649
.LBB6_8096:                             ;   in Loop: Header=BB6_5734 Depth=3
	s_mov_b32 s13, -1
	s_mov_b32 s34, exec_lo
                                        ; implicit-def: $sgpr17
	v_cmpx_eq_u16_e32 0x80, v73
; %bb.8097:                             ;   in Loop: Header=BB6_5734 Depth=3
	s_mov_b32 s17, 0x7f800001
	s_xor_b32 s13, exec_lo, -1
; %bb.8098:                             ;   in Loop: Header=BB6_5734 Depth=3
	s_or_b32 exec_lo, exec_lo, s34
	s_delay_alu instid0(SALU_CYCLE_1)
	s_and_b32 s13, s13, exec_lo
	s_or_saveexec_b32 s31, s31
	v_mov_b32_e32 v35, s17
	s_xor_b32 exec_lo, exec_lo, s31
	s_cbranch_execz .LBB6_6651
.LBB6_8099:                             ;   in Loop: Header=BB6_5734 Depth=3
	v_cmp_ne_u16_e32 vcc_lo, 0, v73
	v_mov_b32_e32 v35, 0
	s_and_not1_b32 s13, s13, exec_lo
	s_and_b32 s17, vcc_lo, exec_lo
	s_delay_alu instid0(SALU_CYCLE_1)
	s_or_b32 s13, s13, s17
	s_or_b32 exec_lo, exec_lo, s31
	s_and_saveexec_b32 s17, s13
	s_cbranch_execnz .LBB6_6652
	s_branch .LBB6_6653
.LBB6_8100:                             ;   in Loop: Header=BB6_5734 Depth=3
	s_mov_b32 s17, -1
	s_mov_b32 s34, exec_lo
                                        ; implicit-def: $sgpr31
	v_cmpx_eq_u16_e32 0x80, v35
; %bb.8101:                             ;   in Loop: Header=BB6_5734 Depth=3
	s_mov_b32 s31, 0x7f800001
	s_xor_b32 s17, exec_lo, -1
; %bb.8102:                             ;   in Loop: Header=BB6_5734 Depth=3
	s_or_b32 exec_lo, exec_lo, s34
	s_delay_alu instid0(SALU_CYCLE_1)
	s_and_b32 s17, s17, exec_lo
	s_or_saveexec_b32 s13, s13
	v_mov_b32_e32 v73, s31
	s_xor_b32 exec_lo, exec_lo, s13
	s_cbranch_execz .LBB6_6665
.LBB6_8103:                             ;   in Loop: Header=BB6_5734 Depth=3
	v_cmp_ne_u16_e32 vcc_lo, 0, v35
	v_mov_b32_e32 v73, 0
	s_and_not1_b32 s17, s17, exec_lo
	s_and_b32 vcc_lo, vcc_lo, exec_lo
	s_delay_alu instid0(SALU_CYCLE_1)
	s_or_b32 s17, s17, vcc_lo
	s_or_b32 exec_lo, exec_lo, s13
	s_and_saveexec_b32 s13, s17
	s_cbranch_execnz .LBB6_6666
	s_branch .LBB6_6667
.LBB6_8104:                             ;   in Loop: Header=BB6_5734 Depth=3
	s_mov_b32 s13, -1
	s_mov_b32 s34, exec_lo
                                        ; implicit-def: $sgpr17
	v_cmpx_eq_u16_e32 0x80, v75
; %bb.8105:                             ;   in Loop: Header=BB6_5734 Depth=3
	s_mov_b32 s17, 0x7f800001
	s_xor_b32 s13, exec_lo, -1
; %bb.8106:                             ;   in Loop: Header=BB6_5734 Depth=3
	s_or_b32 exec_lo, exec_lo, s34
	s_delay_alu instid0(SALU_CYCLE_1)
	s_and_b32 s13, s13, exec_lo
                                        ; implicit-def: $vgpr75
	s_or_saveexec_b32 s31, s31
	v_mov_b32_e32 v74, s17
	s_xor_b32 exec_lo, exec_lo, s31
	s_cbranch_execz .LBB6_6669
.LBB6_8107:                             ;   in Loop: Header=BB6_5734 Depth=3
	v_cmp_ne_u16_e32 vcc_lo, 0, v75
	v_mov_b32_e32 v74, 0
	s_and_not1_b32 s13, s13, exec_lo
	s_and_b32 s17, vcc_lo, exec_lo
	s_delay_alu instid0(SALU_CYCLE_1)
	s_or_b32 s13, s13, s17
	s_or_b32 exec_lo, exec_lo, s31
	s_and_saveexec_b32 s17, s13
	s_cbranch_execnz .LBB6_6670
	s_branch .LBB6_6671
.LBB6_8108:                             ;   in Loop: Header=BB6_5734 Depth=3
	s_mov_b32 s13, -1
	s_mov_b32 s34, exec_lo
                                        ; implicit-def: $sgpr17
	v_cmpx_eq_u16_e32 0x80, v35
; %bb.8109:                             ;   in Loop: Header=BB6_5734 Depth=3
	s_mov_b32 s17, 0x7f800001
	s_xor_b32 s13, exec_lo, -1
; %bb.8110:                             ;   in Loop: Header=BB6_5734 Depth=3
	s_or_b32 exec_lo, exec_lo, s34
	s_delay_alu instid0(SALU_CYCLE_1)
	s_and_b32 s13, s13, exec_lo
                                        ; implicit-def: $vgpr35
	s_or_saveexec_b32 s31, s31
	v_mov_b32_e32 v73, s17
	s_xor_b32 exec_lo, exec_lo, s31
	s_cbranch_execz .LBB6_6676
.LBB6_8111:                             ;   in Loop: Header=BB6_5734 Depth=3
	v_cmp_ne_u16_e32 vcc_lo, 0, v35
	v_mov_b32_e32 v73, 0
	s_and_not1_b32 s13, s13, exec_lo
	s_and_b32 s17, vcc_lo, exec_lo
	s_delay_alu instid0(SALU_CYCLE_1)
	s_or_b32 s13, s13, s17
	s_or_b32 exec_lo, exec_lo, s31
	s_and_saveexec_b32 s17, s13
	s_cbranch_execnz .LBB6_6677
	s_branch .LBB6_6678
.LBB6_8112:                             ;   in Loop: Header=BB6_5734 Depth=3
	s_mov_b32 s13, -1
	s_mov_b32 s34, exec_lo
                                        ; implicit-def: $sgpr17
	v_cmpx_eq_u16_e32 0x80, v74
; %bb.8113:                             ;   in Loop: Header=BB6_5734 Depth=3
	s_mov_b32 s17, 0x7f800001
	s_xor_b32 s13, exec_lo, -1
; %bb.8114:                             ;   in Loop: Header=BB6_5734 Depth=3
	s_or_b32 exec_lo, exec_lo, s34
	s_delay_alu instid0(SALU_CYCLE_1)
	s_and_b32 s13, s13, exec_lo
                                        ; implicit-def: $vgpr74
	s_or_saveexec_b32 s31, s31
	v_mov_b32_e32 v35, s17
	s_xor_b32 exec_lo, exec_lo, s31
	s_cbranch_execz .LBB6_6680
.LBB6_8115:                             ;   in Loop: Header=BB6_5734 Depth=3
	v_cmp_ne_u16_e32 vcc_lo, 0, v74
	v_mov_b32_e32 v35, 0
	s_and_not1_b32 s13, s13, exec_lo
	s_and_b32 s17, vcc_lo, exec_lo
	s_delay_alu instid0(SALU_CYCLE_1)
	s_or_b32 s13, s13, s17
	s_or_b32 exec_lo, exec_lo, s31
	s_and_saveexec_b32 s17, s13
	s_cbranch_execnz .LBB6_6681
	s_branch .LBB6_6682
.LBB6_8116:                             ;   in Loop: Header=BB6_5734 Depth=3
	s_mov_b32 s17, -1
	s_mov_b32 s34, exec_lo
                                        ; implicit-def: $sgpr31
	v_cmpx_eq_u16_e32 0x80, v74
; %bb.8117:                             ;   in Loop: Header=BB6_5734 Depth=3
	s_mov_b32 s31, 0x7f800001
	s_xor_b32 s17, exec_lo, -1
; %bb.8118:                             ;   in Loop: Header=BB6_5734 Depth=3
	s_or_b32 exec_lo, exec_lo, s34
	s_delay_alu instid0(SALU_CYCLE_1)
	s_and_b32 s17, s17, exec_lo
	s_or_saveexec_b32 s13, s13
	v_mov_b32_e32 v75, s31
	s_xor_b32 exec_lo, exec_lo, s13
	s_cbranch_execz .LBB6_6694
.LBB6_8119:                             ;   in Loop: Header=BB6_5734 Depth=3
	v_cmp_ne_u16_e32 vcc_lo, 0, v74
	v_mov_b32_e32 v75, 0
	s_and_not1_b32 s17, s17, exec_lo
	s_and_b32 vcc_lo, vcc_lo, exec_lo
	s_delay_alu instid0(SALU_CYCLE_1)
	s_or_b32 s17, s17, vcc_lo
	s_or_b32 exec_lo, exec_lo, s13
	s_and_saveexec_b32 s13, s17
	s_cbranch_execnz .LBB6_6695
	s_branch .LBB6_6696
.LBB6_8120:                             ;   in Loop: Header=BB6_5734 Depth=3
	s_mov_b32 s13, -1
	s_mov_b32 s34, exec_lo
                                        ; implicit-def: $sgpr17
	v_cmpx_eq_u16_e32 0x80, v73
; %bb.8121:                             ;   in Loop: Header=BB6_5734 Depth=3
	s_mov_b32 s17, 0x7f800001
	s_xor_b32 s13, exec_lo, -1
; %bb.8122:                             ;   in Loop: Header=BB6_5734 Depth=3
	s_or_b32 exec_lo, exec_lo, s34
	s_delay_alu instid0(SALU_CYCLE_1)
	s_and_b32 s13, s13, exec_lo
	s_or_saveexec_b32 s31, s31
	v_mov_b32_e32 v76, s17
	s_xor_b32 exec_lo, exec_lo, s31
	s_cbranch_execz .LBB6_6698
.LBB6_8123:                             ;   in Loop: Header=BB6_5734 Depth=3
	v_cmp_ne_u16_e32 vcc_lo, 0, v73
	v_mov_b32_e32 v76, 0
	s_and_not1_b32 s13, s13, exec_lo
	s_and_b32 s17, vcc_lo, exec_lo
	s_delay_alu instid0(SALU_CYCLE_1)
	s_or_b32 s13, s13, s17
	s_or_b32 exec_lo, exec_lo, s31
	s_and_saveexec_b32 s17, s13
	s_cbranch_execnz .LBB6_6699
	s_branch .LBB6_6700
.LBB6_8124:                             ;   in Loop: Header=BB6_5734 Depth=3
	s_mov_b32 s13, -1
	s_mov_b32 s34, exec_lo
                                        ; implicit-def: $sgpr17
	v_cmpx_eq_u16_e32 0x80, v74
; %bb.8125:                             ;   in Loop: Header=BB6_5734 Depth=3
	s_mov_b32 s17, 0x7f800001
	s_xor_b32 s13, exec_lo, -1
; %bb.8126:                             ;   in Loop: Header=BB6_5734 Depth=3
	s_or_b32 exec_lo, exec_lo, s34
	s_delay_alu instid0(SALU_CYCLE_1)
	s_and_b32 s13, s13, exec_lo
	s_or_saveexec_b32 s31, s31
	v_mov_b32_e32 v75, s17
	s_xor_b32 exec_lo, exec_lo, s31
	s_cbranch_execz .LBB6_6705
.LBB6_8127:                             ;   in Loop: Header=BB6_5734 Depth=3
	v_cmp_ne_u16_e32 vcc_lo, 0, v74
	v_mov_b32_e32 v75, 0
	s_and_not1_b32 s13, s13, exec_lo
	s_and_b32 s17, vcc_lo, exec_lo
	s_delay_alu instid0(SALU_CYCLE_1)
	s_or_b32 s13, s13, s17
	s_or_b32 exec_lo, exec_lo, s31
	s_and_saveexec_b32 s17, s13
	s_cbranch_execnz .LBB6_6706
	s_branch .LBB6_6707
.LBB6_8128:                             ;   in Loop: Header=BB6_5734 Depth=3
	s_mov_b32 s13, -1
	s_mov_b32 s34, exec_lo
                                        ; implicit-def: $sgpr17
	v_cmpx_eq_u16_e32 0x80, v73
; %bb.8129:                             ;   in Loop: Header=BB6_5734 Depth=3
	s_mov_b32 s17, 0x7f800001
	s_xor_b32 s13, exec_lo, -1
; %bb.8130:                             ;   in Loop: Header=BB6_5734 Depth=3
	s_or_b32 exec_lo, exec_lo, s34
	s_delay_alu instid0(SALU_CYCLE_1)
	s_and_b32 s13, s13, exec_lo
	s_or_saveexec_b32 s31, s31
	v_mov_b32_e32 v74, s17
	s_xor_b32 exec_lo, exec_lo, s31
	s_cbranch_execz .LBB6_6709
.LBB6_8131:                             ;   in Loop: Header=BB6_5734 Depth=3
	v_cmp_ne_u16_e32 vcc_lo, 0, v73
	v_mov_b32_e32 v74, 0
	s_and_not1_b32 s13, s13, exec_lo
	s_and_b32 s17, vcc_lo, exec_lo
	s_delay_alu instid0(SALU_CYCLE_1)
	s_or_b32 s13, s13, s17
	s_or_b32 exec_lo, exec_lo, s31
	s_and_saveexec_b32 s17, s13
	s_cbranch_execnz .LBB6_6710
	s_branch .LBB6_6711
.LBB6_8132:                             ;   in Loop: Header=BB6_5734 Depth=3
	s_mov_b32 s17, -1
	s_mov_b32 s34, exec_lo
                                        ; implicit-def: $sgpr31
	v_cmpx_eq_u16_e32 0x80, v76
; %bb.8133:                             ;   in Loop: Header=BB6_5734 Depth=3
	s_mov_b32 s31, 0x7f800001
	s_xor_b32 s17, exec_lo, -1
; %bb.8134:                             ;   in Loop: Header=BB6_5734 Depth=3
	s_or_b32 exec_lo, exec_lo, s34
	s_delay_alu instid0(SALU_CYCLE_1)
	s_and_b32 s17, s17, exec_lo
	s_or_saveexec_b32 s13, s13
	v_mov_b32_e32 v77, s31
	s_xor_b32 exec_lo, exec_lo, s13
	s_cbranch_execz .LBB6_6723
.LBB6_8135:                             ;   in Loop: Header=BB6_5734 Depth=3
	v_cmp_ne_u16_e32 vcc_lo, 0, v76
	v_mov_b32_e32 v77, 0
	s_and_not1_b32 s17, s17, exec_lo
	s_and_b32 vcc_lo, vcc_lo, exec_lo
	s_delay_alu instid0(SALU_CYCLE_1)
	s_or_b32 s17, s17, vcc_lo
	s_or_b32 exec_lo, exec_lo, s13
	s_and_saveexec_b32 s13, s17
	s_cbranch_execnz .LBB6_6724
	s_branch .LBB6_6725
.LBB6_8136:                             ;   in Loop: Header=BB6_5734 Depth=3
	s_mov_b32 s13, -1
	s_mov_b32 s34, exec_lo
                                        ; implicit-def: $sgpr17
	v_cmpx_eq_u16_e32 0x80, v79
; %bb.8137:                             ;   in Loop: Header=BB6_5734 Depth=3
	s_mov_b32 s17, 0x7f800001
	s_xor_b32 s13, exec_lo, -1
; %bb.8138:                             ;   in Loop: Header=BB6_5734 Depth=3
	s_or_b32 exec_lo, exec_lo, s34
	s_delay_alu instid0(SALU_CYCLE_1)
	s_and_b32 s13, s13, exec_lo
                                        ; implicit-def: $vgpr79
	s_or_saveexec_b32 s31, s31
	v_mov_b32_e32 v78, s17
	s_xor_b32 exec_lo, exec_lo, s31
	s_cbranch_execz .LBB6_6727
.LBB6_8139:                             ;   in Loop: Header=BB6_5734 Depth=3
	v_cmp_ne_u16_e32 vcc_lo, 0, v79
	v_mov_b32_e32 v78, 0
	s_and_not1_b32 s13, s13, exec_lo
	s_and_b32 s17, vcc_lo, exec_lo
	s_delay_alu instid0(SALU_CYCLE_1)
	s_or_b32 s13, s13, s17
	s_or_b32 exec_lo, exec_lo, s31
	s_and_saveexec_b32 s17, s13
	s_cbranch_execnz .LBB6_6728
	s_branch .LBB6_6729
.LBB6_8140:                             ;   in Loop: Header=BB6_5734 Depth=3
	s_mov_b32 s13, -1
	s_mov_b32 s34, exec_lo
                                        ; implicit-def: $sgpr17
	v_cmpx_eq_u16_e32 0x80, v76
; %bb.8141:                             ;   in Loop: Header=BB6_5734 Depth=3
	s_mov_b32 s17, 0x7f800001
	s_xor_b32 s13, exec_lo, -1
; %bb.8142:                             ;   in Loop: Header=BB6_5734 Depth=3
	s_or_b32 exec_lo, exec_lo, s34
	s_delay_alu instid0(SALU_CYCLE_1)
	s_and_b32 s13, s13, exec_lo
                                        ; implicit-def: $vgpr76
	s_or_saveexec_b32 s31, s31
	v_mov_b32_e32 v77, s17
	s_xor_b32 exec_lo, exec_lo, s31
	s_cbranch_execz .LBB6_6734
.LBB6_8143:                             ;   in Loop: Header=BB6_5734 Depth=3
	v_cmp_ne_u16_e32 vcc_lo, 0, v76
	v_mov_b32_e32 v77, 0
	s_and_not1_b32 s13, s13, exec_lo
	s_and_b32 s17, vcc_lo, exec_lo
	s_delay_alu instid0(SALU_CYCLE_1)
	s_or_b32 s13, s13, s17
	s_or_b32 exec_lo, exec_lo, s31
	s_and_saveexec_b32 s17, s13
	s_cbranch_execnz .LBB6_6735
	s_branch .LBB6_6736
.LBB6_8144:                             ;   in Loop: Header=BB6_5734 Depth=3
	s_mov_b32 s13, -1
	s_mov_b32 s34, exec_lo
                                        ; implicit-def: $sgpr17
	v_cmpx_eq_u16_e32 0x80, v76
; %bb.8145:                             ;   in Loop: Header=BB6_5734 Depth=3
	s_mov_b32 s17, 0x7f800001
	s_xor_b32 s13, exec_lo, -1
; %bb.8146:                             ;   in Loop: Header=BB6_5734 Depth=3
	s_or_b32 exec_lo, exec_lo, s34
	s_delay_alu instid0(SALU_CYCLE_1)
	s_and_b32 s13, s13, exec_lo
                                        ; implicit-def: $vgpr76
	s_or_saveexec_b32 s31, s31
	v_mov_b32_e32 v75, s17
	s_xor_b32 exec_lo, exec_lo, s31
	s_cbranch_execz .LBB6_6738
.LBB6_8147:                             ;   in Loop: Header=BB6_5734 Depth=3
	v_cmp_ne_u16_e32 vcc_lo, 0, v76
	v_mov_b32_e32 v75, 0
	s_and_not1_b32 s13, s13, exec_lo
	s_and_b32 s17, vcc_lo, exec_lo
	s_delay_alu instid0(SALU_CYCLE_1)
	s_or_b32 s13, s13, s17
	s_or_b32 exec_lo, exec_lo, s31
	s_and_saveexec_b32 s17, s13
	s_cbranch_execnz .LBB6_6739
	s_branch .LBB6_6740
.LBB6_8148:                             ;   in Loop: Header=BB6_5734 Depth=3
	s_mov_b32 s17, -1
	s_mov_b32 s34, exec_lo
                                        ; implicit-def: $sgpr31
	v_cmpx_eq_u16_e32 0x80, v76
; %bb.8149:                             ;   in Loop: Header=BB6_5734 Depth=3
	s_mov_b32 s31, 0x7f800001
	s_xor_b32 s17, exec_lo, -1
; %bb.8150:                             ;   in Loop: Header=BB6_5734 Depth=3
	s_or_b32 exec_lo, exec_lo, s34
	s_delay_alu instid0(SALU_CYCLE_1)
	s_and_b32 s17, s17, exec_lo
	s_or_saveexec_b32 s13, s13
	v_mov_b32_e32 v77, s31
	s_xor_b32 exec_lo, exec_lo, s13
	s_cbranch_execz .LBB6_6752
.LBB6_8151:                             ;   in Loop: Header=BB6_5734 Depth=3
	v_cmp_ne_u16_e32 vcc_lo, 0, v76
	v_mov_b32_e32 v77, 0
	s_and_not1_b32 s17, s17, exec_lo
	s_and_b32 vcc_lo, vcc_lo, exec_lo
	s_delay_alu instid0(SALU_CYCLE_1)
	s_or_b32 s17, s17, vcc_lo
	s_or_b32 exec_lo, exec_lo, s13
	s_and_saveexec_b32 s13, s17
	s_cbranch_execnz .LBB6_6753
	s_branch .LBB6_6754
.LBB6_8152:                             ;   in Loop: Header=BB6_5734 Depth=3
	s_mov_b32 s13, -1
	s_mov_b32 s34, exec_lo
                                        ; implicit-def: $sgpr17
	v_cmpx_eq_u16_e32 0x80, v75
; %bb.8153:                             ;   in Loop: Header=BB6_5734 Depth=3
	s_mov_b32 s17, 0x7f800001
	s_xor_b32 s13, exec_lo, -1
; %bb.8154:                             ;   in Loop: Header=BB6_5734 Depth=3
	s_or_b32 exec_lo, exec_lo, s34
	s_delay_alu instid0(SALU_CYCLE_1)
	s_and_b32 s13, s13, exec_lo
	s_or_saveexec_b32 s31, s31
	v_mov_b32_e32 v78, s17
	s_xor_b32 exec_lo, exec_lo, s31
	s_cbranch_execz .LBB6_6756
.LBB6_8155:                             ;   in Loop: Header=BB6_5734 Depth=3
	v_cmp_ne_u16_e32 vcc_lo, 0, v75
	v_mov_b32_e32 v78, 0
	s_and_not1_b32 s13, s13, exec_lo
	s_and_b32 s17, vcc_lo, exec_lo
	s_delay_alu instid0(SALU_CYCLE_1)
	s_or_b32 s13, s13, s17
	s_or_b32 exec_lo, exec_lo, s31
	s_and_saveexec_b32 s17, s13
	s_cbranch_execnz .LBB6_6757
	s_branch .LBB6_6758
.LBB6_8156:                             ;   in Loop: Header=BB6_5734 Depth=3
	s_mov_b32 s13, -1
	s_mov_b32 s34, exec_lo
                                        ; implicit-def: $sgpr17
	v_cmpx_eq_u16_e32 0x80, v76
; %bb.8157:                             ;   in Loop: Header=BB6_5734 Depth=3
	s_mov_b32 s17, 0x7f800001
	s_xor_b32 s13, exec_lo, -1
; %bb.8158:                             ;   in Loop: Header=BB6_5734 Depth=3
	s_or_b32 exec_lo, exec_lo, s34
	s_delay_alu instid0(SALU_CYCLE_1)
	s_and_b32 s13, s13, exec_lo
	s_or_saveexec_b32 s31, s31
	v_mov_b32_e32 v77, s17
	s_xor_b32 exec_lo, exec_lo, s31
	s_cbranch_execz .LBB6_6763
.LBB6_8159:                             ;   in Loop: Header=BB6_5734 Depth=3
	v_cmp_ne_u16_e32 vcc_lo, 0, v76
	v_mov_b32_e32 v77, 0
	s_and_not1_b32 s13, s13, exec_lo
	s_and_b32 s17, vcc_lo, exec_lo
	s_delay_alu instid0(SALU_CYCLE_1)
	s_or_b32 s13, s13, s17
	s_or_b32 exec_lo, exec_lo, s31
	s_and_saveexec_b32 s17, s13
	s_cbranch_execnz .LBB6_6764
	s_branch .LBB6_6765
.LBB6_8160:                             ;   in Loop: Header=BB6_5734 Depth=3
	s_mov_b32 s13, -1
	s_mov_b32 s34, exec_lo
                                        ; implicit-def: $sgpr17
	v_cmpx_eq_u16_e32 0x80, v75
; %bb.8161:                             ;   in Loop: Header=BB6_5734 Depth=3
	s_mov_b32 s17, 0x7f800001
	s_xor_b32 s13, exec_lo, -1
; %bb.8162:                             ;   in Loop: Header=BB6_5734 Depth=3
	s_or_b32 exec_lo, exec_lo, s34
	s_delay_alu instid0(SALU_CYCLE_1)
	s_and_b32 s13, s13, exec_lo
	s_or_saveexec_b32 s31, s31
	v_mov_b32_e32 v20, s17
	s_xor_b32 exec_lo, exec_lo, s31
	s_cbranch_execz .LBB6_6767
.LBB6_8163:                             ;   in Loop: Header=BB6_5734 Depth=3
	v_cmp_ne_u16_e32 vcc_lo, 0, v75
	v_mov_b32_e32 v20, 0
	s_and_not1_b32 s13, s13, exec_lo
	s_and_b32 s17, vcc_lo, exec_lo
	s_delay_alu instid0(SALU_CYCLE_1)
	s_or_b32 s13, s13, s17
	s_or_b32 exec_lo, exec_lo, s31
	s_and_saveexec_b32 s17, s13
	s_cbranch_execnz .LBB6_6768
	s_branch .LBB6_6769
.LBB6_8164:                             ;   in Loop: Header=BB6_5734 Depth=3
	s_mov_b32 s17, -1
	s_mov_b32 s34, exec_lo
                                        ; implicit-def: $sgpr31
	v_cmpx_eq_u16_e32 0x80, v20
; %bb.8165:                             ;   in Loop: Header=BB6_5734 Depth=3
	s_mov_b32 s31, 0x7f800001
	s_xor_b32 s17, exec_lo, -1
; %bb.8166:                             ;   in Loop: Header=BB6_5734 Depth=3
	s_or_b32 exec_lo, exec_lo, s34
	s_delay_alu instid0(SALU_CYCLE_1)
	s_and_b32 s17, s17, exec_lo
	s_or_saveexec_b32 s13, s13
	v_mov_b32_e32 v75, s31
	s_xor_b32 exec_lo, exec_lo, s13
	s_cbranch_execz .LBB6_6781
.LBB6_8167:                             ;   in Loop: Header=BB6_5734 Depth=3
	v_cmp_ne_u16_e32 vcc_lo, 0, v20
	v_mov_b32_e32 v75, 0
	s_and_not1_b32 s17, s17, exec_lo
	s_and_b32 vcc_lo, vcc_lo, exec_lo
	s_delay_alu instid0(SALU_CYCLE_1)
	s_or_b32 s17, s17, vcc_lo
	s_or_b32 exec_lo, exec_lo, s13
	s_and_saveexec_b32 s13, s17
	s_cbranch_execnz .LBB6_6782
	s_branch .LBB6_6783
.LBB6_8168:                             ;   in Loop: Header=BB6_5734 Depth=3
	s_mov_b32 s13, -1
	s_mov_b32 s34, exec_lo
                                        ; implicit-def: $sgpr17
	v_cmpx_eq_u16_e32 0x80, v77
; %bb.8169:                             ;   in Loop: Header=BB6_5734 Depth=3
	s_mov_b32 s17, 0x7f800001
	s_xor_b32 s13, exec_lo, -1
; %bb.8170:                             ;   in Loop: Header=BB6_5734 Depth=3
	s_or_b32 exec_lo, exec_lo, s34
	s_delay_alu instid0(SALU_CYCLE_1)
	s_and_b32 s13, s13, exec_lo
                                        ; implicit-def: $vgpr77
	s_or_saveexec_b32 s31, s31
	v_mov_b32_e32 v76, s17
	s_xor_b32 exec_lo, exec_lo, s31
	s_cbranch_execz .LBB6_6785
.LBB6_8171:                             ;   in Loop: Header=BB6_5734 Depth=3
	v_cmp_ne_u16_e32 vcc_lo, 0, v77
	v_mov_b32_e32 v76, 0
	s_and_not1_b32 s13, s13, exec_lo
	s_and_b32 s17, vcc_lo, exec_lo
	s_delay_alu instid0(SALU_CYCLE_1)
	s_or_b32 s13, s13, s17
	s_or_b32 exec_lo, exec_lo, s31
	s_and_saveexec_b32 s17, s13
	s_cbranch_execnz .LBB6_6786
	s_branch .LBB6_6787
.LBB6_8172:                             ;   in Loop: Header=BB6_5734 Depth=3
	s_mov_b32 s13, -1
	s_mov_b32 s34, exec_lo
                                        ; implicit-def: $sgpr17
	v_cmpx_eq_u16_e32 0x80, v20
; %bb.8173:                             ;   in Loop: Header=BB6_5734 Depth=3
	s_mov_b32 s17, 0x7f800001
	s_xor_b32 s13, exec_lo, -1
; %bb.8174:                             ;   in Loop: Header=BB6_5734 Depth=3
	s_or_b32 exec_lo, exec_lo, s34
	s_delay_alu instid0(SALU_CYCLE_1)
	s_and_b32 s13, s13, exec_lo
                                        ; implicit-def: $vgpr20
	s_or_saveexec_b32 s31, s31
	v_mov_b32_e32 v75, s17
	s_xor_b32 exec_lo, exec_lo, s31
	s_cbranch_execz .LBB6_6792
.LBB6_8175:                             ;   in Loop: Header=BB6_5734 Depth=3
	v_cmp_ne_u16_e32 vcc_lo, 0, v20
	v_mov_b32_e32 v75, 0
	s_and_not1_b32 s13, s13, exec_lo
	s_and_b32 s17, vcc_lo, exec_lo
	s_delay_alu instid0(SALU_CYCLE_1)
	s_or_b32 s13, s13, s17
	s_or_b32 exec_lo, exec_lo, s31
	s_and_saveexec_b32 s17, s13
	s_cbranch_execnz .LBB6_6793
	s_branch .LBB6_6794
.LBB6_8176:                             ;   in Loop: Header=BB6_5734 Depth=3
	s_mov_b32 s13, -1
	s_mov_b32 s34, exec_lo
                                        ; implicit-def: $sgpr17
	v_cmpx_eq_u16_e32 0x80, v76
; %bb.8177:                             ;   in Loop: Header=BB6_5734 Depth=3
	s_mov_b32 s17, 0x7f800001
	s_xor_b32 s13, exec_lo, -1
; %bb.8178:                             ;   in Loop: Header=BB6_5734 Depth=3
	s_or_b32 exec_lo, exec_lo, s34
	s_delay_alu instid0(SALU_CYCLE_1)
	s_and_b32 s13, s13, exec_lo
                                        ; implicit-def: $vgpr76
	s_or_saveexec_b32 s31, s31
	v_mov_b32_e32 v20, s17
	s_xor_b32 exec_lo, exec_lo, s31
	s_cbranch_execz .LBB6_6796
.LBB6_8179:                             ;   in Loop: Header=BB6_5734 Depth=3
	v_cmp_ne_u16_e32 vcc_lo, 0, v76
	v_mov_b32_e32 v20, 0
	s_and_not1_b32 s13, s13, exec_lo
	s_and_b32 s17, vcc_lo, exec_lo
	s_delay_alu instid0(SALU_CYCLE_1)
	s_or_b32 s13, s13, s17
	s_or_b32 exec_lo, exec_lo, s31
	s_and_saveexec_b32 s17, s13
	s_cbranch_execnz .LBB6_6797
	s_branch .LBB6_6798
.LBB6_8180:                             ;   in Loop: Header=BB6_5734 Depth=3
	s_mov_b32 s17, -1
	s_mov_b32 s34, exec_lo
                                        ; implicit-def: $sgpr31
	v_cmpx_eq_u16_e32 0x80, v76
; %bb.8181:                             ;   in Loop: Header=BB6_5734 Depth=3
	s_mov_b32 s31, 0x7f800001
	s_xor_b32 s17, exec_lo, -1
; %bb.8182:                             ;   in Loop: Header=BB6_5734 Depth=3
	s_or_b32 exec_lo, exec_lo, s34
	s_delay_alu instid0(SALU_CYCLE_1)
	s_and_b32 s17, s17, exec_lo
	s_or_saveexec_b32 s13, s13
	v_mov_b32_e32 v77, s31
	s_xor_b32 exec_lo, exec_lo, s13
	s_cbranch_execz .LBB6_6810
.LBB6_8183:                             ;   in Loop: Header=BB6_5734 Depth=3
	v_cmp_ne_u16_e32 vcc_lo, 0, v76
	v_mov_b32_e32 v77, 0
	s_and_not1_b32 s17, s17, exec_lo
	s_and_b32 vcc_lo, vcc_lo, exec_lo
	s_delay_alu instid0(SALU_CYCLE_1)
	s_or_b32 s17, s17, vcc_lo
	s_or_b32 exec_lo, exec_lo, s13
	s_and_saveexec_b32 s13, s17
	s_cbranch_execnz .LBB6_6811
	s_branch .LBB6_6812
.LBB6_8184:                             ;   in Loop: Header=BB6_5734 Depth=3
	s_mov_b32 s13, -1
	s_mov_b32 s34, exec_lo
                                        ; implicit-def: $sgpr17
	v_cmpx_eq_u16_e32 0x80, v75
; %bb.8185:                             ;   in Loop: Header=BB6_5734 Depth=3
	s_mov_b32 s17, 0x7f800001
	s_xor_b32 s13, exec_lo, -1
; %bb.8186:                             ;   in Loop: Header=BB6_5734 Depth=3
	s_or_b32 exec_lo, exec_lo, s34
	s_delay_alu instid0(SALU_CYCLE_1)
	s_and_b32 s13, s13, exec_lo
	s_or_saveexec_b32 s31, s31
	v_mov_b32_e32 v78, s17
	s_xor_b32 exec_lo, exec_lo, s31
	s_cbranch_execz .LBB6_6814
.LBB6_8187:                             ;   in Loop: Header=BB6_5734 Depth=3
	v_cmp_ne_u16_e32 vcc_lo, 0, v75
	v_mov_b32_e32 v78, 0
	s_and_not1_b32 s13, s13, exec_lo
	s_and_b32 s17, vcc_lo, exec_lo
	s_delay_alu instid0(SALU_CYCLE_1)
	s_or_b32 s13, s13, s17
	s_or_b32 exec_lo, exec_lo, s31
	s_and_saveexec_b32 s17, s13
	s_cbranch_execnz .LBB6_6815
	s_branch .LBB6_6816
.LBB6_8188:                             ;   in Loop: Header=BB6_5734 Depth=3
	s_mov_b32 s13, -1
	s_mov_b32 s34, exec_lo
                                        ; implicit-def: $sgpr17
	v_cmpx_eq_u16_e32 0x80, v76
; %bb.8189:                             ;   in Loop: Header=BB6_5734 Depth=3
	s_mov_b32 s17, 0x7f800001
	s_xor_b32 s13, exec_lo, -1
; %bb.8190:                             ;   in Loop: Header=BB6_5734 Depth=3
	s_or_b32 exec_lo, exec_lo, s34
	s_delay_alu instid0(SALU_CYCLE_1)
	s_and_b32 s13, s13, exec_lo
	s_or_saveexec_b32 s31, s31
	v_mov_b32_e32 v77, s17
	s_xor_b32 exec_lo, exec_lo, s31
	s_cbranch_execz .LBB6_6821
.LBB6_8191:                             ;   in Loop: Header=BB6_5734 Depth=3
	v_cmp_ne_u16_e32 vcc_lo, 0, v76
	v_mov_b32_e32 v77, 0
	s_and_not1_b32 s13, s13, exec_lo
	s_and_b32 s17, vcc_lo, exec_lo
	s_delay_alu instid0(SALU_CYCLE_1)
	s_or_b32 s13, s13, s17
	s_or_b32 exec_lo, exec_lo, s31
	s_and_saveexec_b32 s17, s13
	s_cbranch_execnz .LBB6_6822
	s_branch .LBB6_6823
.LBB6_8192:                             ;   in Loop: Header=BB6_5734 Depth=3
	s_mov_b32 s13, -1
	s_mov_b32 s34, exec_lo
                                        ; implicit-def: $sgpr17
	v_cmpx_eq_u16_e32 0x80, v75
; %bb.8193:                             ;   in Loop: Header=BB6_5734 Depth=3
	s_mov_b32 s17, 0x7f800001
	s_xor_b32 s13, exec_lo, -1
; %bb.8194:                             ;   in Loop: Header=BB6_5734 Depth=3
	s_or_b32 exec_lo, exec_lo, s34
	s_delay_alu instid0(SALU_CYCLE_1)
	s_and_b32 s13, s13, exec_lo
	s_or_saveexec_b32 s31, s31
	v_mov_b32_e32 v76, s17
	s_xor_b32 exec_lo, exec_lo, s31
	s_cbranch_execz .LBB6_6825
.LBB6_8195:                             ;   in Loop: Header=BB6_5734 Depth=3
	v_cmp_ne_u16_e32 vcc_lo, 0, v75
	v_mov_b32_e32 v76, 0
	s_and_not1_b32 s13, s13, exec_lo
	s_and_b32 s17, vcc_lo, exec_lo
	s_delay_alu instid0(SALU_CYCLE_1)
	s_or_b32 s13, s13, s17
	s_or_b32 exec_lo, exec_lo, s31
	s_and_saveexec_b32 s17, s13
	s_cbranch_execnz .LBB6_6826
	s_branch .LBB6_6827
.LBB6_8196:                             ;   in Loop: Header=BB6_5734 Depth=3
	s_mov_b32 s17, -1
	s_mov_b32 s34, exec_lo
                                        ; implicit-def: $sgpr31
	v_cmpx_eq_u16_e32 0x80, v78
; %bb.8197:                             ;   in Loop: Header=BB6_5734 Depth=3
	s_mov_b32 s31, 0x7f800001
	s_xor_b32 s17, exec_lo, -1
; %bb.8198:                             ;   in Loop: Header=BB6_5734 Depth=3
	s_or_b32 exec_lo, exec_lo, s34
	s_delay_alu instid0(SALU_CYCLE_1)
	s_and_b32 s17, s17, exec_lo
	s_or_saveexec_b32 s13, s13
	v_mov_b32_e32 v79, s31
	s_xor_b32 exec_lo, exec_lo, s13
	s_cbranch_execz .LBB6_6839
.LBB6_8199:                             ;   in Loop: Header=BB6_5734 Depth=3
	v_cmp_ne_u16_e32 vcc_lo, 0, v78
	v_mov_b32_e32 v79, 0
	s_and_not1_b32 s17, s17, exec_lo
	s_and_b32 vcc_lo, vcc_lo, exec_lo
	s_delay_alu instid0(SALU_CYCLE_1)
	s_or_b32 s17, s17, vcc_lo
	s_or_b32 exec_lo, exec_lo, s13
	s_and_saveexec_b32 s13, s17
	s_cbranch_execnz .LBB6_6840
	s_branch .LBB6_6841
.LBB6_8200:                             ;   in Loop: Header=BB6_5734 Depth=3
	s_mov_b32 s13, -1
	s_mov_b32 s34, exec_lo
                                        ; implicit-def: $sgpr17
	v_cmpx_eq_u16_e32 0x80, v89
; %bb.8201:                             ;   in Loop: Header=BB6_5734 Depth=3
	s_mov_b32 s17, 0x7f800001
	s_xor_b32 s13, exec_lo, -1
; %bb.8202:                             ;   in Loop: Header=BB6_5734 Depth=3
	s_or_b32 exec_lo, exec_lo, s34
	s_delay_alu instid0(SALU_CYCLE_1)
	s_and_b32 s13, s13, exec_lo
                                        ; implicit-def: $vgpr89
	s_or_saveexec_b32 s31, s31
	v_mov_b32_e32 v88, s17
	s_xor_b32 exec_lo, exec_lo, s31
	s_cbranch_execz .LBB6_6843
.LBB6_8203:                             ;   in Loop: Header=BB6_5734 Depth=3
	v_cmp_ne_u16_e32 vcc_lo, 0, v89
	v_mov_b32_e32 v88, 0
	s_and_not1_b32 s13, s13, exec_lo
	s_and_b32 s17, vcc_lo, exec_lo
	s_delay_alu instid0(SALU_CYCLE_1)
	s_or_b32 s13, s13, s17
	s_or_b32 exec_lo, exec_lo, s31
	s_and_saveexec_b32 s17, s13
	s_cbranch_execnz .LBB6_6844
	s_branch .LBB6_6845
.LBB6_8204:                             ;   in Loop: Header=BB6_5734 Depth=3
	s_mov_b32 s13, -1
	s_mov_b32 s34, exec_lo
                                        ; implicit-def: $sgpr17
	v_cmpx_eq_u16_e32 0x80, v78
; %bb.8205:                             ;   in Loop: Header=BB6_5734 Depth=3
	s_mov_b32 s17, 0x7f800001
	s_xor_b32 s13, exec_lo, -1
; %bb.8206:                             ;   in Loop: Header=BB6_5734 Depth=3
	s_or_b32 exec_lo, exec_lo, s34
	s_delay_alu instid0(SALU_CYCLE_1)
	s_and_b32 s13, s13, exec_lo
                                        ; implicit-def: $vgpr78
	s_or_saveexec_b32 s31, s31
	v_mov_b32_e32 v79, s17
	s_xor_b32 exec_lo, exec_lo, s31
	s_cbranch_execz .LBB6_6850
.LBB6_8207:                             ;   in Loop: Header=BB6_5734 Depth=3
	v_cmp_ne_u16_e32 vcc_lo, 0, v78
	v_mov_b32_e32 v79, 0
	s_and_not1_b32 s13, s13, exec_lo
	s_and_b32 s17, vcc_lo, exec_lo
	s_delay_alu instid0(SALU_CYCLE_1)
	s_or_b32 s13, s13, s17
	s_or_b32 exec_lo, exec_lo, s31
	s_and_saveexec_b32 s17, s13
	s_cbranch_execnz .LBB6_6851
	s_branch .LBB6_6852
.LBB6_8208:                             ;   in Loop: Header=BB6_5734 Depth=3
	s_mov_b32 s13, -1
	s_mov_b32 s34, exec_lo
                                        ; implicit-def: $sgpr17
	v_cmpx_eq_u16_e32 0x80, v78
; %bb.8209:                             ;   in Loop: Header=BB6_5734 Depth=3
	s_mov_b32 s17, 0x7f800001
	s_xor_b32 s13, exec_lo, -1
; %bb.8210:                             ;   in Loop: Header=BB6_5734 Depth=3
	s_or_b32 exec_lo, exec_lo, s34
	s_delay_alu instid0(SALU_CYCLE_1)
	s_and_b32 s13, s13, exec_lo
                                        ; implicit-def: $vgpr78
	s_or_saveexec_b32 s31, s31
	v_mov_b32_e32 v77, s17
	s_xor_b32 exec_lo, exec_lo, s31
	s_cbranch_execz .LBB6_6854
.LBB6_8211:                             ;   in Loop: Header=BB6_5734 Depth=3
	v_cmp_ne_u16_e32 vcc_lo, 0, v78
	v_mov_b32_e32 v77, 0
	s_and_not1_b32 s13, s13, exec_lo
	s_and_b32 s17, vcc_lo, exec_lo
	s_delay_alu instid0(SALU_CYCLE_1)
	s_or_b32 s13, s13, s17
	s_or_b32 exec_lo, exec_lo, s31
	s_and_saveexec_b32 s17, s13
	s_cbranch_execnz .LBB6_6855
	s_branch .LBB6_6856
.LBB6_8212:                             ;   in Loop: Header=BB6_5734 Depth=3
	s_mov_b32 s17, -1
	s_mov_b32 s34, exec_lo
                                        ; implicit-def: $sgpr31
	v_cmpx_eq_u16_e32 0x80, v78
; %bb.8213:                             ;   in Loop: Header=BB6_5734 Depth=3
	s_mov_b32 s31, 0x7f800001
	s_xor_b32 s17, exec_lo, -1
; %bb.8214:                             ;   in Loop: Header=BB6_5734 Depth=3
	s_or_b32 exec_lo, exec_lo, s34
	s_delay_alu instid0(SALU_CYCLE_1)
	s_and_b32 s17, s17, exec_lo
	s_or_saveexec_b32 s13, s13
	v_mov_b32_e32 v79, s31
	s_xor_b32 exec_lo, exec_lo, s13
	s_cbranch_execz .LBB6_6868
.LBB6_8215:                             ;   in Loop: Header=BB6_5734 Depth=3
	v_cmp_ne_u16_e32 vcc_lo, 0, v78
	v_mov_b32_e32 v79, 0
	s_and_not1_b32 s17, s17, exec_lo
	s_and_b32 vcc_lo, vcc_lo, exec_lo
	s_delay_alu instid0(SALU_CYCLE_1)
	s_or_b32 s17, s17, vcc_lo
	s_or_b32 exec_lo, exec_lo, s13
	s_and_saveexec_b32 s13, s17
	s_cbranch_execnz .LBB6_6869
	s_branch .LBB6_6870
.LBB6_8216:                             ;   in Loop: Header=BB6_5734 Depth=3
	s_mov_b32 s13, -1
	s_mov_b32 s34, exec_lo
                                        ; implicit-def: $sgpr17
	v_cmpx_eq_u16_e32 0x80, v77
; %bb.8217:                             ;   in Loop: Header=BB6_5734 Depth=3
	s_mov_b32 s17, 0x7f800001
	s_xor_b32 s13, exec_lo, -1
; %bb.8218:                             ;   in Loop: Header=BB6_5734 Depth=3
	s_or_b32 exec_lo, exec_lo, s34
	s_delay_alu instid0(SALU_CYCLE_1)
	s_and_b32 s13, s13, exec_lo
	s_or_saveexec_b32 s31, s31
	v_mov_b32_e32 v88, s17
	s_xor_b32 exec_lo, exec_lo, s31
	s_cbranch_execz .LBB6_6872
.LBB6_8219:                             ;   in Loop: Header=BB6_5734 Depth=3
	v_cmp_ne_u16_e32 vcc_lo, 0, v77
	v_mov_b32_e32 v88, 0
	s_and_not1_b32 s13, s13, exec_lo
	s_and_b32 s17, vcc_lo, exec_lo
	s_delay_alu instid0(SALU_CYCLE_1)
	s_or_b32 s13, s13, s17
	s_or_b32 exec_lo, exec_lo, s31
	s_and_saveexec_b32 s17, s13
	s_cbranch_execnz .LBB6_6873
	s_branch .LBB6_6874
.LBB6_8220:                             ;   in Loop: Header=BB6_5734 Depth=3
	s_mov_b32 s13, -1
	s_mov_b32 s34, exec_lo
                                        ; implicit-def: $sgpr17
	v_cmpx_eq_u16_e32 0x80, v78
; %bb.8221:                             ;   in Loop: Header=BB6_5734 Depth=3
	s_mov_b32 s17, 0x7f800001
	s_xor_b32 s13, exec_lo, -1
; %bb.8222:                             ;   in Loop: Header=BB6_5734 Depth=3
	s_or_b32 exec_lo, exec_lo, s34
	s_delay_alu instid0(SALU_CYCLE_1)
	s_and_b32 s13, s13, exec_lo
	s_or_saveexec_b32 s31, s31
	v_mov_b32_e32 v79, s17
	s_xor_b32 exec_lo, exec_lo, s31
	s_cbranch_execz .LBB6_6879
.LBB6_8223:                             ;   in Loop: Header=BB6_5734 Depth=3
	v_cmp_ne_u16_e32 vcc_lo, 0, v78
	v_mov_b32_e32 v79, 0
	s_and_not1_b32 s13, s13, exec_lo
	s_and_b32 s17, vcc_lo, exec_lo
	s_delay_alu instid0(SALU_CYCLE_1)
	s_or_b32 s13, s13, s17
	s_or_b32 exec_lo, exec_lo, s31
	s_and_saveexec_b32 s17, s13
	s_cbranch_execnz .LBB6_6880
	s_branch .LBB6_6881
.LBB6_8224:                             ;   in Loop: Header=BB6_5734 Depth=3
	s_mov_b32 s13, -1
	s_mov_b32 s34, exec_lo
                                        ; implicit-def: $sgpr17
	v_cmpx_eq_u16_e32 0x80, v77
; %bb.8225:                             ;   in Loop: Header=BB6_5734 Depth=3
	s_mov_b32 s17, 0x7f800001
	s_xor_b32 s13, exec_lo, -1
; %bb.8226:                             ;   in Loop: Header=BB6_5734 Depth=3
	s_or_b32 exec_lo, exec_lo, s34
	s_delay_alu instid0(SALU_CYCLE_1)
	s_and_b32 s13, s13, exec_lo
	s_or_saveexec_b32 s31, s31
	v_mov_b32_e32 v21, s17
	s_xor_b32 exec_lo, exec_lo, s31
	s_cbranch_execz .LBB6_6883
.LBB6_8227:                             ;   in Loop: Header=BB6_5734 Depth=3
	v_cmp_ne_u16_e32 vcc_lo, 0, v77
	v_mov_b32_e32 v21, 0
	s_and_not1_b32 s13, s13, exec_lo
	s_and_b32 s17, vcc_lo, exec_lo
	s_delay_alu instid0(SALU_CYCLE_1)
	s_or_b32 s13, s13, s17
	s_or_b32 exec_lo, exec_lo, s31
	s_and_saveexec_b32 s17, s13
	s_cbranch_execnz .LBB6_6884
	s_branch .LBB6_6885
.LBB6_8228:                             ;   in Loop: Header=BB6_5734 Depth=3
	s_mov_b32 s17, -1
	s_mov_b32 s34, exec_lo
                                        ; implicit-def: $sgpr31
	v_cmpx_eq_u16_e32 0x80, v21
; %bb.8229:                             ;   in Loop: Header=BB6_5734 Depth=3
	s_mov_b32 s31, 0x7f800001
	s_xor_b32 s17, exec_lo, -1
; %bb.8230:                             ;   in Loop: Header=BB6_5734 Depth=3
	s_or_b32 exec_lo, exec_lo, s34
	s_delay_alu instid0(SALU_CYCLE_1)
	s_and_b32 s17, s17, exec_lo
	s_or_saveexec_b32 s13, s13
	v_mov_b32_e32 v77, s31
	s_xor_b32 exec_lo, exec_lo, s13
	s_cbranch_execz .LBB6_6897
.LBB6_8231:                             ;   in Loop: Header=BB6_5734 Depth=3
	v_cmp_ne_u16_e32 vcc_lo, 0, v21
	v_mov_b32_e32 v77, 0
	s_and_not1_b32 s17, s17, exec_lo
	s_and_b32 vcc_lo, vcc_lo, exec_lo
	s_delay_alu instid0(SALU_CYCLE_1)
	s_or_b32 s17, s17, vcc_lo
	s_or_b32 exec_lo, exec_lo, s13
	s_and_saveexec_b32 s13, s17
	s_cbranch_execnz .LBB6_6898
	s_branch .LBB6_6899
.LBB6_8232:                             ;   in Loop: Header=BB6_5734 Depth=3
	s_mov_b32 s13, -1
	s_mov_b32 s34, exec_lo
                                        ; implicit-def: $sgpr17
	v_cmpx_eq_u16_e32 0x80, v79
; %bb.8233:                             ;   in Loop: Header=BB6_5734 Depth=3
	s_mov_b32 s17, 0x7f800001
	s_xor_b32 s13, exec_lo, -1
; %bb.8234:                             ;   in Loop: Header=BB6_5734 Depth=3
	s_or_b32 exec_lo, exec_lo, s34
	s_delay_alu instid0(SALU_CYCLE_1)
	s_and_b32 s13, s13, exec_lo
                                        ; implicit-def: $vgpr79
	s_or_saveexec_b32 s31, s31
	v_mov_b32_e32 v78, s17
	s_xor_b32 exec_lo, exec_lo, s31
	s_cbranch_execz .LBB6_6901
.LBB6_8235:                             ;   in Loop: Header=BB6_5734 Depth=3
	v_cmp_ne_u16_e32 vcc_lo, 0, v79
	v_mov_b32_e32 v78, 0
	s_and_not1_b32 s13, s13, exec_lo
	s_and_b32 s17, vcc_lo, exec_lo
	s_delay_alu instid0(SALU_CYCLE_1)
	s_or_b32 s13, s13, s17
	s_or_b32 exec_lo, exec_lo, s31
	s_and_saveexec_b32 s17, s13
	s_cbranch_execnz .LBB6_6902
	s_branch .LBB6_6903
.LBB6_8236:                             ;   in Loop: Header=BB6_5734 Depth=3
	s_mov_b32 s13, -1
	s_mov_b32 s34, exec_lo
                                        ; implicit-def: $sgpr17
	v_cmpx_eq_u16_e32 0x80, v21
; %bb.8237:                             ;   in Loop: Header=BB6_5734 Depth=3
	s_mov_b32 s17, 0x7f800001
	s_xor_b32 s13, exec_lo, -1
; %bb.8238:                             ;   in Loop: Header=BB6_5734 Depth=3
	s_or_b32 exec_lo, exec_lo, s34
	s_delay_alu instid0(SALU_CYCLE_1)
	s_and_b32 s13, s13, exec_lo
                                        ; implicit-def: $vgpr21
	s_or_saveexec_b32 s31, s31
	v_mov_b32_e32 v77, s17
	s_xor_b32 exec_lo, exec_lo, s31
	s_cbranch_execz .LBB6_6908
.LBB6_8239:                             ;   in Loop: Header=BB6_5734 Depth=3
	v_cmp_ne_u16_e32 vcc_lo, 0, v21
	v_mov_b32_e32 v77, 0
	s_and_not1_b32 s13, s13, exec_lo
	s_and_b32 s17, vcc_lo, exec_lo
	s_delay_alu instid0(SALU_CYCLE_1)
	s_or_b32 s13, s13, s17
	s_or_b32 exec_lo, exec_lo, s31
	s_and_saveexec_b32 s17, s13
	s_cbranch_execnz .LBB6_6909
	s_branch .LBB6_6910
.LBB6_8240:                             ;   in Loop: Header=BB6_5734 Depth=3
	s_mov_b32 s13, -1
	s_mov_b32 s34, exec_lo
                                        ; implicit-def: $sgpr17
	v_cmpx_eq_u16_e32 0x80, v78
; %bb.8241:                             ;   in Loop: Header=BB6_5734 Depth=3
	s_mov_b32 s17, 0x7f800001
	s_xor_b32 s13, exec_lo, -1
; %bb.8242:                             ;   in Loop: Header=BB6_5734 Depth=3
	s_or_b32 exec_lo, exec_lo, s34
	s_delay_alu instid0(SALU_CYCLE_1)
	s_and_b32 s13, s13, exec_lo
                                        ; implicit-def: $vgpr78
	s_or_saveexec_b32 s31, s31
	v_mov_b32_e32 v21, s17
	s_xor_b32 exec_lo, exec_lo, s31
	s_cbranch_execz .LBB6_6912
.LBB6_8243:                             ;   in Loop: Header=BB6_5734 Depth=3
	v_cmp_ne_u16_e32 vcc_lo, 0, v78
	v_mov_b32_e32 v21, 0
	s_and_not1_b32 s13, s13, exec_lo
	s_and_b32 s17, vcc_lo, exec_lo
	s_delay_alu instid0(SALU_CYCLE_1)
	s_or_b32 s13, s13, s17
	s_or_b32 exec_lo, exec_lo, s31
	s_and_saveexec_b32 s17, s13
	s_cbranch_execnz .LBB6_6913
	s_branch .LBB6_6914
.LBB6_8244:                             ;   in Loop: Header=BB6_5734 Depth=3
	s_mov_b32 s17, -1
	s_mov_b32 s34, exec_lo
                                        ; implicit-def: $sgpr31
	v_cmpx_eq_u16_e32 0x80, v78
; %bb.8245:                             ;   in Loop: Header=BB6_5734 Depth=3
	s_mov_b32 s31, 0x7f800001
	s_xor_b32 s17, exec_lo, -1
; %bb.8246:                             ;   in Loop: Header=BB6_5734 Depth=3
	s_or_b32 exec_lo, exec_lo, s34
	s_delay_alu instid0(SALU_CYCLE_1)
	s_and_b32 s17, s17, exec_lo
	s_or_saveexec_b32 s13, s13
	v_mov_b32_e32 v79, s31
	s_xor_b32 exec_lo, exec_lo, s13
	s_cbranch_execz .LBB6_6926
.LBB6_8247:                             ;   in Loop: Header=BB6_5734 Depth=3
	v_cmp_ne_u16_e32 vcc_lo, 0, v78
	v_mov_b32_e32 v79, 0
	s_and_not1_b32 s17, s17, exec_lo
	s_and_b32 vcc_lo, vcc_lo, exec_lo
	s_delay_alu instid0(SALU_CYCLE_1)
	s_or_b32 s17, s17, vcc_lo
	s_or_b32 exec_lo, exec_lo, s13
	s_and_saveexec_b32 s13, s17
	s_cbranch_execnz .LBB6_6927
	s_branch .LBB6_6928
.LBB6_8248:                             ;   in Loop: Header=BB6_5734 Depth=3
	s_mov_b32 s13, -1
	s_mov_b32 s34, exec_lo
                                        ; implicit-def: $sgpr17
	v_cmpx_eq_u16_e32 0x80, v77
; %bb.8249:                             ;   in Loop: Header=BB6_5734 Depth=3
	s_mov_b32 s17, 0x7f800001
	s_xor_b32 s13, exec_lo, -1
; %bb.8250:                             ;   in Loop: Header=BB6_5734 Depth=3
	s_or_b32 exec_lo, exec_lo, s34
	s_delay_alu instid0(SALU_CYCLE_1)
	s_and_b32 s13, s13, exec_lo
	s_or_saveexec_b32 s31, s31
	v_mov_b32_e32 v88, s17
	s_xor_b32 exec_lo, exec_lo, s31
	s_cbranch_execz .LBB6_6930
.LBB6_8251:                             ;   in Loop: Header=BB6_5734 Depth=3
	v_cmp_ne_u16_e32 vcc_lo, 0, v77
	v_mov_b32_e32 v88, 0
	s_and_not1_b32 s13, s13, exec_lo
	s_and_b32 s17, vcc_lo, exec_lo
	s_delay_alu instid0(SALU_CYCLE_1)
	s_or_b32 s13, s13, s17
	s_or_b32 exec_lo, exec_lo, s31
	s_and_saveexec_b32 s17, s13
	s_cbranch_execnz .LBB6_6931
	s_branch .LBB6_6932
.LBB6_8252:                             ;   in Loop: Header=BB6_5734 Depth=3
	s_mov_b32 s13, -1
	s_mov_b32 s34, exec_lo
                                        ; implicit-def: $sgpr17
	v_cmpx_eq_u16_e32 0x80, v78
; %bb.8253:                             ;   in Loop: Header=BB6_5734 Depth=3
	s_mov_b32 s17, 0x7f800001
	s_xor_b32 s13, exec_lo, -1
; %bb.8254:                             ;   in Loop: Header=BB6_5734 Depth=3
	s_or_b32 exec_lo, exec_lo, s34
	s_delay_alu instid0(SALU_CYCLE_1)
	s_and_b32 s13, s13, exec_lo
	s_or_saveexec_b32 s31, s31
	v_mov_b32_e32 v79, s17
	s_xor_b32 exec_lo, exec_lo, s31
	s_cbranch_execz .LBB6_6937
.LBB6_8255:                             ;   in Loop: Header=BB6_5734 Depth=3
	v_cmp_ne_u16_e32 vcc_lo, 0, v78
	v_mov_b32_e32 v79, 0
	s_and_not1_b32 s13, s13, exec_lo
	s_and_b32 s17, vcc_lo, exec_lo
	s_delay_alu instid0(SALU_CYCLE_1)
	s_or_b32 s13, s13, s17
	s_or_b32 exec_lo, exec_lo, s31
	s_and_saveexec_b32 s17, s13
	s_cbranch_execnz .LBB6_6938
	s_branch .LBB6_6939
.LBB6_8256:                             ;   in Loop: Header=BB6_5734 Depth=3
	s_mov_b32 s13, -1
	s_mov_b32 s34, exec_lo
                                        ; implicit-def: $sgpr17
	v_cmpx_eq_u16_e32 0x80, v77
; %bb.8257:                             ;   in Loop: Header=BB6_5734 Depth=3
	s_mov_b32 s17, 0x7f800001
	s_xor_b32 s13, exec_lo, -1
; %bb.8258:                             ;   in Loop: Header=BB6_5734 Depth=3
	s_or_b32 exec_lo, exec_lo, s34
	s_delay_alu instid0(SALU_CYCLE_1)
	s_and_b32 s13, s13, exec_lo
	s_or_saveexec_b32 s31, s31
	v_mov_b32_e32 v78, s17
	s_xor_b32 exec_lo, exec_lo, s31
	s_cbranch_execz .LBB6_6941
.LBB6_8259:                             ;   in Loop: Header=BB6_5734 Depth=3
	v_cmp_ne_u16_e32 vcc_lo, 0, v77
	v_mov_b32_e32 v78, 0
	s_and_not1_b32 s13, s13, exec_lo
	s_and_b32 s17, vcc_lo, exec_lo
	s_delay_alu instid0(SALU_CYCLE_1)
	s_or_b32 s13, s13, s17
	s_or_b32 exec_lo, exec_lo, s31
	s_and_saveexec_b32 s17, s13
	s_cbranch_execnz .LBB6_6942
	s_branch .LBB6_6943
.LBB6_8260:                             ;   in Loop: Header=BB6_5734 Depth=3
	s_mov_b32 s17, -1
	s_mov_b32 s34, exec_lo
                                        ; implicit-def: $sgpr31
	v_cmpx_eq_u16_e32 0x80, v88
; %bb.8261:                             ;   in Loop: Header=BB6_5734 Depth=3
	s_mov_b32 s31, 0x7f800001
	s_xor_b32 s17, exec_lo, -1
; %bb.8262:                             ;   in Loop: Header=BB6_5734 Depth=3
	s_or_b32 exec_lo, exec_lo, s34
	s_delay_alu instid0(SALU_CYCLE_1)
	s_and_b32 s17, s17, exec_lo
	s_or_saveexec_b32 s13, s13
	v_mov_b32_e32 v89, s31
	s_xor_b32 exec_lo, exec_lo, s13
	s_cbranch_execz .LBB6_6955
.LBB6_8263:                             ;   in Loop: Header=BB6_5734 Depth=3
	v_cmp_ne_u16_e32 vcc_lo, 0, v88
	v_mov_b32_e32 v89, 0
	s_and_not1_b32 s17, s17, exec_lo
	s_and_b32 vcc_lo, vcc_lo, exec_lo
	s_delay_alu instid0(SALU_CYCLE_1)
	s_or_b32 s17, s17, vcc_lo
	s_or_b32 exec_lo, exec_lo, s13
	s_and_saveexec_b32 s13, s17
	s_cbranch_execnz .LBB6_6956
	s_branch .LBB6_6957
.LBB6_8264:                             ;   in Loop: Header=BB6_5734 Depth=3
	s_mov_b32 s13, -1
	s_mov_b32 s34, exec_lo
                                        ; implicit-def: $sgpr17
	v_cmpx_eq_u16_e32 0x80, v91
; %bb.8265:                             ;   in Loop: Header=BB6_5734 Depth=3
	s_mov_b32 s17, 0x7f800001
	s_xor_b32 s13, exec_lo, -1
; %bb.8266:                             ;   in Loop: Header=BB6_5734 Depth=3
	s_or_b32 exec_lo, exec_lo, s34
	s_delay_alu instid0(SALU_CYCLE_1)
	s_and_b32 s13, s13, exec_lo
                                        ; implicit-def: $vgpr91
	s_or_saveexec_b32 s31, s31
	v_mov_b32_e32 v90, s17
	s_xor_b32 exec_lo, exec_lo, s31
	s_cbranch_execz .LBB6_6959
.LBB6_8267:                             ;   in Loop: Header=BB6_5734 Depth=3
	v_cmp_ne_u16_e32 vcc_lo, 0, v91
	v_mov_b32_e32 v90, 0
	s_and_not1_b32 s13, s13, exec_lo
	s_and_b32 s17, vcc_lo, exec_lo
	s_delay_alu instid0(SALU_CYCLE_1)
	s_or_b32 s13, s13, s17
	s_or_b32 exec_lo, exec_lo, s31
	s_and_saveexec_b32 s17, s13
	s_cbranch_execnz .LBB6_6960
	s_branch .LBB6_6961
.LBB6_8268:                             ;   in Loop: Header=BB6_5734 Depth=3
	s_mov_b32 s13, -1
	s_mov_b32 s34, exec_lo
                                        ; implicit-def: $sgpr17
	v_cmpx_eq_u16_e32 0x80, v88
; %bb.8269:                             ;   in Loop: Header=BB6_5734 Depth=3
	s_mov_b32 s17, 0x7f800001
	s_xor_b32 s13, exec_lo, -1
; %bb.8270:                             ;   in Loop: Header=BB6_5734 Depth=3
	s_or_b32 exec_lo, exec_lo, s34
	s_delay_alu instid0(SALU_CYCLE_1)
	s_and_b32 s13, s13, exec_lo
                                        ; implicit-def: $vgpr88
	s_or_saveexec_b32 s31, s31
	v_mov_b32_e32 v89, s17
	s_xor_b32 exec_lo, exec_lo, s31
	s_cbranch_execz .LBB6_6966
.LBB6_8271:                             ;   in Loop: Header=BB6_5734 Depth=3
	v_cmp_ne_u16_e32 vcc_lo, 0, v88
	v_mov_b32_e32 v89, 0
	s_and_not1_b32 s13, s13, exec_lo
	s_and_b32 s17, vcc_lo, exec_lo
	s_delay_alu instid0(SALU_CYCLE_1)
	s_or_b32 s13, s13, s17
	s_or_b32 exec_lo, exec_lo, s31
	s_and_saveexec_b32 s17, s13
	s_cbranch_execnz .LBB6_6967
	s_branch .LBB6_6968
.LBB6_8272:                             ;   in Loop: Header=BB6_5734 Depth=3
	s_mov_b32 s13, -1
	s_mov_b32 s34, exec_lo
                                        ; implicit-def: $sgpr17
	v_cmpx_eq_u16_e32 0x80, v88
; %bb.8273:                             ;   in Loop: Header=BB6_5734 Depth=3
	s_mov_b32 s17, 0x7f800001
	s_xor_b32 s13, exec_lo, -1
; %bb.8274:                             ;   in Loop: Header=BB6_5734 Depth=3
	s_or_b32 exec_lo, exec_lo, s34
	s_delay_alu instid0(SALU_CYCLE_1)
	s_and_b32 s13, s13, exec_lo
                                        ; implicit-def: $vgpr88
	s_or_saveexec_b32 s31, s31
	v_mov_b32_e32 v79, s17
	s_xor_b32 exec_lo, exec_lo, s31
	s_cbranch_execz .LBB6_6970
.LBB6_8275:                             ;   in Loop: Header=BB6_5734 Depth=3
	v_cmp_ne_u16_e32 vcc_lo, 0, v88
	v_mov_b32_e32 v79, 0
	s_and_not1_b32 s13, s13, exec_lo
	s_and_b32 s17, vcc_lo, exec_lo
	s_delay_alu instid0(SALU_CYCLE_1)
	s_or_b32 s13, s13, s17
	s_or_b32 exec_lo, exec_lo, s31
	s_and_saveexec_b32 s17, s13
	s_cbranch_execnz .LBB6_6971
	s_branch .LBB6_6972
.LBB6_8276:                             ;   in Loop: Header=BB6_5734 Depth=3
	s_mov_b32 s17, -1
	s_mov_b32 s34, exec_lo
                                        ; implicit-def: $sgpr31
	v_cmpx_eq_u16_e32 0x80, v88
; %bb.8277:                             ;   in Loop: Header=BB6_5734 Depth=3
	s_mov_b32 s31, 0x7f800001
	s_xor_b32 s17, exec_lo, -1
; %bb.8278:                             ;   in Loop: Header=BB6_5734 Depth=3
	s_or_b32 exec_lo, exec_lo, s34
	s_delay_alu instid0(SALU_CYCLE_1)
	s_and_b32 s17, s17, exec_lo
	s_or_saveexec_b32 s13, s13
	v_mov_b32_e32 v89, s31
	s_xor_b32 exec_lo, exec_lo, s13
	s_cbranch_execz .LBB6_6984
.LBB6_8279:                             ;   in Loop: Header=BB6_5734 Depth=3
	v_cmp_ne_u16_e32 vcc_lo, 0, v88
	v_mov_b32_e32 v89, 0
	s_and_not1_b32 s17, s17, exec_lo
	s_and_b32 vcc_lo, vcc_lo, exec_lo
	s_delay_alu instid0(SALU_CYCLE_1)
	s_or_b32 s17, s17, vcc_lo
	s_or_b32 exec_lo, exec_lo, s13
	s_and_saveexec_b32 s13, s17
	s_cbranch_execnz .LBB6_6985
	s_branch .LBB6_6986
.LBB6_8280:                             ;   in Loop: Header=BB6_5734 Depth=3
	s_mov_b32 s13, -1
	s_mov_b32 s34, exec_lo
                                        ; implicit-def: $sgpr17
	v_cmpx_eq_u16_e32 0x80, v79
; %bb.8281:                             ;   in Loop: Header=BB6_5734 Depth=3
	s_mov_b32 s17, 0x7f800001
	s_xor_b32 s13, exec_lo, -1
; %bb.8282:                             ;   in Loop: Header=BB6_5734 Depth=3
	s_or_b32 exec_lo, exec_lo, s34
	s_delay_alu instid0(SALU_CYCLE_1)
	s_and_b32 s13, s13, exec_lo
	s_or_saveexec_b32 s31, s31
	v_mov_b32_e32 v90, s17
	s_xor_b32 exec_lo, exec_lo, s31
	s_cbranch_execz .LBB6_6988
.LBB6_8283:                             ;   in Loop: Header=BB6_5734 Depth=3
	v_cmp_ne_u16_e32 vcc_lo, 0, v79
	v_mov_b32_e32 v90, 0
	s_and_not1_b32 s13, s13, exec_lo
	s_and_b32 s17, vcc_lo, exec_lo
	s_delay_alu instid0(SALU_CYCLE_1)
	s_or_b32 s13, s13, s17
	s_or_b32 exec_lo, exec_lo, s31
	s_and_saveexec_b32 s17, s13
	s_cbranch_execnz .LBB6_6989
	s_branch .LBB6_6990
.LBB6_8284:                             ;   in Loop: Header=BB6_5734 Depth=3
	s_mov_b32 s13, -1
	s_mov_b32 s34, exec_lo
                                        ; implicit-def: $sgpr17
	v_cmpx_eq_u16_e32 0x80, v88
; %bb.8285:                             ;   in Loop: Header=BB6_5734 Depth=3
	s_mov_b32 s17, 0x7f800001
	s_xor_b32 s13, exec_lo, -1
; %bb.8286:                             ;   in Loop: Header=BB6_5734 Depth=3
	s_or_b32 exec_lo, exec_lo, s34
	s_delay_alu instid0(SALU_CYCLE_1)
	s_and_b32 s13, s13, exec_lo
	s_or_saveexec_b32 s31, s31
	v_mov_b32_e32 v89, s17
	s_xor_b32 exec_lo, exec_lo, s31
	s_cbranch_execz .LBB6_6995
.LBB6_8287:                             ;   in Loop: Header=BB6_5734 Depth=3
	v_cmp_ne_u16_e32 vcc_lo, 0, v88
	v_mov_b32_e32 v89, 0
	s_and_not1_b32 s13, s13, exec_lo
	s_and_b32 s17, vcc_lo, exec_lo
	s_delay_alu instid0(SALU_CYCLE_1)
	s_or_b32 s13, s13, s17
	s_or_b32 exec_lo, exec_lo, s31
	s_and_saveexec_b32 s17, s13
	s_cbranch_execnz .LBB6_6996
	s_branch .LBB6_6997
.LBB6_8288:                             ;   in Loop: Header=BB6_5734 Depth=3
	s_mov_b32 s13, -1
	s_mov_b32 s34, exec_lo
                                        ; implicit-def: $sgpr17
	v_cmpx_eq_u16_e32 0x80, v79
; %bb.8289:                             ;   in Loop: Header=BB6_5734 Depth=3
	s_mov_b32 s17, 0x7f800001
	s_xor_b32 s13, exec_lo, -1
; %bb.8290:                             ;   in Loop: Header=BB6_5734 Depth=3
	s_or_b32 exec_lo, exec_lo, s34
	s_delay_alu instid0(SALU_CYCLE_1)
	s_and_b32 s13, s13, exec_lo
	s_or_saveexec_b32 s31, s31
	v_mov_b32_e32 v22, s17
	s_xor_b32 exec_lo, exec_lo, s31
	s_cbranch_execz .LBB6_6999
.LBB6_8291:                             ;   in Loop: Header=BB6_5734 Depth=3
	v_cmp_ne_u16_e32 vcc_lo, 0, v79
	v_mov_b32_e32 v22, 0
	s_and_not1_b32 s13, s13, exec_lo
	s_and_b32 s17, vcc_lo, exec_lo
	s_delay_alu instid0(SALU_CYCLE_1)
	s_or_b32 s13, s13, s17
	s_or_b32 exec_lo, exec_lo, s31
	s_and_saveexec_b32 s17, s13
	s_cbranch_execnz .LBB6_7000
	s_branch .LBB6_7001
.LBB6_8292:                             ;   in Loop: Header=BB6_5734 Depth=3
	s_mov_b32 s17, -1
	s_mov_b32 s34, exec_lo
                                        ; implicit-def: $sgpr31
	v_cmpx_eq_u16_e32 0x80, v22
; %bb.8293:                             ;   in Loop: Header=BB6_5734 Depth=3
	s_mov_b32 s31, 0x7f800001
	s_xor_b32 s17, exec_lo, -1
; %bb.8294:                             ;   in Loop: Header=BB6_5734 Depth=3
	s_or_b32 exec_lo, exec_lo, s34
	s_delay_alu instid0(SALU_CYCLE_1)
	s_and_b32 s17, s17, exec_lo
	s_or_saveexec_b32 s13, s13
	v_mov_b32_e32 v79, s31
	s_xor_b32 exec_lo, exec_lo, s13
	s_cbranch_execz .LBB6_7013
.LBB6_8295:                             ;   in Loop: Header=BB6_5734 Depth=3
	v_cmp_ne_u16_e32 vcc_lo, 0, v22
	v_mov_b32_e32 v79, 0
	s_and_not1_b32 s17, s17, exec_lo
	s_and_b32 vcc_lo, vcc_lo, exec_lo
	s_delay_alu instid0(SALU_CYCLE_1)
	s_or_b32 s17, s17, vcc_lo
	s_or_b32 exec_lo, exec_lo, s13
	s_and_saveexec_b32 s13, s17
	s_cbranch_execnz .LBB6_7014
	s_branch .LBB6_7015
.LBB6_8296:                             ;   in Loop: Header=BB6_5734 Depth=3
	s_mov_b32 s13, -1
	s_mov_b32 s34, exec_lo
                                        ; implicit-def: $sgpr17
	v_cmpx_eq_u16_e32 0x80, v89
; %bb.8297:                             ;   in Loop: Header=BB6_5734 Depth=3
	s_mov_b32 s17, 0x7f800001
	s_xor_b32 s13, exec_lo, -1
; %bb.8298:                             ;   in Loop: Header=BB6_5734 Depth=3
	s_or_b32 exec_lo, exec_lo, s34
	s_delay_alu instid0(SALU_CYCLE_1)
	s_and_b32 s13, s13, exec_lo
                                        ; implicit-def: $vgpr89
	s_or_saveexec_b32 s31, s31
	v_mov_b32_e32 v88, s17
	s_xor_b32 exec_lo, exec_lo, s31
	s_cbranch_execz .LBB6_7017
.LBB6_8299:                             ;   in Loop: Header=BB6_5734 Depth=3
	v_cmp_ne_u16_e32 vcc_lo, 0, v89
	v_mov_b32_e32 v88, 0
	s_and_not1_b32 s13, s13, exec_lo
	s_and_b32 s17, vcc_lo, exec_lo
	s_delay_alu instid0(SALU_CYCLE_1)
	s_or_b32 s13, s13, s17
	s_or_b32 exec_lo, exec_lo, s31
	s_and_saveexec_b32 s17, s13
	s_cbranch_execnz .LBB6_7018
	s_branch .LBB6_7019
.LBB6_8300:                             ;   in Loop: Header=BB6_5734 Depth=3
	s_mov_b32 s13, -1
	s_mov_b32 s34, exec_lo
                                        ; implicit-def: $sgpr17
	v_cmpx_eq_u16_e32 0x80, v22
; %bb.8301:                             ;   in Loop: Header=BB6_5734 Depth=3
	s_mov_b32 s17, 0x7f800001
	s_xor_b32 s13, exec_lo, -1
; %bb.8302:                             ;   in Loop: Header=BB6_5734 Depth=3
	s_or_b32 exec_lo, exec_lo, s34
	s_delay_alu instid0(SALU_CYCLE_1)
	s_and_b32 s13, s13, exec_lo
                                        ; implicit-def: $vgpr22
	s_or_saveexec_b32 s31, s31
	v_mov_b32_e32 v79, s17
	s_xor_b32 exec_lo, exec_lo, s31
	s_cbranch_execz .LBB6_7024
.LBB6_8303:                             ;   in Loop: Header=BB6_5734 Depth=3
	v_cmp_ne_u16_e32 vcc_lo, 0, v22
	v_mov_b32_e32 v79, 0
	s_and_not1_b32 s13, s13, exec_lo
	s_and_b32 s17, vcc_lo, exec_lo
	s_delay_alu instid0(SALU_CYCLE_1)
	s_or_b32 s13, s13, s17
	s_or_b32 exec_lo, exec_lo, s31
	s_and_saveexec_b32 s17, s13
	s_cbranch_execnz .LBB6_7025
	s_branch .LBB6_7026
.LBB6_8304:                             ;   in Loop: Header=BB6_5734 Depth=3
	s_mov_b32 s13, -1
	s_mov_b32 s34, exec_lo
                                        ; implicit-def: $sgpr17
	v_cmpx_eq_u16_e32 0x80, v88
; %bb.8305:                             ;   in Loop: Header=BB6_5734 Depth=3
	s_mov_b32 s17, 0x7f800001
	s_xor_b32 s13, exec_lo, -1
; %bb.8306:                             ;   in Loop: Header=BB6_5734 Depth=3
	s_or_b32 exec_lo, exec_lo, s34
	s_delay_alu instid0(SALU_CYCLE_1)
	s_and_b32 s13, s13, exec_lo
                                        ; implicit-def: $vgpr88
	s_or_saveexec_b32 s31, s31
	v_mov_b32_e32 v22, s17
	s_xor_b32 exec_lo, exec_lo, s31
	s_cbranch_execz .LBB6_7028
.LBB6_8307:                             ;   in Loop: Header=BB6_5734 Depth=3
	v_cmp_ne_u16_e32 vcc_lo, 0, v88
	v_mov_b32_e32 v22, 0
	s_and_not1_b32 s13, s13, exec_lo
	s_and_b32 s17, vcc_lo, exec_lo
	s_delay_alu instid0(SALU_CYCLE_1)
	s_or_b32 s13, s13, s17
	s_or_b32 exec_lo, exec_lo, s31
	s_and_saveexec_b32 s17, s13
	s_cbranch_execnz .LBB6_7029
	s_branch .LBB6_7030
.LBB6_8308:                             ;   in Loop: Header=BB6_5734 Depth=3
	s_mov_b32 s17, -1
	s_mov_b32 s34, exec_lo
                                        ; implicit-def: $sgpr31
	v_cmpx_eq_u16_e32 0x80, v88
; %bb.8309:                             ;   in Loop: Header=BB6_5734 Depth=3
	s_mov_b32 s31, 0x7f800001
	s_xor_b32 s17, exec_lo, -1
; %bb.8310:                             ;   in Loop: Header=BB6_5734 Depth=3
	s_or_b32 exec_lo, exec_lo, s34
	s_delay_alu instid0(SALU_CYCLE_1)
	s_and_b32 s17, s17, exec_lo
	s_or_saveexec_b32 s13, s13
	v_mov_b32_e32 v89, s31
	s_xor_b32 exec_lo, exec_lo, s13
	s_cbranch_execz .LBB6_7042
.LBB6_8311:                             ;   in Loop: Header=BB6_5734 Depth=3
	v_cmp_ne_u16_e32 vcc_lo, 0, v88
	v_mov_b32_e32 v89, 0
	s_and_not1_b32 s17, s17, exec_lo
	s_and_b32 vcc_lo, vcc_lo, exec_lo
	s_delay_alu instid0(SALU_CYCLE_1)
	s_or_b32 s17, s17, vcc_lo
	s_or_b32 exec_lo, exec_lo, s13
	s_and_saveexec_b32 s13, s17
	s_cbranch_execnz .LBB6_7043
	s_branch .LBB6_7044
.LBB6_8312:                             ;   in Loop: Header=BB6_5734 Depth=3
	s_mov_b32 s13, -1
	s_mov_b32 s34, exec_lo
                                        ; implicit-def: $sgpr17
	v_cmpx_eq_u16_e32 0x80, v79
; %bb.8313:                             ;   in Loop: Header=BB6_5734 Depth=3
	s_mov_b32 s17, 0x7f800001
	s_xor_b32 s13, exec_lo, -1
; %bb.8314:                             ;   in Loop: Header=BB6_5734 Depth=3
	s_or_b32 exec_lo, exec_lo, s34
	s_delay_alu instid0(SALU_CYCLE_1)
	s_and_b32 s13, s13, exec_lo
	s_or_saveexec_b32 s31, s31
	v_mov_b32_e32 v90, s17
	s_xor_b32 exec_lo, exec_lo, s31
	s_cbranch_execz .LBB6_7046
.LBB6_8315:                             ;   in Loop: Header=BB6_5734 Depth=3
	v_cmp_ne_u16_e32 vcc_lo, 0, v79
	v_mov_b32_e32 v90, 0
	s_and_not1_b32 s13, s13, exec_lo
	s_and_b32 s17, vcc_lo, exec_lo
	s_delay_alu instid0(SALU_CYCLE_1)
	s_or_b32 s13, s13, s17
	s_or_b32 exec_lo, exec_lo, s31
	s_and_saveexec_b32 s17, s13
	s_cbranch_execnz .LBB6_7047
	s_branch .LBB6_7048
.LBB6_8316:                             ;   in Loop: Header=BB6_5734 Depth=3
	s_mov_b32 s13, -1
	s_mov_b32 s34, exec_lo
                                        ; implicit-def: $sgpr17
	v_cmpx_eq_u16_e32 0x80, v88
; %bb.8317:                             ;   in Loop: Header=BB6_5734 Depth=3
	s_mov_b32 s17, 0x7f800001
	s_xor_b32 s13, exec_lo, -1
; %bb.8318:                             ;   in Loop: Header=BB6_5734 Depth=3
	s_or_b32 exec_lo, exec_lo, s34
	s_delay_alu instid0(SALU_CYCLE_1)
	s_and_b32 s13, s13, exec_lo
	s_or_saveexec_b32 s31, s31
	v_mov_b32_e32 v89, s17
	s_xor_b32 exec_lo, exec_lo, s31
	s_cbranch_execz .LBB6_7053
.LBB6_8319:                             ;   in Loop: Header=BB6_5734 Depth=3
	v_cmp_ne_u16_e32 vcc_lo, 0, v88
	v_mov_b32_e32 v89, 0
	s_and_not1_b32 s13, s13, exec_lo
	s_and_b32 s17, vcc_lo, exec_lo
	s_delay_alu instid0(SALU_CYCLE_1)
	s_or_b32 s13, s13, s17
	s_or_b32 exec_lo, exec_lo, s31
	s_and_saveexec_b32 s17, s13
	s_cbranch_execnz .LBB6_7054
	s_branch .LBB6_7055
.LBB6_8320:                             ;   in Loop: Header=BB6_5734 Depth=3
	s_mov_b32 s13, -1
	s_mov_b32 s34, exec_lo
                                        ; implicit-def: $sgpr17
	v_cmpx_eq_u16_e32 0x80, v79
; %bb.8321:                             ;   in Loop: Header=BB6_5734 Depth=3
	s_mov_b32 s17, 0x7f800001
	s_xor_b32 s13, exec_lo, -1
; %bb.8322:                             ;   in Loop: Header=BB6_5734 Depth=3
	s_or_b32 exec_lo, exec_lo, s34
	s_delay_alu instid0(SALU_CYCLE_1)
	s_and_b32 s13, s13, exec_lo
	s_or_saveexec_b32 s31, s31
	v_mov_b32_e32 v88, s17
	s_xor_b32 exec_lo, exec_lo, s31
	s_cbranch_execz .LBB6_7057
.LBB6_8323:                             ;   in Loop: Header=BB6_5734 Depth=3
	v_cmp_ne_u16_e32 vcc_lo, 0, v79
	v_mov_b32_e32 v88, 0
	s_and_not1_b32 s13, s13, exec_lo
	s_and_b32 s17, vcc_lo, exec_lo
	s_delay_alu instid0(SALU_CYCLE_1)
	s_or_b32 s13, s13, s17
	s_or_b32 exec_lo, exec_lo, s31
	s_and_saveexec_b32 s17, s13
	s_cbranch_execnz .LBB6_7058
	s_branch .LBB6_7059
.LBB6_8324:                             ;   in Loop: Header=BB6_5734 Depth=3
	s_mov_b32 s17, -1
	s_mov_b32 s34, exec_lo
                                        ; implicit-def: $sgpr31
	v_cmpx_eq_u16_e32 0x80, v90
; %bb.8325:                             ;   in Loop: Header=BB6_5734 Depth=3
	s_mov_b32 s31, 0x7f800001
	s_xor_b32 s17, exec_lo, -1
; %bb.8326:                             ;   in Loop: Header=BB6_5734 Depth=3
	s_or_b32 exec_lo, exec_lo, s34
	s_delay_alu instid0(SALU_CYCLE_1)
	s_and_b32 s17, s17, exec_lo
	s_or_saveexec_b32 s13, s13
	v_mov_b32_e32 v91, s31
	s_xor_b32 exec_lo, exec_lo, s13
	s_cbranch_execz .LBB6_7071
.LBB6_8327:                             ;   in Loop: Header=BB6_5734 Depth=3
	v_cmp_ne_u16_e32 vcc_lo, 0, v90
	v_mov_b32_e32 v91, 0
	s_and_not1_b32 s17, s17, exec_lo
	s_and_b32 vcc_lo, vcc_lo, exec_lo
	s_delay_alu instid0(SALU_CYCLE_1)
	s_or_b32 s17, s17, vcc_lo
	s_or_b32 exec_lo, exec_lo, s13
	s_and_saveexec_b32 s13, s17
	s_cbranch_execnz .LBB6_7072
	s_branch .LBB6_7073
.LBB6_8328:                             ;   in Loop: Header=BB6_5734 Depth=3
	s_mov_b32 s13, -1
	s_mov_b32 s34, exec_lo
                                        ; implicit-def: $sgpr17
	v_cmpx_eq_u16_e32 0x80, v93
; %bb.8329:                             ;   in Loop: Header=BB6_5734 Depth=3
	s_mov_b32 s17, 0x7f800001
	s_xor_b32 s13, exec_lo, -1
; %bb.8330:                             ;   in Loop: Header=BB6_5734 Depth=3
	s_or_b32 exec_lo, exec_lo, s34
	s_delay_alu instid0(SALU_CYCLE_1)
	s_and_b32 s13, s13, exec_lo
                                        ; implicit-def: $vgpr93
	s_or_saveexec_b32 s31, s31
	v_mov_b32_e32 v92, s17
	s_xor_b32 exec_lo, exec_lo, s31
	s_cbranch_execz .LBB6_7075
.LBB6_8331:                             ;   in Loop: Header=BB6_5734 Depth=3
	v_cmp_ne_u16_e32 vcc_lo, 0, v93
	v_mov_b32_e32 v92, 0
	s_and_not1_b32 s13, s13, exec_lo
	s_and_b32 s17, vcc_lo, exec_lo
	s_delay_alu instid0(SALU_CYCLE_1)
	s_or_b32 s13, s13, s17
	s_or_b32 exec_lo, exec_lo, s31
	s_and_saveexec_b32 s17, s13
	s_cbranch_execnz .LBB6_7076
	s_branch .LBB6_7077
.LBB6_8332:                             ;   in Loop: Header=BB6_5734 Depth=3
	s_mov_b32 s13, -1
	s_mov_b32 s34, exec_lo
                                        ; implicit-def: $sgpr17
	v_cmpx_eq_u16_e32 0x80, v90
; %bb.8333:                             ;   in Loop: Header=BB6_5734 Depth=3
	s_mov_b32 s17, 0x7f800001
	s_xor_b32 s13, exec_lo, -1
; %bb.8334:                             ;   in Loop: Header=BB6_5734 Depth=3
	s_or_b32 exec_lo, exec_lo, s34
	s_delay_alu instid0(SALU_CYCLE_1)
	s_and_b32 s13, s13, exec_lo
                                        ; implicit-def: $vgpr90
	s_or_saveexec_b32 s31, s31
	v_mov_b32_e32 v91, s17
	s_xor_b32 exec_lo, exec_lo, s31
	s_cbranch_execz .LBB6_7082
.LBB6_8335:                             ;   in Loop: Header=BB6_5734 Depth=3
	v_cmp_ne_u16_e32 vcc_lo, 0, v90
	v_mov_b32_e32 v91, 0
	s_and_not1_b32 s13, s13, exec_lo
	s_and_b32 s17, vcc_lo, exec_lo
	s_delay_alu instid0(SALU_CYCLE_1)
	s_or_b32 s13, s13, s17
	s_or_b32 exec_lo, exec_lo, s31
	s_and_saveexec_b32 s17, s13
	s_cbranch_execnz .LBB6_7083
	s_branch .LBB6_7084
.LBB6_8336:                             ;   in Loop: Header=BB6_5734 Depth=3
	s_mov_b32 s13, -1
	s_mov_b32 s34, exec_lo
                                        ; implicit-def: $sgpr17
	v_cmpx_eq_u16_e32 0x80, v90
; %bb.8337:                             ;   in Loop: Header=BB6_5734 Depth=3
	s_mov_b32 s17, 0x7f800001
	s_xor_b32 s13, exec_lo, -1
; %bb.8338:                             ;   in Loop: Header=BB6_5734 Depth=3
	s_or_b32 exec_lo, exec_lo, s34
	s_delay_alu instid0(SALU_CYCLE_1)
	s_and_b32 s13, s13, exec_lo
                                        ; implicit-def: $vgpr90
	s_or_saveexec_b32 s31, s31
	v_mov_b32_e32 v89, s17
	s_xor_b32 exec_lo, exec_lo, s31
	s_cbranch_execz .LBB6_7086
.LBB6_8339:                             ;   in Loop: Header=BB6_5734 Depth=3
	v_cmp_ne_u16_e32 vcc_lo, 0, v90
	v_mov_b32_e32 v89, 0
	s_and_not1_b32 s13, s13, exec_lo
	s_and_b32 s17, vcc_lo, exec_lo
	s_delay_alu instid0(SALU_CYCLE_1)
	s_or_b32 s13, s13, s17
	s_or_b32 exec_lo, exec_lo, s31
	s_and_saveexec_b32 s17, s13
	s_cbranch_execnz .LBB6_7087
	s_branch .LBB6_7088
.LBB6_8340:                             ;   in Loop: Header=BB6_5734 Depth=3
	s_mov_b32 s17, -1
	s_mov_b32 s34, exec_lo
                                        ; implicit-def: $sgpr31
	v_cmpx_eq_u16_e32 0x80, v90
; %bb.8341:                             ;   in Loop: Header=BB6_5734 Depth=3
	s_mov_b32 s31, 0x7f800001
	s_xor_b32 s17, exec_lo, -1
; %bb.8342:                             ;   in Loop: Header=BB6_5734 Depth=3
	s_or_b32 exec_lo, exec_lo, s34
	s_delay_alu instid0(SALU_CYCLE_1)
	s_and_b32 s17, s17, exec_lo
	s_or_saveexec_b32 s13, s13
	v_mov_b32_e32 v91, s31
	s_xor_b32 exec_lo, exec_lo, s13
	s_cbranch_execz .LBB6_7100
.LBB6_8343:                             ;   in Loop: Header=BB6_5734 Depth=3
	v_cmp_ne_u16_e32 vcc_lo, 0, v90
	v_mov_b32_e32 v91, 0
	s_and_not1_b32 s17, s17, exec_lo
	s_and_b32 vcc_lo, vcc_lo, exec_lo
	s_delay_alu instid0(SALU_CYCLE_1)
	s_or_b32 s17, s17, vcc_lo
	s_or_b32 exec_lo, exec_lo, s13
	s_and_saveexec_b32 s13, s17
	s_cbranch_execnz .LBB6_7101
	s_branch .LBB6_7102
.LBB6_8344:                             ;   in Loop: Header=BB6_5734 Depth=3
	s_mov_b32 s13, -1
	s_mov_b32 s34, exec_lo
                                        ; implicit-def: $sgpr17
	v_cmpx_eq_u16_e32 0x80, v89
; %bb.8345:                             ;   in Loop: Header=BB6_5734 Depth=3
	s_mov_b32 s17, 0x7f800001
	s_xor_b32 s13, exec_lo, -1
; %bb.8346:                             ;   in Loop: Header=BB6_5734 Depth=3
	s_or_b32 exec_lo, exec_lo, s34
	s_delay_alu instid0(SALU_CYCLE_1)
	s_and_b32 s13, s13, exec_lo
	s_or_saveexec_b32 s31, s31
	v_mov_b32_e32 v92, s17
	s_xor_b32 exec_lo, exec_lo, s31
	s_cbranch_execz .LBB6_7104
.LBB6_8347:                             ;   in Loop: Header=BB6_5734 Depth=3
	v_cmp_ne_u16_e32 vcc_lo, 0, v89
	v_mov_b32_e32 v92, 0
	s_and_not1_b32 s13, s13, exec_lo
	s_and_b32 s17, vcc_lo, exec_lo
	s_delay_alu instid0(SALU_CYCLE_1)
	s_or_b32 s13, s13, s17
	s_or_b32 exec_lo, exec_lo, s31
	s_and_saveexec_b32 s17, s13
	s_cbranch_execnz .LBB6_7105
	s_branch .LBB6_7106
.LBB6_8348:                             ;   in Loop: Header=BB6_5734 Depth=3
	s_mov_b32 s13, -1
	s_mov_b32 s34, exec_lo
                                        ; implicit-def: $sgpr17
	v_cmpx_eq_u16_e32 0x80, v90
; %bb.8349:                             ;   in Loop: Header=BB6_5734 Depth=3
	s_mov_b32 s17, 0x7f800001
	s_xor_b32 s13, exec_lo, -1
; %bb.8350:                             ;   in Loop: Header=BB6_5734 Depth=3
	s_or_b32 exec_lo, exec_lo, s34
	s_delay_alu instid0(SALU_CYCLE_1)
	s_and_b32 s13, s13, exec_lo
	s_or_saveexec_b32 s31, s31
	v_mov_b32_e32 v91, s17
	s_xor_b32 exec_lo, exec_lo, s31
	s_cbranch_execz .LBB6_7111
.LBB6_8351:                             ;   in Loop: Header=BB6_5734 Depth=3
	v_cmp_ne_u16_e32 vcc_lo, 0, v90
	v_mov_b32_e32 v91, 0
	s_and_not1_b32 s13, s13, exec_lo
	s_and_b32 s17, vcc_lo, exec_lo
	s_delay_alu instid0(SALU_CYCLE_1)
	s_or_b32 s13, s13, s17
	s_or_b32 exec_lo, exec_lo, s31
	s_and_saveexec_b32 s17, s13
	s_cbranch_execnz .LBB6_7112
	s_branch .LBB6_7113
.LBB6_8352:                             ;   in Loop: Header=BB6_5734 Depth=3
	s_mov_b32 s13, -1
	s_mov_b32 s34, exec_lo
                                        ; implicit-def: $sgpr17
	v_cmpx_eq_u16_e32 0x80, v89
; %bb.8353:                             ;   in Loop: Header=BB6_5734 Depth=3
	s_mov_b32 s17, 0x7f800001
	s_xor_b32 s13, exec_lo, -1
; %bb.8354:                             ;   in Loop: Header=BB6_5734 Depth=3
	s_or_b32 exec_lo, exec_lo, s34
	s_delay_alu instid0(SALU_CYCLE_1)
	s_and_b32 s13, s13, exec_lo
	s_or_saveexec_b32 s31, s31
	v_mov_b32_e32 v23, s17
	s_xor_b32 exec_lo, exec_lo, s31
	s_cbranch_execz .LBB6_7115
.LBB6_8355:                             ;   in Loop: Header=BB6_5734 Depth=3
	v_cmp_ne_u16_e32 vcc_lo, 0, v89
	v_mov_b32_e32 v23, 0
	s_and_not1_b32 s13, s13, exec_lo
	s_and_b32 s17, vcc_lo, exec_lo
	s_delay_alu instid0(SALU_CYCLE_1)
	s_or_b32 s13, s13, s17
	s_or_b32 exec_lo, exec_lo, s31
	s_and_saveexec_b32 s17, s13
	s_cbranch_execnz .LBB6_7116
	s_branch .LBB6_7117
.LBB6_8356:                             ;   in Loop: Header=BB6_5734 Depth=3
	s_mov_b32 s17, -1
	s_mov_b32 s34, exec_lo
                                        ; implicit-def: $sgpr31
	v_cmpx_eq_u16_e32 0x80, v23
; %bb.8357:                             ;   in Loop: Header=BB6_5734 Depth=3
	s_mov_b32 s31, 0x7f800001
	s_xor_b32 s17, exec_lo, -1
; %bb.8358:                             ;   in Loop: Header=BB6_5734 Depth=3
	s_or_b32 exec_lo, exec_lo, s34
	s_delay_alu instid0(SALU_CYCLE_1)
	s_and_b32 s17, s17, exec_lo
	s_or_saveexec_b32 s13, s13
	v_mov_b32_e32 v89, s31
	s_xor_b32 exec_lo, exec_lo, s13
	s_cbranch_execz .LBB6_7129
.LBB6_8359:                             ;   in Loop: Header=BB6_5734 Depth=3
	v_cmp_ne_u16_e32 vcc_lo, 0, v23
	v_mov_b32_e32 v89, 0
	s_and_not1_b32 s17, s17, exec_lo
	s_and_b32 vcc_lo, vcc_lo, exec_lo
	s_delay_alu instid0(SALU_CYCLE_1)
	s_or_b32 s17, s17, vcc_lo
	s_or_b32 exec_lo, exec_lo, s13
	s_and_saveexec_b32 s13, s17
	s_cbranch_execnz .LBB6_7130
	s_branch .LBB6_7131
.LBB6_8360:                             ;   in Loop: Header=BB6_5734 Depth=3
	s_mov_b32 s13, -1
	s_mov_b32 s34, exec_lo
                                        ; implicit-def: $sgpr17
	v_cmpx_eq_u16_e32 0x80, v91
; %bb.8361:                             ;   in Loop: Header=BB6_5734 Depth=3
	s_mov_b32 s17, 0x7f800001
	s_xor_b32 s13, exec_lo, -1
; %bb.8362:                             ;   in Loop: Header=BB6_5734 Depth=3
	s_or_b32 exec_lo, exec_lo, s34
	s_delay_alu instid0(SALU_CYCLE_1)
	s_and_b32 s13, s13, exec_lo
                                        ; implicit-def: $vgpr91
	s_or_saveexec_b32 s31, s31
	v_mov_b32_e32 v90, s17
	s_xor_b32 exec_lo, exec_lo, s31
	s_cbranch_execz .LBB6_7133
.LBB6_8363:                             ;   in Loop: Header=BB6_5734 Depth=3
	v_cmp_ne_u16_e32 vcc_lo, 0, v91
	v_mov_b32_e32 v90, 0
	s_and_not1_b32 s13, s13, exec_lo
	s_and_b32 s17, vcc_lo, exec_lo
	s_delay_alu instid0(SALU_CYCLE_1)
	s_or_b32 s13, s13, s17
	s_or_b32 exec_lo, exec_lo, s31
	s_and_saveexec_b32 s17, s13
	s_cbranch_execnz .LBB6_7134
	s_branch .LBB6_7135
.LBB6_8364:                             ;   in Loop: Header=BB6_5734 Depth=3
	s_mov_b32 s13, -1
	s_mov_b32 s34, exec_lo
                                        ; implicit-def: $sgpr17
	v_cmpx_eq_u16_e32 0x80, v23
; %bb.8365:                             ;   in Loop: Header=BB6_5734 Depth=3
	s_mov_b32 s17, 0x7f800001
	s_xor_b32 s13, exec_lo, -1
; %bb.8366:                             ;   in Loop: Header=BB6_5734 Depth=3
	s_or_b32 exec_lo, exec_lo, s34
	s_delay_alu instid0(SALU_CYCLE_1)
	s_and_b32 s13, s13, exec_lo
                                        ; implicit-def: $vgpr23
	s_or_saveexec_b32 s31, s31
	v_mov_b32_e32 v89, s17
	s_xor_b32 exec_lo, exec_lo, s31
	s_cbranch_execz .LBB6_7140
.LBB6_8367:                             ;   in Loop: Header=BB6_5734 Depth=3
	v_cmp_ne_u16_e32 vcc_lo, 0, v23
	v_mov_b32_e32 v89, 0
	s_and_not1_b32 s13, s13, exec_lo
	s_and_b32 s17, vcc_lo, exec_lo
	s_delay_alu instid0(SALU_CYCLE_1)
	s_or_b32 s13, s13, s17
	s_or_b32 exec_lo, exec_lo, s31
	s_and_saveexec_b32 s17, s13
	s_cbranch_execnz .LBB6_7141
	s_branch .LBB6_7142
.LBB6_8368:                             ;   in Loop: Header=BB6_5734 Depth=3
	s_mov_b32 s13, -1
	s_mov_b32 s34, exec_lo
                                        ; implicit-def: $sgpr17
	v_cmpx_eq_u16_e32 0x80, v90
; %bb.8369:                             ;   in Loop: Header=BB6_5734 Depth=3
	s_mov_b32 s17, 0x7f800001
	s_xor_b32 s13, exec_lo, -1
; %bb.8370:                             ;   in Loop: Header=BB6_5734 Depth=3
	s_or_b32 exec_lo, exec_lo, s34
	s_delay_alu instid0(SALU_CYCLE_1)
	s_and_b32 s13, s13, exec_lo
                                        ; implicit-def: $vgpr90
	s_or_saveexec_b32 s31, s31
	v_mov_b32_e32 v23, s17
	s_xor_b32 exec_lo, exec_lo, s31
	s_cbranch_execz .LBB6_7144
.LBB6_8371:                             ;   in Loop: Header=BB6_5734 Depth=3
	v_cmp_ne_u16_e32 vcc_lo, 0, v90
	v_mov_b32_e32 v23, 0
	s_and_not1_b32 s13, s13, exec_lo
	s_and_b32 s17, vcc_lo, exec_lo
	s_delay_alu instid0(SALU_CYCLE_1)
	s_or_b32 s13, s13, s17
	s_or_b32 exec_lo, exec_lo, s31
	s_and_saveexec_b32 s17, s13
	s_cbranch_execnz .LBB6_7145
	s_branch .LBB6_7146
.LBB6_8372:                             ;   in Loop: Header=BB6_5734 Depth=3
	s_mov_b32 s17, -1
	s_mov_b32 s34, exec_lo
                                        ; implicit-def: $sgpr31
	v_cmpx_eq_u16_e32 0x80, v90
; %bb.8373:                             ;   in Loop: Header=BB6_5734 Depth=3
	s_mov_b32 s31, 0x7f800001
	s_xor_b32 s17, exec_lo, -1
; %bb.8374:                             ;   in Loop: Header=BB6_5734 Depth=3
	s_or_b32 exec_lo, exec_lo, s34
	s_delay_alu instid0(SALU_CYCLE_1)
	s_and_b32 s17, s17, exec_lo
	s_or_saveexec_b32 s13, s13
	v_mov_b32_e32 v91, s31
	s_xor_b32 exec_lo, exec_lo, s13
	s_cbranch_execz .LBB6_7158
.LBB6_8375:                             ;   in Loop: Header=BB6_5734 Depth=3
	v_cmp_ne_u16_e32 vcc_lo, 0, v90
	v_mov_b32_e32 v91, 0
	s_and_not1_b32 s17, s17, exec_lo
	s_and_b32 vcc_lo, vcc_lo, exec_lo
	s_delay_alu instid0(SALU_CYCLE_1)
	s_or_b32 s17, s17, vcc_lo
	s_or_b32 exec_lo, exec_lo, s13
	s_and_saveexec_b32 s13, s17
	s_cbranch_execnz .LBB6_7159
	s_branch .LBB6_7160
.LBB6_8376:                             ;   in Loop: Header=BB6_5734 Depth=3
	s_mov_b32 s13, -1
	s_mov_b32 s34, exec_lo
                                        ; implicit-def: $sgpr17
	v_cmpx_eq_u16_e32 0x80, v89
; %bb.8377:                             ;   in Loop: Header=BB6_5734 Depth=3
	s_mov_b32 s17, 0x7f800001
	s_xor_b32 s13, exec_lo, -1
; %bb.8378:                             ;   in Loop: Header=BB6_5734 Depth=3
	s_or_b32 exec_lo, exec_lo, s34
	s_delay_alu instid0(SALU_CYCLE_1)
	s_and_b32 s13, s13, exec_lo
	s_or_saveexec_b32 s31, s31
	v_mov_b32_e32 v92, s17
	s_xor_b32 exec_lo, exec_lo, s31
	s_cbranch_execz .LBB6_7162
.LBB6_8379:                             ;   in Loop: Header=BB6_5734 Depth=3
	v_cmp_ne_u16_e32 vcc_lo, 0, v89
	v_mov_b32_e32 v92, 0
	s_and_not1_b32 s13, s13, exec_lo
	s_and_b32 s17, vcc_lo, exec_lo
	s_delay_alu instid0(SALU_CYCLE_1)
	s_or_b32 s13, s13, s17
	s_or_b32 exec_lo, exec_lo, s31
	s_and_saveexec_b32 s17, s13
	s_cbranch_execnz .LBB6_7163
	s_branch .LBB6_7164
.LBB6_8380:                             ;   in Loop: Header=BB6_5734 Depth=3
	s_mov_b32 s13, -1
	s_mov_b32 s34, exec_lo
                                        ; implicit-def: $sgpr17
	v_cmpx_eq_u16_e32 0x80, v90
; %bb.8381:                             ;   in Loop: Header=BB6_5734 Depth=3
	s_mov_b32 s17, 0x7f800001
	s_xor_b32 s13, exec_lo, -1
; %bb.8382:                             ;   in Loop: Header=BB6_5734 Depth=3
	s_or_b32 exec_lo, exec_lo, s34
	s_delay_alu instid0(SALU_CYCLE_1)
	s_and_b32 s13, s13, exec_lo
	s_or_saveexec_b32 s31, s31
	v_mov_b32_e32 v91, s17
	s_xor_b32 exec_lo, exec_lo, s31
	s_cbranch_execz .LBB6_7169
.LBB6_8383:                             ;   in Loop: Header=BB6_5734 Depth=3
	v_cmp_ne_u16_e32 vcc_lo, 0, v90
	v_mov_b32_e32 v91, 0
	s_and_not1_b32 s13, s13, exec_lo
	s_and_b32 s17, vcc_lo, exec_lo
	s_delay_alu instid0(SALU_CYCLE_1)
	s_or_b32 s13, s13, s17
	s_or_b32 exec_lo, exec_lo, s31
	s_and_saveexec_b32 s17, s13
	s_cbranch_execnz .LBB6_7170
	s_branch .LBB6_7171
.LBB6_8384:                             ;   in Loop: Header=BB6_5734 Depth=3
	s_mov_b32 s13, -1
	s_mov_b32 s34, exec_lo
                                        ; implicit-def: $sgpr17
	v_cmpx_eq_u16_e32 0x80, v89
; %bb.8385:                             ;   in Loop: Header=BB6_5734 Depth=3
	s_mov_b32 s17, 0x7f800001
	s_xor_b32 s13, exec_lo, -1
; %bb.8386:                             ;   in Loop: Header=BB6_5734 Depth=3
	s_or_b32 exec_lo, exec_lo, s34
	s_delay_alu instid0(SALU_CYCLE_1)
	s_and_b32 s13, s13, exec_lo
	s_or_saveexec_b32 s31, s31
	v_mov_b32_e32 v90, s17
	s_xor_b32 exec_lo, exec_lo, s31
	s_cbranch_execz .LBB6_7173
.LBB6_8387:                             ;   in Loop: Header=BB6_5734 Depth=3
	v_cmp_ne_u16_e32 vcc_lo, 0, v89
	v_mov_b32_e32 v90, 0
	s_and_not1_b32 s13, s13, exec_lo
	s_and_b32 s17, vcc_lo, exec_lo
	s_delay_alu instid0(SALU_CYCLE_1)
	s_or_b32 s13, s13, s17
	s_or_b32 exec_lo, exec_lo, s31
	s_and_saveexec_b32 s17, s13
	s_cbranch_execnz .LBB6_7174
	s_branch .LBB6_7175
.LBB6_8388:                             ;   in Loop: Header=BB6_5734 Depth=3
	s_mov_b32 s17, -1
	s_mov_b32 s34, exec_lo
                                        ; implicit-def: $sgpr31
	v_cmpx_eq_u16_e32 0x80, v92
; %bb.8389:                             ;   in Loop: Header=BB6_5734 Depth=3
	s_mov_b32 s31, 0x7f800001
	s_xor_b32 s17, exec_lo, -1
; %bb.8390:                             ;   in Loop: Header=BB6_5734 Depth=3
	s_or_b32 exec_lo, exec_lo, s34
	s_delay_alu instid0(SALU_CYCLE_1)
	s_and_b32 s17, s17, exec_lo
	s_or_saveexec_b32 s13, s13
	v_mov_b32_e32 v93, s31
	s_xor_b32 exec_lo, exec_lo, s13
	s_cbranch_execz .LBB6_7187
.LBB6_8391:                             ;   in Loop: Header=BB6_5734 Depth=3
	v_cmp_ne_u16_e32 vcc_lo, 0, v92
	v_mov_b32_e32 v93, 0
	s_and_not1_b32 s17, s17, exec_lo
	s_and_b32 vcc_lo, vcc_lo, exec_lo
	s_delay_alu instid0(SALU_CYCLE_1)
	s_or_b32 s17, s17, vcc_lo
	s_or_b32 exec_lo, exec_lo, s13
	s_and_saveexec_b32 s13, s17
	s_cbranch_execnz .LBB6_7188
	s_branch .LBB6_7189
.LBB6_8392:                             ;   in Loop: Header=BB6_5734 Depth=3
	s_mov_b32 s13, -1
	s_mov_b32 s34, exec_lo
                                        ; implicit-def: $sgpr17
	v_cmpx_eq_u16_e32 0x80, v95
; %bb.8393:                             ;   in Loop: Header=BB6_5734 Depth=3
	s_mov_b32 s17, 0x7f800001
	s_xor_b32 s13, exec_lo, -1
; %bb.8394:                             ;   in Loop: Header=BB6_5734 Depth=3
	s_or_b32 exec_lo, exec_lo, s34
	s_delay_alu instid0(SALU_CYCLE_1)
	s_and_b32 s13, s13, exec_lo
                                        ; implicit-def: $vgpr95
	s_or_saveexec_b32 s31, s31
	v_mov_b32_e32 v94, s17
	s_xor_b32 exec_lo, exec_lo, s31
	s_cbranch_execz .LBB6_7191
.LBB6_8395:                             ;   in Loop: Header=BB6_5734 Depth=3
	v_cmp_ne_u16_e32 vcc_lo, 0, v95
	v_mov_b32_e32 v94, 0
	s_and_not1_b32 s13, s13, exec_lo
	s_and_b32 s17, vcc_lo, exec_lo
	s_delay_alu instid0(SALU_CYCLE_1)
	s_or_b32 s13, s13, s17
	s_or_b32 exec_lo, exec_lo, s31
	s_and_saveexec_b32 s17, s13
	s_cbranch_execnz .LBB6_7192
	s_branch .LBB6_7193
.LBB6_8396:                             ;   in Loop: Header=BB6_5734 Depth=3
	s_mov_b32 s13, -1
	s_mov_b32 s34, exec_lo
                                        ; implicit-def: $sgpr17
	v_cmpx_eq_u16_e32 0x80, v92
; %bb.8397:                             ;   in Loop: Header=BB6_5734 Depth=3
	s_mov_b32 s17, 0x7f800001
	s_xor_b32 s13, exec_lo, -1
; %bb.8398:                             ;   in Loop: Header=BB6_5734 Depth=3
	s_or_b32 exec_lo, exec_lo, s34
	s_delay_alu instid0(SALU_CYCLE_1)
	s_and_b32 s13, s13, exec_lo
                                        ; implicit-def: $vgpr92
	s_or_saveexec_b32 s31, s31
	v_mov_b32_e32 v93, s17
	s_xor_b32 exec_lo, exec_lo, s31
	s_cbranch_execz .LBB6_7198
.LBB6_8399:                             ;   in Loop: Header=BB6_5734 Depth=3
	v_cmp_ne_u16_e32 vcc_lo, 0, v92
	v_mov_b32_e32 v93, 0
	s_and_not1_b32 s13, s13, exec_lo
	s_and_b32 s17, vcc_lo, exec_lo
	s_delay_alu instid0(SALU_CYCLE_1)
	s_or_b32 s13, s13, s17
	s_or_b32 exec_lo, exec_lo, s31
	s_and_saveexec_b32 s17, s13
	s_cbranch_execnz .LBB6_7199
	s_branch .LBB6_7200
.LBB6_8400:                             ;   in Loop: Header=BB6_5734 Depth=3
	s_mov_b32 s13, -1
	s_mov_b32 s34, exec_lo
                                        ; implicit-def: $sgpr17
	v_cmpx_eq_u16_e32 0x80, v92
; %bb.8401:                             ;   in Loop: Header=BB6_5734 Depth=3
	s_mov_b32 s17, 0x7f800001
	s_xor_b32 s13, exec_lo, -1
; %bb.8402:                             ;   in Loop: Header=BB6_5734 Depth=3
	s_or_b32 exec_lo, exec_lo, s34
	s_delay_alu instid0(SALU_CYCLE_1)
	s_and_b32 s13, s13, exec_lo
                                        ; implicit-def: $vgpr92
	s_or_saveexec_b32 s31, s31
	v_mov_b32_e32 v91, s17
	s_xor_b32 exec_lo, exec_lo, s31
	s_cbranch_execz .LBB6_7202
.LBB6_8403:                             ;   in Loop: Header=BB6_5734 Depth=3
	v_cmp_ne_u16_e32 vcc_lo, 0, v92
	v_mov_b32_e32 v91, 0
	s_and_not1_b32 s13, s13, exec_lo
	s_and_b32 s17, vcc_lo, exec_lo
	s_delay_alu instid0(SALU_CYCLE_1)
	s_or_b32 s13, s13, s17
	s_or_b32 exec_lo, exec_lo, s31
	s_and_saveexec_b32 s17, s13
	s_cbranch_execnz .LBB6_7203
	s_branch .LBB6_7204
.LBB6_8404:                             ;   in Loop: Header=BB6_5734 Depth=3
	s_mov_b32 s17, -1
	s_mov_b32 s34, exec_lo
                                        ; implicit-def: $sgpr31
	v_cmpx_eq_u16_e32 0x80, v92
; %bb.8405:                             ;   in Loop: Header=BB6_5734 Depth=3
	s_mov_b32 s31, 0x7f800001
	s_xor_b32 s17, exec_lo, -1
; %bb.8406:                             ;   in Loop: Header=BB6_5734 Depth=3
	s_or_b32 exec_lo, exec_lo, s34
	s_delay_alu instid0(SALU_CYCLE_1)
	s_and_b32 s17, s17, exec_lo
	s_or_saveexec_b32 s13, s13
	v_mov_b32_e32 v93, s31
	s_xor_b32 exec_lo, exec_lo, s13
	s_cbranch_execz .LBB6_7216
.LBB6_8407:                             ;   in Loop: Header=BB6_5734 Depth=3
	v_cmp_ne_u16_e32 vcc_lo, 0, v92
	v_mov_b32_e32 v93, 0
	s_and_not1_b32 s17, s17, exec_lo
	s_and_b32 vcc_lo, vcc_lo, exec_lo
	s_delay_alu instid0(SALU_CYCLE_1)
	s_or_b32 s17, s17, vcc_lo
	s_or_b32 exec_lo, exec_lo, s13
	s_and_saveexec_b32 s13, s17
	s_cbranch_execnz .LBB6_7217
	s_branch .LBB6_7218
.LBB6_8408:                             ;   in Loop: Header=BB6_5734 Depth=3
	s_mov_b32 s13, -1
	s_mov_b32 s34, exec_lo
                                        ; implicit-def: $sgpr17
	v_cmpx_eq_u16_e32 0x80, v91
; %bb.8409:                             ;   in Loop: Header=BB6_5734 Depth=3
	s_mov_b32 s17, 0x7f800001
	s_xor_b32 s13, exec_lo, -1
; %bb.8410:                             ;   in Loop: Header=BB6_5734 Depth=3
	s_or_b32 exec_lo, exec_lo, s34
	s_delay_alu instid0(SALU_CYCLE_1)
	s_and_b32 s13, s13, exec_lo
	s_or_saveexec_b32 s31, s31
	v_mov_b32_e32 v94, s17
	s_xor_b32 exec_lo, exec_lo, s31
	s_cbranch_execz .LBB6_7220
.LBB6_8411:                             ;   in Loop: Header=BB6_5734 Depth=3
	v_cmp_ne_u16_e32 vcc_lo, 0, v91
	v_mov_b32_e32 v94, 0
	s_and_not1_b32 s13, s13, exec_lo
	s_and_b32 s17, vcc_lo, exec_lo
	s_delay_alu instid0(SALU_CYCLE_1)
	s_or_b32 s13, s13, s17
	s_or_b32 exec_lo, exec_lo, s31
	s_and_saveexec_b32 s17, s13
	s_cbranch_execnz .LBB6_7221
	s_branch .LBB6_7222
.LBB6_8412:                             ;   in Loop: Header=BB6_5734 Depth=3
	s_mov_b32 s13, -1
	s_mov_b32 s34, exec_lo
                                        ; implicit-def: $sgpr17
	v_cmpx_eq_u16_e32 0x80, v92
; %bb.8413:                             ;   in Loop: Header=BB6_5734 Depth=3
	s_mov_b32 s17, 0x7f800001
	s_xor_b32 s13, exec_lo, -1
; %bb.8414:                             ;   in Loop: Header=BB6_5734 Depth=3
	s_or_b32 exec_lo, exec_lo, s34
	s_delay_alu instid0(SALU_CYCLE_1)
	s_and_b32 s13, s13, exec_lo
	s_or_saveexec_b32 s31, s31
	v_mov_b32_e32 v93, s17
	s_xor_b32 exec_lo, exec_lo, s31
	s_cbranch_execz .LBB6_7227
.LBB6_8415:                             ;   in Loop: Header=BB6_5734 Depth=3
	v_cmp_ne_u16_e32 vcc_lo, 0, v92
	v_mov_b32_e32 v93, 0
	s_and_not1_b32 s13, s13, exec_lo
	s_and_b32 s17, vcc_lo, exec_lo
	s_delay_alu instid0(SALU_CYCLE_1)
	s_or_b32 s13, s13, s17
	s_or_b32 exec_lo, exec_lo, s31
	s_and_saveexec_b32 s17, s13
	s_cbranch_execnz .LBB6_7228
	s_branch .LBB6_7229
.LBB6_8416:                             ;   in Loop: Header=BB6_5734 Depth=3
	s_mov_b32 s13, -1
	s_mov_b32 s34, exec_lo
                                        ; implicit-def: $sgpr17
	v_cmpx_eq_u16_e32 0x80, v91
; %bb.8417:                             ;   in Loop: Header=BB6_5734 Depth=3
	s_mov_b32 s17, 0x7f800001
	s_xor_b32 s13, exec_lo, -1
; %bb.8418:                             ;   in Loop: Header=BB6_5734 Depth=3
	s_or_b32 exec_lo, exec_lo, s34
	s_delay_alu instid0(SALU_CYCLE_1)
	s_and_b32 s13, s13, exec_lo
	s_or_saveexec_b32 s31, s31
	v_mov_b32_e32 v12, s17
	s_xor_b32 exec_lo, exec_lo, s31
	s_cbranch_execz .LBB6_7231
.LBB6_8419:                             ;   in Loop: Header=BB6_5734 Depth=3
	v_cmp_ne_u16_e32 vcc_lo, 0, v91
	v_mov_b32_e32 v12, 0
	s_and_not1_b32 s13, s13, exec_lo
	s_and_b32 s17, vcc_lo, exec_lo
	s_delay_alu instid0(SALU_CYCLE_1)
	s_or_b32 s13, s13, s17
	s_or_b32 exec_lo, exec_lo, s31
	s_and_saveexec_b32 s17, s13
	s_cbranch_execnz .LBB6_7232
	s_branch .LBB6_7233
.LBB6_8420:                             ;   in Loop: Header=BB6_5734 Depth=3
	s_mov_b32 s17, -1
	s_mov_b32 s34, exec_lo
                                        ; implicit-def: $sgpr31
	v_cmpx_eq_u16_e32 0x80, v12
; %bb.8421:                             ;   in Loop: Header=BB6_5734 Depth=3
	s_mov_b32 s31, 0x7f800001
	s_xor_b32 s17, exec_lo, -1
; %bb.8422:                             ;   in Loop: Header=BB6_5734 Depth=3
	s_or_b32 exec_lo, exec_lo, s34
	s_delay_alu instid0(SALU_CYCLE_1)
	s_and_b32 s17, s17, exec_lo
	s_or_saveexec_b32 s13, s13
	v_mov_b32_e32 v91, s31
	s_xor_b32 exec_lo, exec_lo, s13
	s_cbranch_execz .LBB6_7245
.LBB6_8423:                             ;   in Loop: Header=BB6_5734 Depth=3
	v_cmp_ne_u16_e32 vcc_lo, 0, v12
	v_mov_b32_e32 v91, 0
	s_and_not1_b32 s17, s17, exec_lo
	s_and_b32 vcc_lo, vcc_lo, exec_lo
	s_delay_alu instid0(SALU_CYCLE_1)
	s_or_b32 s17, s17, vcc_lo
	s_or_b32 exec_lo, exec_lo, s13
	s_and_saveexec_b32 s13, s17
	s_cbranch_execnz .LBB6_7246
	s_branch .LBB6_7247
.LBB6_8424:                             ;   in Loop: Header=BB6_5734 Depth=3
	s_mov_b32 s13, -1
	s_mov_b32 s34, exec_lo
                                        ; implicit-def: $sgpr17
	v_cmpx_eq_u16_e32 0x80, v93
; %bb.8425:                             ;   in Loop: Header=BB6_5734 Depth=3
	s_mov_b32 s17, 0x7f800001
	s_xor_b32 s13, exec_lo, -1
; %bb.8426:                             ;   in Loop: Header=BB6_5734 Depth=3
	s_or_b32 exec_lo, exec_lo, s34
	s_delay_alu instid0(SALU_CYCLE_1)
	s_and_b32 s13, s13, exec_lo
                                        ; implicit-def: $vgpr93
	s_or_saveexec_b32 s31, s31
	v_mov_b32_e32 v92, s17
	s_xor_b32 exec_lo, exec_lo, s31
	s_cbranch_execz .LBB6_7249
.LBB6_8427:                             ;   in Loop: Header=BB6_5734 Depth=3
	v_cmp_ne_u16_e32 vcc_lo, 0, v93
	v_mov_b32_e32 v92, 0
	s_and_not1_b32 s13, s13, exec_lo
	s_and_b32 s17, vcc_lo, exec_lo
	s_delay_alu instid0(SALU_CYCLE_1)
	s_or_b32 s13, s13, s17
	s_or_b32 exec_lo, exec_lo, s31
	s_and_saveexec_b32 s17, s13
	s_cbranch_execnz .LBB6_7250
	s_branch .LBB6_7251
.LBB6_8428:                             ;   in Loop: Header=BB6_5734 Depth=3
	s_mov_b32 s13, -1
	s_mov_b32 s34, exec_lo
                                        ; implicit-def: $sgpr17
	v_cmpx_eq_u16_e32 0x80, v12
; %bb.8429:                             ;   in Loop: Header=BB6_5734 Depth=3
	s_mov_b32 s17, 0x7f800001
	s_xor_b32 s13, exec_lo, -1
; %bb.8430:                             ;   in Loop: Header=BB6_5734 Depth=3
	s_or_b32 exec_lo, exec_lo, s34
	s_delay_alu instid0(SALU_CYCLE_1)
	s_and_b32 s13, s13, exec_lo
                                        ; implicit-def: $vgpr12
	s_or_saveexec_b32 s31, s31
	v_mov_b32_e32 v91, s17
	s_xor_b32 exec_lo, exec_lo, s31
	s_cbranch_execz .LBB6_7256
.LBB6_8431:                             ;   in Loop: Header=BB6_5734 Depth=3
	v_cmp_ne_u16_e32 vcc_lo, 0, v12
	v_mov_b32_e32 v91, 0
	s_and_not1_b32 s13, s13, exec_lo
	s_and_b32 s17, vcc_lo, exec_lo
	s_delay_alu instid0(SALU_CYCLE_1)
	s_or_b32 s13, s13, s17
	s_or_b32 exec_lo, exec_lo, s31
	s_and_saveexec_b32 s17, s13
	s_cbranch_execnz .LBB6_7257
	s_branch .LBB6_7258
.LBB6_8432:                             ;   in Loop: Header=BB6_5734 Depth=3
	s_mov_b32 s13, -1
	s_mov_b32 s34, exec_lo
                                        ; implicit-def: $sgpr17
	v_cmpx_eq_u16_e32 0x80, v92
; %bb.8433:                             ;   in Loop: Header=BB6_5734 Depth=3
	s_mov_b32 s17, 0x7f800001
	s_xor_b32 s13, exec_lo, -1
; %bb.8434:                             ;   in Loop: Header=BB6_5734 Depth=3
	s_or_b32 exec_lo, exec_lo, s34
	s_delay_alu instid0(SALU_CYCLE_1)
	s_and_b32 s13, s13, exec_lo
                                        ; implicit-def: $vgpr92
	s_or_saveexec_b32 s31, s31
	v_mov_b32_e32 v12, s17
	s_xor_b32 exec_lo, exec_lo, s31
	s_cbranch_execz .LBB6_7260
.LBB6_8435:                             ;   in Loop: Header=BB6_5734 Depth=3
	v_cmp_ne_u16_e32 vcc_lo, 0, v92
	v_mov_b32_e32 v12, 0
	s_and_not1_b32 s13, s13, exec_lo
	s_and_b32 s17, vcc_lo, exec_lo
	s_delay_alu instid0(SALU_CYCLE_1)
	s_or_b32 s13, s13, s17
	s_or_b32 exec_lo, exec_lo, s31
	s_and_saveexec_b32 s17, s13
	s_cbranch_execnz .LBB6_7261
	s_branch .LBB6_7262
.LBB6_8436:                             ;   in Loop: Header=BB6_5734 Depth=3
	s_mov_b32 s17, -1
	s_mov_b32 s34, exec_lo
                                        ; implicit-def: $sgpr31
	v_cmpx_eq_u16_e32 0x80, v92
; %bb.8437:                             ;   in Loop: Header=BB6_5734 Depth=3
	s_mov_b32 s31, 0x7f800001
	s_xor_b32 s17, exec_lo, -1
; %bb.8438:                             ;   in Loop: Header=BB6_5734 Depth=3
	s_or_b32 exec_lo, exec_lo, s34
	s_delay_alu instid0(SALU_CYCLE_1)
	s_and_b32 s17, s17, exec_lo
	s_or_saveexec_b32 s13, s13
	v_mov_b32_e32 v93, s31
	s_xor_b32 exec_lo, exec_lo, s13
	s_cbranch_execz .LBB6_7274
.LBB6_8439:                             ;   in Loop: Header=BB6_5734 Depth=3
	v_cmp_ne_u16_e32 vcc_lo, 0, v92
	v_mov_b32_e32 v93, 0
	s_and_not1_b32 s17, s17, exec_lo
	s_and_b32 vcc_lo, vcc_lo, exec_lo
	s_delay_alu instid0(SALU_CYCLE_1)
	s_or_b32 s17, s17, vcc_lo
	s_or_b32 exec_lo, exec_lo, s13
	s_and_saveexec_b32 s13, s17
	s_cbranch_execnz .LBB6_7275
	s_branch .LBB6_7276
.LBB6_8440:                             ;   in Loop: Header=BB6_5734 Depth=3
	s_mov_b32 s13, -1
	s_mov_b32 s34, exec_lo
                                        ; implicit-def: $sgpr17
	v_cmpx_eq_u16_e32 0x80, v91
; %bb.8441:                             ;   in Loop: Header=BB6_5734 Depth=3
	s_mov_b32 s17, 0x7f800001
	s_xor_b32 s13, exec_lo, -1
; %bb.8442:                             ;   in Loop: Header=BB6_5734 Depth=3
	s_or_b32 exec_lo, exec_lo, s34
	s_delay_alu instid0(SALU_CYCLE_1)
	s_and_b32 s13, s13, exec_lo
	s_or_saveexec_b32 s31, s31
	v_mov_b32_e32 v94, s17
	s_xor_b32 exec_lo, exec_lo, s31
	s_cbranch_execz .LBB6_7278
.LBB6_8443:                             ;   in Loop: Header=BB6_5734 Depth=3
	v_cmp_ne_u16_e32 vcc_lo, 0, v91
	v_mov_b32_e32 v94, 0
	s_and_not1_b32 s13, s13, exec_lo
	s_and_b32 s17, vcc_lo, exec_lo
	s_delay_alu instid0(SALU_CYCLE_1)
	s_or_b32 s13, s13, s17
	s_or_b32 exec_lo, exec_lo, s31
	s_and_saveexec_b32 s17, s13
	s_cbranch_execnz .LBB6_7279
	s_branch .LBB6_7280
.LBB6_8444:                             ;   in Loop: Header=BB6_5734 Depth=3
	s_mov_b32 s13, -1
	s_mov_b32 s34, exec_lo
                                        ; implicit-def: $sgpr17
	v_cmpx_eq_u16_e32 0x80, v92
; %bb.8445:                             ;   in Loop: Header=BB6_5734 Depth=3
	s_mov_b32 s17, 0x7f800001
	s_xor_b32 s13, exec_lo, -1
; %bb.8446:                             ;   in Loop: Header=BB6_5734 Depth=3
	s_or_b32 exec_lo, exec_lo, s34
	s_delay_alu instid0(SALU_CYCLE_1)
	s_and_b32 s13, s13, exec_lo
	s_or_saveexec_b32 s31, s31
	v_mov_b32_e32 v93, s17
	s_xor_b32 exec_lo, exec_lo, s31
	s_cbranch_execz .LBB6_7285
.LBB6_8447:                             ;   in Loop: Header=BB6_5734 Depth=3
	v_cmp_ne_u16_e32 vcc_lo, 0, v92
	v_mov_b32_e32 v93, 0
	s_and_not1_b32 s13, s13, exec_lo
	s_and_b32 s17, vcc_lo, exec_lo
	s_delay_alu instid0(SALU_CYCLE_1)
	s_or_b32 s13, s13, s17
	s_or_b32 exec_lo, exec_lo, s31
	s_and_saveexec_b32 s17, s13
	s_cbranch_execnz .LBB6_7286
	s_branch .LBB6_7287
.LBB6_8448:                             ;   in Loop: Header=BB6_5734 Depth=3
	s_mov_b32 s13, -1
	s_mov_b32 s34, exec_lo
                                        ; implicit-def: $sgpr17
	v_cmpx_eq_u16_e32 0x80, v91
; %bb.8449:                             ;   in Loop: Header=BB6_5734 Depth=3
	s_mov_b32 s17, 0x7f800001
	s_xor_b32 s13, exec_lo, -1
; %bb.8450:                             ;   in Loop: Header=BB6_5734 Depth=3
	s_or_b32 exec_lo, exec_lo, s34
	s_delay_alu instid0(SALU_CYCLE_1)
	s_and_b32 s13, s13, exec_lo
	s_or_saveexec_b32 s31, s31
	v_mov_b32_e32 v92, s17
	s_xor_b32 exec_lo, exec_lo, s31
	s_cbranch_execz .LBB6_7289
.LBB6_8451:                             ;   in Loop: Header=BB6_5734 Depth=3
	v_cmp_ne_u16_e32 vcc_lo, 0, v91
	v_mov_b32_e32 v92, 0
	s_and_not1_b32 s13, s13, exec_lo
	s_and_b32 s17, vcc_lo, exec_lo
	s_delay_alu instid0(SALU_CYCLE_1)
	s_or_b32 s13, s13, s17
	s_or_b32 exec_lo, exec_lo, s31
	s_and_saveexec_b32 s17, s13
	s_cbranch_execnz .LBB6_7290
	s_branch .LBB6_7291
.LBB6_8452:                             ;   in Loop: Header=BB6_5734 Depth=3
	s_mov_b32 s17, -1
	s_mov_b32 s34, exec_lo
                                        ; implicit-def: $sgpr31
	v_cmpx_eq_u16_e32 0x80, v94
; %bb.8453:                             ;   in Loop: Header=BB6_5734 Depth=3
	s_mov_b32 s31, 0x7f800001
	s_xor_b32 s17, exec_lo, -1
; %bb.8454:                             ;   in Loop: Header=BB6_5734 Depth=3
	s_or_b32 exec_lo, exec_lo, s34
	s_delay_alu instid0(SALU_CYCLE_1)
	s_and_b32 s17, s17, exec_lo
	s_or_saveexec_b32 s13, s13
	v_mov_b32_e32 v95, s31
	s_xor_b32 exec_lo, exec_lo, s13
	s_cbranch_execz .LBB6_7303
.LBB6_8455:                             ;   in Loop: Header=BB6_5734 Depth=3
	v_cmp_ne_u16_e32 vcc_lo, 0, v94
	v_mov_b32_e32 v95, 0
	s_and_not1_b32 s17, s17, exec_lo
	s_and_b32 vcc_lo, vcc_lo, exec_lo
	s_delay_alu instid0(SALU_CYCLE_1)
	s_or_b32 s17, s17, vcc_lo
	s_or_b32 exec_lo, exec_lo, s13
	s_and_saveexec_b32 s13, s17
	s_cbranch_execnz .LBB6_7304
	s_branch .LBB6_7305
.LBB6_8456:                             ;   in Loop: Header=BB6_5734 Depth=3
	s_mov_b32 s13, -1
	s_mov_b32 s34, exec_lo
                                        ; implicit-def: $sgpr17
	v_cmpx_eq_u16_e32 0x80, v105
; %bb.8457:                             ;   in Loop: Header=BB6_5734 Depth=3
	s_mov_b32 s17, 0x7f800001
	s_xor_b32 s13, exec_lo, -1
; %bb.8458:                             ;   in Loop: Header=BB6_5734 Depth=3
	s_or_b32 exec_lo, exec_lo, s34
	s_delay_alu instid0(SALU_CYCLE_1)
	s_and_b32 s13, s13, exec_lo
                                        ; implicit-def: $vgpr105
	s_or_saveexec_b32 s31, s31
	v_mov_b32_e32 v104, s17
	s_xor_b32 exec_lo, exec_lo, s31
	s_cbranch_execz .LBB6_7307
.LBB6_8459:                             ;   in Loop: Header=BB6_5734 Depth=3
	v_cmp_ne_u16_e32 vcc_lo, 0, v105
	v_mov_b32_e32 v104, 0
	s_and_not1_b32 s13, s13, exec_lo
	s_and_b32 s17, vcc_lo, exec_lo
	s_delay_alu instid0(SALU_CYCLE_1)
	s_or_b32 s13, s13, s17
	s_or_b32 exec_lo, exec_lo, s31
	s_and_saveexec_b32 s17, s13
	s_cbranch_execnz .LBB6_7308
	s_branch .LBB6_7309
.LBB6_8460:                             ;   in Loop: Header=BB6_5734 Depth=3
	s_mov_b32 s13, -1
	s_mov_b32 s34, exec_lo
                                        ; implicit-def: $sgpr17
	v_cmpx_eq_u16_e32 0x80, v94
; %bb.8461:                             ;   in Loop: Header=BB6_5734 Depth=3
	s_mov_b32 s17, 0x7f800001
	s_xor_b32 s13, exec_lo, -1
; %bb.8462:                             ;   in Loop: Header=BB6_5734 Depth=3
	s_or_b32 exec_lo, exec_lo, s34
	s_delay_alu instid0(SALU_CYCLE_1)
	s_and_b32 s13, s13, exec_lo
                                        ; implicit-def: $vgpr94
	s_or_saveexec_b32 s31, s31
	v_mov_b32_e32 v95, s17
	s_xor_b32 exec_lo, exec_lo, s31
	s_cbranch_execz .LBB6_7314
.LBB6_8463:                             ;   in Loop: Header=BB6_5734 Depth=3
	v_cmp_ne_u16_e32 vcc_lo, 0, v94
	v_mov_b32_e32 v95, 0
	s_and_not1_b32 s13, s13, exec_lo
	s_and_b32 s17, vcc_lo, exec_lo
	s_delay_alu instid0(SALU_CYCLE_1)
	s_or_b32 s13, s13, s17
	s_or_b32 exec_lo, exec_lo, s31
	s_and_saveexec_b32 s17, s13
	s_cbranch_execnz .LBB6_7315
	s_branch .LBB6_7316
.LBB6_8464:                             ;   in Loop: Header=BB6_5734 Depth=3
	s_mov_b32 s13, -1
	s_mov_b32 s34, exec_lo
                                        ; implicit-def: $sgpr17
	v_cmpx_eq_u16_e32 0x80, v94
; %bb.8465:                             ;   in Loop: Header=BB6_5734 Depth=3
	s_mov_b32 s17, 0x7f800001
	s_xor_b32 s13, exec_lo, -1
; %bb.8466:                             ;   in Loop: Header=BB6_5734 Depth=3
	s_or_b32 exec_lo, exec_lo, s34
	s_delay_alu instid0(SALU_CYCLE_1)
	s_and_b32 s13, s13, exec_lo
                                        ; implicit-def: $vgpr94
	s_or_saveexec_b32 s31, s31
	v_mov_b32_e32 v93, s17
	s_xor_b32 exec_lo, exec_lo, s31
	s_cbranch_execz .LBB6_7318
.LBB6_8467:                             ;   in Loop: Header=BB6_5734 Depth=3
	v_cmp_ne_u16_e32 vcc_lo, 0, v94
	v_mov_b32_e32 v93, 0
	s_and_not1_b32 s13, s13, exec_lo
	s_and_b32 s17, vcc_lo, exec_lo
	s_delay_alu instid0(SALU_CYCLE_1)
	s_or_b32 s13, s13, s17
	s_or_b32 exec_lo, exec_lo, s31
	s_and_saveexec_b32 s17, s13
	s_cbranch_execnz .LBB6_7319
	s_branch .LBB6_7320
.LBB6_8468:                             ;   in Loop: Header=BB6_5734 Depth=3
	s_mov_b32 s17, -1
	s_mov_b32 s34, exec_lo
                                        ; implicit-def: $sgpr31
	v_cmpx_eq_u16_e32 0x80, v94
; %bb.8469:                             ;   in Loop: Header=BB6_5734 Depth=3
	s_mov_b32 s31, 0x7f800001
	s_xor_b32 s17, exec_lo, -1
; %bb.8470:                             ;   in Loop: Header=BB6_5734 Depth=3
	s_or_b32 exec_lo, exec_lo, s34
	s_delay_alu instid0(SALU_CYCLE_1)
	s_and_b32 s17, s17, exec_lo
	s_or_saveexec_b32 s13, s13
	v_mov_b32_e32 v95, s31
	s_xor_b32 exec_lo, exec_lo, s13
	s_cbranch_execz .LBB6_7332
.LBB6_8471:                             ;   in Loop: Header=BB6_5734 Depth=3
	v_cmp_ne_u16_e32 vcc_lo, 0, v94
	v_mov_b32_e32 v95, 0
	s_and_not1_b32 s17, s17, exec_lo
	s_and_b32 vcc_lo, vcc_lo, exec_lo
	s_delay_alu instid0(SALU_CYCLE_1)
	s_or_b32 s17, s17, vcc_lo
	s_or_b32 exec_lo, exec_lo, s13
	s_and_saveexec_b32 s13, s17
	s_cbranch_execnz .LBB6_7333
	s_branch .LBB6_7334
.LBB6_8472:                             ;   in Loop: Header=BB6_5734 Depth=3
	s_mov_b32 s13, -1
	s_mov_b32 s34, exec_lo
                                        ; implicit-def: $sgpr17
	v_cmpx_eq_u16_e32 0x80, v93
; %bb.8473:                             ;   in Loop: Header=BB6_5734 Depth=3
	s_mov_b32 s17, 0x7f800001
	s_xor_b32 s13, exec_lo, -1
; %bb.8474:                             ;   in Loop: Header=BB6_5734 Depth=3
	s_or_b32 exec_lo, exec_lo, s34
	s_delay_alu instid0(SALU_CYCLE_1)
	s_and_b32 s13, s13, exec_lo
	s_or_saveexec_b32 s31, s31
	v_mov_b32_e32 v104, s17
	s_xor_b32 exec_lo, exec_lo, s31
	s_cbranch_execz .LBB6_7336
.LBB6_8475:                             ;   in Loop: Header=BB6_5734 Depth=3
	v_cmp_ne_u16_e32 vcc_lo, 0, v93
	v_mov_b32_e32 v104, 0
	s_and_not1_b32 s13, s13, exec_lo
	s_and_b32 s17, vcc_lo, exec_lo
	s_delay_alu instid0(SALU_CYCLE_1)
	s_or_b32 s13, s13, s17
	s_or_b32 exec_lo, exec_lo, s31
	s_and_saveexec_b32 s17, s13
	s_cbranch_execnz .LBB6_7337
	s_branch .LBB6_7338
.LBB6_8476:                             ;   in Loop: Header=BB6_5734 Depth=3
	s_mov_b32 s13, -1
	s_mov_b32 s34, exec_lo
                                        ; implicit-def: $sgpr17
	v_cmpx_eq_u16_e32 0x80, v94
; %bb.8477:                             ;   in Loop: Header=BB6_5734 Depth=3
	s_mov_b32 s17, 0x7f800001
	s_xor_b32 s13, exec_lo, -1
; %bb.8478:                             ;   in Loop: Header=BB6_5734 Depth=3
	s_or_b32 exec_lo, exec_lo, s34
	s_delay_alu instid0(SALU_CYCLE_1)
	s_and_b32 s13, s13, exec_lo
	s_or_saveexec_b32 s31, s31
	v_mov_b32_e32 v95, s17
	s_xor_b32 exec_lo, exec_lo, s31
	s_cbranch_execz .LBB6_7343
.LBB6_8479:                             ;   in Loop: Header=BB6_5734 Depth=3
	v_cmp_ne_u16_e32 vcc_lo, 0, v94
	v_mov_b32_e32 v95, 0
	s_and_not1_b32 s13, s13, exec_lo
	s_and_b32 s17, vcc_lo, exec_lo
	s_delay_alu instid0(SALU_CYCLE_1)
	s_or_b32 s13, s13, s17
	s_or_b32 exec_lo, exec_lo, s31
	s_and_saveexec_b32 s17, s13
	s_cbranch_execnz .LBB6_7344
	s_branch .LBB6_7345
.LBB6_8480:                             ;   in Loop: Header=BB6_5734 Depth=3
	s_mov_b32 s13, -1
	s_mov_b32 s34, exec_lo
                                        ; implicit-def: $sgpr17
	v_cmpx_eq_u16_e32 0x80, v93
; %bb.8481:                             ;   in Loop: Header=BB6_5734 Depth=3
	s_mov_b32 s17, 0x7f800001
	s_xor_b32 s13, exec_lo, -1
; %bb.8482:                             ;   in Loop: Header=BB6_5734 Depth=3
	s_or_b32 exec_lo, exec_lo, s34
	s_delay_alu instid0(SALU_CYCLE_1)
	s_and_b32 s13, s13, exec_lo
	s_or_saveexec_b32 s31, s31
	v_mov_b32_e32 v13, s17
	s_xor_b32 exec_lo, exec_lo, s31
	s_cbranch_execz .LBB6_7347
.LBB6_8483:                             ;   in Loop: Header=BB6_5734 Depth=3
	v_cmp_ne_u16_e32 vcc_lo, 0, v93
	v_mov_b32_e32 v13, 0
	s_and_not1_b32 s13, s13, exec_lo
	s_and_b32 s17, vcc_lo, exec_lo
	s_delay_alu instid0(SALU_CYCLE_1)
	s_or_b32 s13, s13, s17
	s_or_b32 exec_lo, exec_lo, s31
	s_and_saveexec_b32 s17, s13
	s_cbranch_execnz .LBB6_7348
	s_branch .LBB6_7349
.LBB6_8484:                             ;   in Loop: Header=BB6_5734 Depth=3
	s_mov_b32 s17, -1
	s_mov_b32 s34, exec_lo
                                        ; implicit-def: $sgpr31
	v_cmpx_eq_u16_e32 0x80, v13
; %bb.8485:                             ;   in Loop: Header=BB6_5734 Depth=3
	s_mov_b32 s31, 0x7f800001
	s_xor_b32 s17, exec_lo, -1
; %bb.8486:                             ;   in Loop: Header=BB6_5734 Depth=3
	s_or_b32 exec_lo, exec_lo, s34
	s_delay_alu instid0(SALU_CYCLE_1)
	s_and_b32 s17, s17, exec_lo
	s_or_saveexec_b32 s13, s13
	v_mov_b32_e32 v93, s31
	s_xor_b32 exec_lo, exec_lo, s13
	s_cbranch_execz .LBB6_7361
.LBB6_8487:                             ;   in Loop: Header=BB6_5734 Depth=3
	v_cmp_ne_u16_e32 vcc_lo, 0, v13
	v_mov_b32_e32 v93, 0
	s_and_not1_b32 s17, s17, exec_lo
	s_and_b32 vcc_lo, vcc_lo, exec_lo
	s_delay_alu instid0(SALU_CYCLE_1)
	s_or_b32 s17, s17, vcc_lo
	s_or_b32 exec_lo, exec_lo, s13
	s_and_saveexec_b32 s13, s17
	s_cbranch_execnz .LBB6_7362
	s_branch .LBB6_7363
.LBB6_8488:                             ;   in Loop: Header=BB6_5734 Depth=3
	s_mov_b32 s13, -1
	s_mov_b32 s34, exec_lo
                                        ; implicit-def: $sgpr17
	v_cmpx_eq_u16_e32 0x80, v95
; %bb.8489:                             ;   in Loop: Header=BB6_5734 Depth=3
	s_mov_b32 s17, 0x7f800001
	s_xor_b32 s13, exec_lo, -1
; %bb.8490:                             ;   in Loop: Header=BB6_5734 Depth=3
	s_or_b32 exec_lo, exec_lo, s34
	s_delay_alu instid0(SALU_CYCLE_1)
	s_and_b32 s13, s13, exec_lo
                                        ; implicit-def: $vgpr95
	s_or_saveexec_b32 s31, s31
	v_mov_b32_e32 v94, s17
	s_xor_b32 exec_lo, exec_lo, s31
	s_cbranch_execz .LBB6_7365
.LBB6_8491:                             ;   in Loop: Header=BB6_5734 Depth=3
	v_cmp_ne_u16_e32 vcc_lo, 0, v95
	v_mov_b32_e32 v94, 0
	s_and_not1_b32 s13, s13, exec_lo
	s_and_b32 s17, vcc_lo, exec_lo
	s_delay_alu instid0(SALU_CYCLE_1)
	s_or_b32 s13, s13, s17
	s_or_b32 exec_lo, exec_lo, s31
	s_and_saveexec_b32 s17, s13
	s_cbranch_execnz .LBB6_7366
	s_branch .LBB6_7367
.LBB6_8492:                             ;   in Loop: Header=BB6_5734 Depth=3
	s_mov_b32 s13, -1
	s_mov_b32 s34, exec_lo
                                        ; implicit-def: $sgpr17
	v_cmpx_eq_u16_e32 0x80, v13
; %bb.8493:                             ;   in Loop: Header=BB6_5734 Depth=3
	s_mov_b32 s17, 0x7f800001
	s_xor_b32 s13, exec_lo, -1
; %bb.8494:                             ;   in Loop: Header=BB6_5734 Depth=3
	s_or_b32 exec_lo, exec_lo, s34
	s_delay_alu instid0(SALU_CYCLE_1)
	s_and_b32 s13, s13, exec_lo
                                        ; implicit-def: $vgpr13
	s_or_saveexec_b32 s31, s31
	v_mov_b32_e32 v93, s17
	s_xor_b32 exec_lo, exec_lo, s31
	s_cbranch_execz .LBB6_7372
.LBB6_8495:                             ;   in Loop: Header=BB6_5734 Depth=3
	v_cmp_ne_u16_e32 vcc_lo, 0, v13
	v_mov_b32_e32 v93, 0
	s_and_not1_b32 s13, s13, exec_lo
	s_and_b32 s17, vcc_lo, exec_lo
	s_delay_alu instid0(SALU_CYCLE_1)
	s_or_b32 s13, s13, s17
	s_or_b32 exec_lo, exec_lo, s31
	s_and_saveexec_b32 s17, s13
	s_cbranch_execnz .LBB6_7373
	s_branch .LBB6_7374
.LBB6_8496:                             ;   in Loop: Header=BB6_5734 Depth=3
	s_mov_b32 s13, -1
	s_mov_b32 s34, exec_lo
                                        ; implicit-def: $sgpr17
	v_cmpx_eq_u16_e32 0x80, v94
; %bb.8497:                             ;   in Loop: Header=BB6_5734 Depth=3
	s_mov_b32 s17, 0x7f800001
	s_xor_b32 s13, exec_lo, -1
; %bb.8498:                             ;   in Loop: Header=BB6_5734 Depth=3
	s_or_b32 exec_lo, exec_lo, s34
	s_delay_alu instid0(SALU_CYCLE_1)
	s_and_b32 s13, s13, exec_lo
                                        ; implicit-def: $vgpr94
	s_or_saveexec_b32 s31, s31
	v_mov_b32_e32 v13, s17
	s_xor_b32 exec_lo, exec_lo, s31
	s_cbranch_execz .LBB6_7376
.LBB6_8499:                             ;   in Loop: Header=BB6_5734 Depth=3
	v_cmp_ne_u16_e32 vcc_lo, 0, v94
	v_mov_b32_e32 v13, 0
	s_and_not1_b32 s13, s13, exec_lo
	s_and_b32 s17, vcc_lo, exec_lo
	s_delay_alu instid0(SALU_CYCLE_1)
	s_or_b32 s13, s13, s17
	s_or_b32 exec_lo, exec_lo, s31
	s_and_saveexec_b32 s17, s13
	s_cbranch_execnz .LBB6_7377
	s_branch .LBB6_7378
.LBB6_8500:                             ;   in Loop: Header=BB6_5734 Depth=3
	s_mov_b32 s17, -1
	s_mov_b32 s34, exec_lo
                                        ; implicit-def: $sgpr31
	v_cmpx_eq_u16_e32 0x80, v94
; %bb.8501:                             ;   in Loop: Header=BB6_5734 Depth=3
	s_mov_b32 s31, 0x7f800001
	s_xor_b32 s17, exec_lo, -1
; %bb.8502:                             ;   in Loop: Header=BB6_5734 Depth=3
	s_or_b32 exec_lo, exec_lo, s34
	s_delay_alu instid0(SALU_CYCLE_1)
	s_and_b32 s17, s17, exec_lo
	s_or_saveexec_b32 s13, s13
	v_mov_b32_e32 v95, s31
	s_xor_b32 exec_lo, exec_lo, s13
	s_cbranch_execz .LBB6_7390
.LBB6_8503:                             ;   in Loop: Header=BB6_5734 Depth=3
	v_cmp_ne_u16_e32 vcc_lo, 0, v94
	v_mov_b32_e32 v95, 0
	s_and_not1_b32 s17, s17, exec_lo
	s_and_b32 vcc_lo, vcc_lo, exec_lo
	s_delay_alu instid0(SALU_CYCLE_1)
	s_or_b32 s17, s17, vcc_lo
	s_or_b32 exec_lo, exec_lo, s13
	s_and_saveexec_b32 s13, s17
	s_cbranch_execnz .LBB6_7391
	s_branch .LBB6_7392
.LBB6_8504:                             ;   in Loop: Header=BB6_5734 Depth=3
	s_mov_b32 s13, -1
	s_mov_b32 s34, exec_lo
                                        ; implicit-def: $sgpr17
	v_cmpx_eq_u16_e32 0x80, v93
; %bb.8505:                             ;   in Loop: Header=BB6_5734 Depth=3
	s_mov_b32 s17, 0x7f800001
	s_xor_b32 s13, exec_lo, -1
; %bb.8506:                             ;   in Loop: Header=BB6_5734 Depth=3
	s_or_b32 exec_lo, exec_lo, s34
	s_delay_alu instid0(SALU_CYCLE_1)
	s_and_b32 s13, s13, exec_lo
	s_or_saveexec_b32 s31, s31
	v_mov_b32_e32 v104, s17
	s_xor_b32 exec_lo, exec_lo, s31
	s_cbranch_execz .LBB6_7394
.LBB6_8507:                             ;   in Loop: Header=BB6_5734 Depth=3
	v_cmp_ne_u16_e32 vcc_lo, 0, v93
	v_mov_b32_e32 v104, 0
	s_and_not1_b32 s13, s13, exec_lo
	s_and_b32 s17, vcc_lo, exec_lo
	s_delay_alu instid0(SALU_CYCLE_1)
	s_or_b32 s13, s13, s17
	s_or_b32 exec_lo, exec_lo, s31
	s_and_saveexec_b32 s17, s13
	s_cbranch_execnz .LBB6_7395
	s_branch .LBB6_7396
.LBB6_8508:                             ;   in Loop: Header=BB6_5734 Depth=3
	s_mov_b32 s13, -1
	s_mov_b32 s34, exec_lo
                                        ; implicit-def: $sgpr17
	v_cmpx_eq_u16_e32 0x80, v94
; %bb.8509:                             ;   in Loop: Header=BB6_5734 Depth=3
	s_mov_b32 s17, 0x7f800001
	s_xor_b32 s13, exec_lo, -1
; %bb.8510:                             ;   in Loop: Header=BB6_5734 Depth=3
	s_or_b32 exec_lo, exec_lo, s34
	s_delay_alu instid0(SALU_CYCLE_1)
	s_and_b32 s13, s13, exec_lo
	s_or_saveexec_b32 s31, s31
	v_mov_b32_e32 v95, s17
	s_xor_b32 exec_lo, exec_lo, s31
	s_cbranch_execz .LBB6_7401
.LBB6_8511:                             ;   in Loop: Header=BB6_5734 Depth=3
	v_cmp_ne_u16_e32 vcc_lo, 0, v94
	v_mov_b32_e32 v95, 0
	s_and_not1_b32 s13, s13, exec_lo
	s_and_b32 s17, vcc_lo, exec_lo
	s_delay_alu instid0(SALU_CYCLE_1)
	s_or_b32 s13, s13, s17
	s_or_b32 exec_lo, exec_lo, s31
	s_and_saveexec_b32 s17, s13
	s_cbranch_execnz .LBB6_7402
	s_branch .LBB6_7403
.LBB6_8512:                             ;   in Loop: Header=BB6_5734 Depth=3
	s_mov_b32 s13, -1
	s_mov_b32 s34, exec_lo
                                        ; implicit-def: $sgpr17
	v_cmpx_eq_u16_e32 0x80, v93
; %bb.8513:                             ;   in Loop: Header=BB6_5734 Depth=3
	s_mov_b32 s17, 0x7f800001
	s_xor_b32 s13, exec_lo, -1
; %bb.8514:                             ;   in Loop: Header=BB6_5734 Depth=3
	s_or_b32 exec_lo, exec_lo, s34
	s_delay_alu instid0(SALU_CYCLE_1)
	s_and_b32 s13, s13, exec_lo
	s_or_saveexec_b32 s31, s31
	v_mov_b32_e32 v94, s17
	s_xor_b32 exec_lo, exec_lo, s31
	s_cbranch_execz .LBB6_7405
.LBB6_8515:                             ;   in Loop: Header=BB6_5734 Depth=3
	v_cmp_ne_u16_e32 vcc_lo, 0, v93
	v_mov_b32_e32 v94, 0
	s_and_not1_b32 s13, s13, exec_lo
	s_and_b32 s17, vcc_lo, exec_lo
	s_delay_alu instid0(SALU_CYCLE_1)
	s_or_b32 s13, s13, s17
	s_or_b32 exec_lo, exec_lo, s31
	s_and_saveexec_b32 s17, s13
	s_cbranch_execnz .LBB6_7406
	s_branch .LBB6_7407
.LBB6_8516:                             ;   in Loop: Header=BB6_5734 Depth=3
	s_mov_b32 s17, -1
	s_mov_b32 s34, exec_lo
                                        ; implicit-def: $sgpr31
	v_cmpx_eq_u16_e32 0x80, v104
; %bb.8517:                             ;   in Loop: Header=BB6_5734 Depth=3
	s_mov_b32 s31, 0x7f800001
	s_xor_b32 s17, exec_lo, -1
; %bb.8518:                             ;   in Loop: Header=BB6_5734 Depth=3
	s_or_b32 exec_lo, exec_lo, s34
	s_delay_alu instid0(SALU_CYCLE_1)
	s_and_b32 s17, s17, exec_lo
	s_or_saveexec_b32 s13, s13
	v_mov_b32_e32 v105, s31
	s_xor_b32 exec_lo, exec_lo, s13
	s_cbranch_execz .LBB6_7419
.LBB6_8519:                             ;   in Loop: Header=BB6_5734 Depth=3
	v_cmp_ne_u16_e32 vcc_lo, 0, v104
	v_mov_b32_e32 v105, 0
	s_and_not1_b32 s17, s17, exec_lo
	s_and_b32 vcc_lo, vcc_lo, exec_lo
	s_delay_alu instid0(SALU_CYCLE_1)
	s_or_b32 s17, s17, vcc_lo
	s_or_b32 exec_lo, exec_lo, s13
	s_and_saveexec_b32 s13, s17
	s_cbranch_execnz .LBB6_7420
	s_branch .LBB6_7421
.LBB6_8520:                             ;   in Loop: Header=BB6_5734 Depth=3
	s_mov_b32 s13, -1
	s_mov_b32 s34, exec_lo
                                        ; implicit-def: $sgpr17
	v_cmpx_eq_u16_e32 0x80, v107
; %bb.8521:                             ;   in Loop: Header=BB6_5734 Depth=3
	s_mov_b32 s17, 0x7f800001
	s_xor_b32 s13, exec_lo, -1
; %bb.8522:                             ;   in Loop: Header=BB6_5734 Depth=3
	s_or_b32 exec_lo, exec_lo, s34
	s_delay_alu instid0(SALU_CYCLE_1)
	s_and_b32 s13, s13, exec_lo
                                        ; implicit-def: $vgpr107
	s_or_saveexec_b32 s31, s31
	v_mov_b32_e32 v106, s17
	s_xor_b32 exec_lo, exec_lo, s31
	s_cbranch_execz .LBB6_7423
.LBB6_8523:                             ;   in Loop: Header=BB6_5734 Depth=3
	v_cmp_ne_u16_e32 vcc_lo, 0, v107
	v_mov_b32_e32 v106, 0
	s_and_not1_b32 s13, s13, exec_lo
	s_and_b32 s17, vcc_lo, exec_lo
	s_delay_alu instid0(SALU_CYCLE_1)
	s_or_b32 s13, s13, s17
	s_or_b32 exec_lo, exec_lo, s31
	s_and_saveexec_b32 s17, s13
	s_cbranch_execnz .LBB6_7424
	s_branch .LBB6_7425
.LBB6_8524:                             ;   in Loop: Header=BB6_5734 Depth=3
	s_mov_b32 s13, -1
	s_mov_b32 s34, exec_lo
                                        ; implicit-def: $sgpr17
	v_cmpx_eq_u16_e32 0x80, v104
; %bb.8525:                             ;   in Loop: Header=BB6_5734 Depth=3
	s_mov_b32 s17, 0x7f800001
	s_xor_b32 s13, exec_lo, -1
; %bb.8526:                             ;   in Loop: Header=BB6_5734 Depth=3
	s_or_b32 exec_lo, exec_lo, s34
	s_delay_alu instid0(SALU_CYCLE_1)
	s_and_b32 s13, s13, exec_lo
                                        ; implicit-def: $vgpr104
	s_or_saveexec_b32 s31, s31
	v_mov_b32_e32 v105, s17
	s_xor_b32 exec_lo, exec_lo, s31
	s_cbranch_execz .LBB6_7430
.LBB6_8527:                             ;   in Loop: Header=BB6_5734 Depth=3
	v_cmp_ne_u16_e32 vcc_lo, 0, v104
	v_mov_b32_e32 v105, 0
	s_and_not1_b32 s13, s13, exec_lo
	s_and_b32 s17, vcc_lo, exec_lo
	s_delay_alu instid0(SALU_CYCLE_1)
	s_or_b32 s13, s13, s17
	s_or_b32 exec_lo, exec_lo, s31
	s_and_saveexec_b32 s17, s13
	s_cbranch_execnz .LBB6_7431
	s_branch .LBB6_7432
.LBB6_8528:                             ;   in Loop: Header=BB6_5734 Depth=3
	s_mov_b32 s13, -1
	s_mov_b32 s34, exec_lo
                                        ; implicit-def: $sgpr17
	v_cmpx_eq_u16_e32 0x80, v104
; %bb.8529:                             ;   in Loop: Header=BB6_5734 Depth=3
	s_mov_b32 s17, 0x7f800001
	s_xor_b32 s13, exec_lo, -1
; %bb.8530:                             ;   in Loop: Header=BB6_5734 Depth=3
	s_or_b32 exec_lo, exec_lo, s34
	s_delay_alu instid0(SALU_CYCLE_1)
	s_and_b32 s13, s13, exec_lo
                                        ; implicit-def: $vgpr104
	s_or_saveexec_b32 s31, s31
	v_mov_b32_e32 v95, s17
	s_xor_b32 exec_lo, exec_lo, s31
	s_cbranch_execz .LBB6_7434
.LBB6_8531:                             ;   in Loop: Header=BB6_5734 Depth=3
	v_cmp_ne_u16_e32 vcc_lo, 0, v104
	v_mov_b32_e32 v95, 0
	s_and_not1_b32 s13, s13, exec_lo
	s_and_b32 s17, vcc_lo, exec_lo
	s_delay_alu instid0(SALU_CYCLE_1)
	s_or_b32 s13, s13, s17
	s_or_b32 exec_lo, exec_lo, s31
	s_and_saveexec_b32 s17, s13
	s_cbranch_execnz .LBB6_7435
	s_branch .LBB6_7436
.LBB6_8532:                             ;   in Loop: Header=BB6_5734 Depth=3
	s_mov_b32 s17, -1
	s_mov_b32 s34, exec_lo
                                        ; implicit-def: $sgpr31
	v_cmpx_eq_u16_e32 0x80, v104
; %bb.8533:                             ;   in Loop: Header=BB6_5734 Depth=3
	s_mov_b32 s31, 0x7f800001
	s_xor_b32 s17, exec_lo, -1
; %bb.8534:                             ;   in Loop: Header=BB6_5734 Depth=3
	s_or_b32 exec_lo, exec_lo, s34
	s_delay_alu instid0(SALU_CYCLE_1)
	s_and_b32 s17, s17, exec_lo
	s_or_saveexec_b32 s13, s13
	v_mov_b32_e32 v105, s31
	s_xor_b32 exec_lo, exec_lo, s13
	s_cbranch_execz .LBB6_7448
.LBB6_8535:                             ;   in Loop: Header=BB6_5734 Depth=3
	v_cmp_ne_u16_e32 vcc_lo, 0, v104
	v_mov_b32_e32 v105, 0
	s_and_not1_b32 s17, s17, exec_lo
	s_and_b32 vcc_lo, vcc_lo, exec_lo
	s_delay_alu instid0(SALU_CYCLE_1)
	s_or_b32 s17, s17, vcc_lo
	s_or_b32 exec_lo, exec_lo, s13
	s_and_saveexec_b32 s13, s17
	s_cbranch_execnz .LBB6_7449
	s_branch .LBB6_7450
.LBB6_8536:                             ;   in Loop: Header=BB6_5734 Depth=3
	s_mov_b32 s13, -1
	s_mov_b32 s34, exec_lo
                                        ; implicit-def: $sgpr17
	v_cmpx_eq_u16_e32 0x80, v95
; %bb.8537:                             ;   in Loop: Header=BB6_5734 Depth=3
	s_mov_b32 s17, 0x7f800001
	s_xor_b32 s13, exec_lo, -1
; %bb.8538:                             ;   in Loop: Header=BB6_5734 Depth=3
	s_or_b32 exec_lo, exec_lo, s34
	s_delay_alu instid0(SALU_CYCLE_1)
	s_and_b32 s13, s13, exec_lo
	s_or_saveexec_b32 s31, s31
	v_mov_b32_e32 v106, s17
	s_xor_b32 exec_lo, exec_lo, s31
	s_cbranch_execz .LBB6_7452
.LBB6_8539:                             ;   in Loop: Header=BB6_5734 Depth=3
	v_cmp_ne_u16_e32 vcc_lo, 0, v95
	v_mov_b32_e32 v106, 0
	s_and_not1_b32 s13, s13, exec_lo
	s_and_b32 s17, vcc_lo, exec_lo
	s_delay_alu instid0(SALU_CYCLE_1)
	s_or_b32 s13, s13, s17
	s_or_b32 exec_lo, exec_lo, s31
	s_and_saveexec_b32 s17, s13
	s_cbranch_execnz .LBB6_7453
	s_branch .LBB6_7454
.LBB6_8540:                             ;   in Loop: Header=BB6_5734 Depth=3
	s_mov_b32 s13, -1
	s_mov_b32 s34, exec_lo
                                        ; implicit-def: $sgpr17
	v_cmpx_eq_u16_e32 0x80, v104
; %bb.8541:                             ;   in Loop: Header=BB6_5734 Depth=3
	s_mov_b32 s17, 0x7f800001
	s_xor_b32 s13, exec_lo, -1
; %bb.8542:                             ;   in Loop: Header=BB6_5734 Depth=3
	s_or_b32 exec_lo, exec_lo, s34
	s_delay_alu instid0(SALU_CYCLE_1)
	s_and_b32 s13, s13, exec_lo
	s_or_saveexec_b32 s31, s31
	v_mov_b32_e32 v105, s17
	s_xor_b32 exec_lo, exec_lo, s31
	s_cbranch_execz .LBB6_7459
.LBB6_8543:                             ;   in Loop: Header=BB6_5734 Depth=3
	v_cmp_ne_u16_e32 vcc_lo, 0, v104
	v_mov_b32_e32 v105, 0
	s_and_not1_b32 s13, s13, exec_lo
	s_and_b32 s17, vcc_lo, exec_lo
	s_delay_alu instid0(SALU_CYCLE_1)
	s_or_b32 s13, s13, s17
	s_or_b32 exec_lo, exec_lo, s31
	s_and_saveexec_b32 s17, s13
	s_cbranch_execnz .LBB6_7460
	s_branch .LBB6_7461
.LBB6_8544:                             ;   in Loop: Header=BB6_5734 Depth=3
	s_mov_b32 s13, -1
	s_mov_b32 s34, exec_lo
                                        ; implicit-def: $sgpr17
	v_cmpx_eq_u16_e32 0x80, v95
; %bb.8545:                             ;   in Loop: Header=BB6_5734 Depth=3
	s_mov_b32 s17, 0x7f800001
	s_xor_b32 s13, exec_lo, -1
; %bb.8546:                             ;   in Loop: Header=BB6_5734 Depth=3
	s_or_b32 exec_lo, exec_lo, s34
	s_delay_alu instid0(SALU_CYCLE_1)
	s_and_b32 s13, s13, exec_lo
	s_or_saveexec_b32 s31, s31
	v_mov_b32_e32 v14, s17
	s_xor_b32 exec_lo, exec_lo, s31
	s_cbranch_execz .LBB6_7463
.LBB6_8547:                             ;   in Loop: Header=BB6_5734 Depth=3
	v_cmp_ne_u16_e32 vcc_lo, 0, v95
	v_mov_b32_e32 v14, 0
	s_and_not1_b32 s13, s13, exec_lo
	s_and_b32 s17, vcc_lo, exec_lo
	s_delay_alu instid0(SALU_CYCLE_1)
	s_or_b32 s13, s13, s17
	s_or_b32 exec_lo, exec_lo, s31
	s_and_saveexec_b32 s17, s13
	s_cbranch_execnz .LBB6_7464
	s_branch .LBB6_7465
.LBB6_8548:                             ;   in Loop: Header=BB6_5734 Depth=3
	s_mov_b32 s17, -1
	s_mov_b32 s34, exec_lo
                                        ; implicit-def: $sgpr31
	v_cmpx_eq_u16_e32 0x80, v14
; %bb.8549:                             ;   in Loop: Header=BB6_5734 Depth=3
	s_mov_b32 s31, 0x7f800001
	s_xor_b32 s17, exec_lo, -1
; %bb.8550:                             ;   in Loop: Header=BB6_5734 Depth=3
	s_or_b32 exec_lo, exec_lo, s34
	s_delay_alu instid0(SALU_CYCLE_1)
	s_and_b32 s17, s17, exec_lo
	s_or_saveexec_b32 s13, s13
	v_mov_b32_e32 v95, s31
	s_xor_b32 exec_lo, exec_lo, s13
	s_cbranch_execz .LBB6_7477
.LBB6_8551:                             ;   in Loop: Header=BB6_5734 Depth=3
	v_cmp_ne_u16_e32 vcc_lo, 0, v14
	v_mov_b32_e32 v95, 0
	s_and_not1_b32 s17, s17, exec_lo
	s_and_b32 vcc_lo, vcc_lo, exec_lo
	s_delay_alu instid0(SALU_CYCLE_1)
	s_or_b32 s17, s17, vcc_lo
	s_or_b32 exec_lo, exec_lo, s13
	s_and_saveexec_b32 s13, s17
	s_cbranch_execnz .LBB6_7478
	s_branch .LBB6_7479
.LBB6_8552:                             ;   in Loop: Header=BB6_5734 Depth=3
	s_mov_b32 s13, -1
	s_mov_b32 s34, exec_lo
                                        ; implicit-def: $sgpr17
	v_cmpx_eq_u16_e32 0x80, v105
; %bb.8553:                             ;   in Loop: Header=BB6_5734 Depth=3
	s_mov_b32 s17, 0x7f800001
	s_xor_b32 s13, exec_lo, -1
; %bb.8554:                             ;   in Loop: Header=BB6_5734 Depth=3
	s_or_b32 exec_lo, exec_lo, s34
	s_delay_alu instid0(SALU_CYCLE_1)
	s_and_b32 s13, s13, exec_lo
                                        ; implicit-def: $vgpr105
	s_or_saveexec_b32 s31, s31
	v_mov_b32_e32 v104, s17
	s_xor_b32 exec_lo, exec_lo, s31
	s_cbranch_execz .LBB6_7481
.LBB6_8555:                             ;   in Loop: Header=BB6_5734 Depth=3
	v_cmp_ne_u16_e32 vcc_lo, 0, v105
	v_mov_b32_e32 v104, 0
	s_and_not1_b32 s13, s13, exec_lo
	s_and_b32 s17, vcc_lo, exec_lo
	s_delay_alu instid0(SALU_CYCLE_1)
	s_or_b32 s13, s13, s17
	s_or_b32 exec_lo, exec_lo, s31
	s_and_saveexec_b32 s17, s13
	s_cbranch_execnz .LBB6_7482
	s_branch .LBB6_7483
.LBB6_8556:                             ;   in Loop: Header=BB6_5734 Depth=3
	s_mov_b32 s13, -1
	s_mov_b32 s34, exec_lo
                                        ; implicit-def: $sgpr17
	v_cmpx_eq_u16_e32 0x80, v14
; %bb.8557:                             ;   in Loop: Header=BB6_5734 Depth=3
	s_mov_b32 s17, 0x7f800001
	s_xor_b32 s13, exec_lo, -1
; %bb.8558:                             ;   in Loop: Header=BB6_5734 Depth=3
	s_or_b32 exec_lo, exec_lo, s34
	s_delay_alu instid0(SALU_CYCLE_1)
	s_and_b32 s13, s13, exec_lo
                                        ; implicit-def: $vgpr14
	s_or_saveexec_b32 s31, s31
	v_mov_b32_e32 v95, s17
	s_xor_b32 exec_lo, exec_lo, s31
	s_cbranch_execz .LBB6_7488
.LBB6_8559:                             ;   in Loop: Header=BB6_5734 Depth=3
	v_cmp_ne_u16_e32 vcc_lo, 0, v14
	v_mov_b32_e32 v95, 0
	s_and_not1_b32 s13, s13, exec_lo
	s_and_b32 s17, vcc_lo, exec_lo
	s_delay_alu instid0(SALU_CYCLE_1)
	s_or_b32 s13, s13, s17
	s_or_b32 exec_lo, exec_lo, s31
	s_and_saveexec_b32 s17, s13
	s_cbranch_execnz .LBB6_7489
	s_branch .LBB6_7490
.LBB6_8560:                             ;   in Loop: Header=BB6_5734 Depth=3
	s_mov_b32 s13, -1
	s_mov_b32 s34, exec_lo
                                        ; implicit-def: $sgpr17
	v_cmpx_eq_u16_e32 0x80, v104
; %bb.8561:                             ;   in Loop: Header=BB6_5734 Depth=3
	s_mov_b32 s17, 0x7f800001
	s_xor_b32 s13, exec_lo, -1
; %bb.8562:                             ;   in Loop: Header=BB6_5734 Depth=3
	s_or_b32 exec_lo, exec_lo, s34
	s_delay_alu instid0(SALU_CYCLE_1)
	s_and_b32 s13, s13, exec_lo
                                        ; implicit-def: $vgpr104
	s_or_saveexec_b32 s31, s31
	v_mov_b32_e32 v14, s17
	s_xor_b32 exec_lo, exec_lo, s31
	s_cbranch_execz .LBB6_7492
.LBB6_8563:                             ;   in Loop: Header=BB6_5734 Depth=3
	v_cmp_ne_u16_e32 vcc_lo, 0, v104
	v_mov_b32_e32 v14, 0
	s_and_not1_b32 s13, s13, exec_lo
	s_and_b32 s17, vcc_lo, exec_lo
	s_delay_alu instid0(SALU_CYCLE_1)
	s_or_b32 s13, s13, s17
	s_or_b32 exec_lo, exec_lo, s31
	s_and_saveexec_b32 s17, s13
	s_cbranch_execnz .LBB6_7493
	s_branch .LBB6_7494
.LBB6_8564:                             ;   in Loop: Header=BB6_5734 Depth=3
	s_mov_b32 s17, -1
	s_mov_b32 s34, exec_lo
                                        ; implicit-def: $sgpr31
	v_cmpx_eq_u16_e32 0x80, v104
; %bb.8565:                             ;   in Loop: Header=BB6_5734 Depth=3
	s_mov_b32 s31, 0x7f800001
	s_xor_b32 s17, exec_lo, -1
; %bb.8566:                             ;   in Loop: Header=BB6_5734 Depth=3
	s_or_b32 exec_lo, exec_lo, s34
	s_delay_alu instid0(SALU_CYCLE_1)
	s_and_b32 s17, s17, exec_lo
	s_or_saveexec_b32 s13, s13
	v_mov_b32_e32 v105, s31
	s_xor_b32 exec_lo, exec_lo, s13
	s_cbranch_execz .LBB6_7506
.LBB6_8567:                             ;   in Loop: Header=BB6_5734 Depth=3
	v_cmp_ne_u16_e32 vcc_lo, 0, v104
	v_mov_b32_e32 v105, 0
	s_and_not1_b32 s17, s17, exec_lo
	s_and_b32 vcc_lo, vcc_lo, exec_lo
	s_delay_alu instid0(SALU_CYCLE_1)
	s_or_b32 s17, s17, vcc_lo
	s_or_b32 exec_lo, exec_lo, s13
	s_and_saveexec_b32 s13, s17
	s_cbranch_execnz .LBB6_7507
	s_branch .LBB6_7508
.LBB6_8568:                             ;   in Loop: Header=BB6_5734 Depth=3
	s_mov_b32 s13, -1
	s_mov_b32 s34, exec_lo
                                        ; implicit-def: $sgpr17
	v_cmpx_eq_u16_e32 0x80, v95
; %bb.8569:                             ;   in Loop: Header=BB6_5734 Depth=3
	s_mov_b32 s17, 0x7f800001
	s_xor_b32 s13, exec_lo, -1
; %bb.8570:                             ;   in Loop: Header=BB6_5734 Depth=3
	s_or_b32 exec_lo, exec_lo, s34
	s_delay_alu instid0(SALU_CYCLE_1)
	s_and_b32 s13, s13, exec_lo
	s_or_saveexec_b32 s31, s31
	v_mov_b32_e32 v106, s17
	s_xor_b32 exec_lo, exec_lo, s31
	s_cbranch_execz .LBB6_7510
.LBB6_8571:                             ;   in Loop: Header=BB6_5734 Depth=3
	v_cmp_ne_u16_e32 vcc_lo, 0, v95
	v_mov_b32_e32 v106, 0
	s_and_not1_b32 s13, s13, exec_lo
	s_and_b32 s17, vcc_lo, exec_lo
	s_delay_alu instid0(SALU_CYCLE_1)
	s_or_b32 s13, s13, s17
	s_or_b32 exec_lo, exec_lo, s31
	s_and_saveexec_b32 s17, s13
	s_cbranch_execnz .LBB6_7511
	s_branch .LBB6_7512
.LBB6_8572:                             ;   in Loop: Header=BB6_5734 Depth=3
	s_mov_b32 s13, -1
	s_mov_b32 s34, exec_lo
                                        ; implicit-def: $sgpr17
	v_cmpx_eq_u16_e32 0x80, v104
; %bb.8573:                             ;   in Loop: Header=BB6_5734 Depth=3
	s_mov_b32 s17, 0x7f800001
	s_xor_b32 s13, exec_lo, -1
; %bb.8574:                             ;   in Loop: Header=BB6_5734 Depth=3
	s_or_b32 exec_lo, exec_lo, s34
	s_delay_alu instid0(SALU_CYCLE_1)
	s_and_b32 s13, s13, exec_lo
	s_or_saveexec_b32 s31, s31
	v_mov_b32_e32 v105, s17
	s_xor_b32 exec_lo, exec_lo, s31
	s_cbranch_execz .LBB6_7517
.LBB6_8575:                             ;   in Loop: Header=BB6_5734 Depth=3
	v_cmp_ne_u16_e32 vcc_lo, 0, v104
	v_mov_b32_e32 v105, 0
	s_and_not1_b32 s13, s13, exec_lo
	s_and_b32 s17, vcc_lo, exec_lo
	s_delay_alu instid0(SALU_CYCLE_1)
	s_or_b32 s13, s13, s17
	s_or_b32 exec_lo, exec_lo, s31
	s_and_saveexec_b32 s17, s13
	s_cbranch_execnz .LBB6_7518
	s_branch .LBB6_7519
.LBB6_8576:                             ;   in Loop: Header=BB6_5734 Depth=3
	s_mov_b32 s13, -1
	s_mov_b32 s34, exec_lo
                                        ; implicit-def: $sgpr17
	v_cmpx_eq_u16_e32 0x80, v95
; %bb.8577:                             ;   in Loop: Header=BB6_5734 Depth=3
	s_mov_b32 s17, 0x7f800001
	s_xor_b32 s13, exec_lo, -1
; %bb.8578:                             ;   in Loop: Header=BB6_5734 Depth=3
	s_or_b32 exec_lo, exec_lo, s34
	s_delay_alu instid0(SALU_CYCLE_1)
	s_and_b32 s13, s13, exec_lo
	s_or_saveexec_b32 s31, s31
	v_mov_b32_e32 v104, s17
	s_xor_b32 exec_lo, exec_lo, s31
	s_cbranch_execz .LBB6_7521
.LBB6_8579:                             ;   in Loop: Header=BB6_5734 Depth=3
	v_cmp_ne_u16_e32 vcc_lo, 0, v95
	v_mov_b32_e32 v104, 0
	s_and_not1_b32 s13, s13, exec_lo
	s_and_b32 s17, vcc_lo, exec_lo
	s_delay_alu instid0(SALU_CYCLE_1)
	s_or_b32 s13, s13, s17
	s_or_b32 exec_lo, exec_lo, s31
	s_and_saveexec_b32 s17, s13
	s_cbranch_execnz .LBB6_7522
	s_branch .LBB6_7523
.LBB6_8580:                             ;   in Loop: Header=BB6_5734 Depth=3
	s_mov_b32 s17, -1
	s_mov_b32 s34, exec_lo
                                        ; implicit-def: $sgpr31
	v_cmpx_eq_u16_e32 0x80, v106
; %bb.8581:                             ;   in Loop: Header=BB6_5734 Depth=3
	s_mov_b32 s31, 0x7f800001
	s_xor_b32 s17, exec_lo, -1
; %bb.8582:                             ;   in Loop: Header=BB6_5734 Depth=3
	s_or_b32 exec_lo, exec_lo, s34
	s_delay_alu instid0(SALU_CYCLE_1)
	s_and_b32 s17, s17, exec_lo
	s_or_saveexec_b32 s13, s13
	v_mov_b32_e32 v107, s31
	s_xor_b32 exec_lo, exec_lo, s13
	s_cbranch_execz .LBB6_7535
.LBB6_8583:                             ;   in Loop: Header=BB6_5734 Depth=3
	v_cmp_ne_u16_e32 vcc_lo, 0, v106
	v_mov_b32_e32 v107, 0
	s_and_not1_b32 s17, s17, exec_lo
	s_and_b32 vcc_lo, vcc_lo, exec_lo
	s_delay_alu instid0(SALU_CYCLE_1)
	s_or_b32 s17, s17, vcc_lo
	s_or_b32 exec_lo, exec_lo, s13
	s_and_saveexec_b32 s13, s17
	s_cbranch_execnz .LBB6_7536
	s_branch .LBB6_7537
.LBB6_8584:                             ;   in Loop: Header=BB6_5734 Depth=3
	s_mov_b32 s13, -1
	s_mov_b32 s34, exec_lo
                                        ; implicit-def: $sgpr17
	v_cmpx_eq_u16_e32 0x80, v109
; %bb.8585:                             ;   in Loop: Header=BB6_5734 Depth=3
	s_mov_b32 s17, 0x7f800001
	s_xor_b32 s13, exec_lo, -1
; %bb.8586:                             ;   in Loop: Header=BB6_5734 Depth=3
	s_or_b32 exec_lo, exec_lo, s34
	s_delay_alu instid0(SALU_CYCLE_1)
	s_and_b32 s13, s13, exec_lo
                                        ; implicit-def: $vgpr109
	s_or_saveexec_b32 s31, s31
	v_mov_b32_e32 v108, s17
	s_xor_b32 exec_lo, exec_lo, s31
	s_cbranch_execz .LBB6_7539
.LBB6_8587:                             ;   in Loop: Header=BB6_5734 Depth=3
	v_cmp_ne_u16_e32 vcc_lo, 0, v109
	v_mov_b32_e32 v108, 0
	s_and_not1_b32 s13, s13, exec_lo
	s_and_b32 s17, vcc_lo, exec_lo
	s_delay_alu instid0(SALU_CYCLE_1)
	s_or_b32 s13, s13, s17
	s_or_b32 exec_lo, exec_lo, s31
	s_and_saveexec_b32 s17, s13
	s_cbranch_execnz .LBB6_7540
	s_branch .LBB6_7541
.LBB6_8588:                             ;   in Loop: Header=BB6_5734 Depth=3
	s_mov_b32 s13, -1
	s_mov_b32 s34, exec_lo
                                        ; implicit-def: $sgpr17
	v_cmpx_eq_u16_e32 0x80, v106
; %bb.8589:                             ;   in Loop: Header=BB6_5734 Depth=3
	s_mov_b32 s17, 0x7f800001
	s_xor_b32 s13, exec_lo, -1
; %bb.8590:                             ;   in Loop: Header=BB6_5734 Depth=3
	s_or_b32 exec_lo, exec_lo, s34
	s_delay_alu instid0(SALU_CYCLE_1)
	s_and_b32 s13, s13, exec_lo
                                        ; implicit-def: $vgpr106
	s_or_saveexec_b32 s31, s31
	v_mov_b32_e32 v107, s17
	s_xor_b32 exec_lo, exec_lo, s31
	s_cbranch_execz .LBB6_7546
.LBB6_8591:                             ;   in Loop: Header=BB6_5734 Depth=3
	v_cmp_ne_u16_e32 vcc_lo, 0, v106
	v_mov_b32_e32 v107, 0
	s_and_not1_b32 s13, s13, exec_lo
	s_and_b32 s17, vcc_lo, exec_lo
	s_delay_alu instid0(SALU_CYCLE_1)
	s_or_b32 s13, s13, s17
	s_or_b32 exec_lo, exec_lo, s31
	s_and_saveexec_b32 s17, s13
	s_cbranch_execnz .LBB6_7547
	s_branch .LBB6_7548
.LBB6_8592:                             ;   in Loop: Header=BB6_5734 Depth=3
	s_mov_b32 s13, -1
	s_mov_b32 s34, exec_lo
                                        ; implicit-def: $sgpr17
	v_cmpx_eq_u16_e32 0x80, v106
; %bb.8593:                             ;   in Loop: Header=BB6_5734 Depth=3
	s_mov_b32 s17, 0x7f800001
	s_xor_b32 s13, exec_lo, -1
; %bb.8594:                             ;   in Loop: Header=BB6_5734 Depth=3
	s_or_b32 exec_lo, exec_lo, s34
	s_delay_alu instid0(SALU_CYCLE_1)
	s_and_b32 s13, s13, exec_lo
                                        ; implicit-def: $vgpr106
	s_or_saveexec_b32 s31, s31
	v_mov_b32_e32 v105, s17
	s_xor_b32 exec_lo, exec_lo, s31
	s_cbranch_execz .LBB6_7550
.LBB6_8595:                             ;   in Loop: Header=BB6_5734 Depth=3
	v_cmp_ne_u16_e32 vcc_lo, 0, v106
	v_mov_b32_e32 v105, 0
	s_and_not1_b32 s13, s13, exec_lo
	s_and_b32 s17, vcc_lo, exec_lo
	s_delay_alu instid0(SALU_CYCLE_1)
	s_or_b32 s13, s13, s17
	s_or_b32 exec_lo, exec_lo, s31
	s_and_saveexec_b32 s17, s13
	s_cbranch_execnz .LBB6_7551
	s_branch .LBB6_7552
.LBB6_8596:                             ;   in Loop: Header=BB6_5734 Depth=3
	s_mov_b32 s17, -1
	s_mov_b32 s34, exec_lo
                                        ; implicit-def: $sgpr31
	v_cmpx_eq_u16_e32 0x80, v106
; %bb.8597:                             ;   in Loop: Header=BB6_5734 Depth=3
	s_mov_b32 s31, 0x7f800001
	s_xor_b32 s17, exec_lo, -1
; %bb.8598:                             ;   in Loop: Header=BB6_5734 Depth=3
	s_or_b32 exec_lo, exec_lo, s34
	s_delay_alu instid0(SALU_CYCLE_1)
	s_and_b32 s17, s17, exec_lo
	s_or_saveexec_b32 s13, s13
	v_mov_b32_e32 v107, s31
	s_xor_b32 exec_lo, exec_lo, s13
	s_cbranch_execz .LBB6_7564
.LBB6_8599:                             ;   in Loop: Header=BB6_5734 Depth=3
	v_cmp_ne_u16_e32 vcc_lo, 0, v106
	v_mov_b32_e32 v107, 0
	s_and_not1_b32 s17, s17, exec_lo
	s_and_b32 vcc_lo, vcc_lo, exec_lo
	s_delay_alu instid0(SALU_CYCLE_1)
	s_or_b32 s17, s17, vcc_lo
	s_or_b32 exec_lo, exec_lo, s13
	s_and_saveexec_b32 s13, s17
	s_cbranch_execnz .LBB6_7565
	s_branch .LBB6_7566
.LBB6_8600:                             ;   in Loop: Header=BB6_5734 Depth=3
	s_mov_b32 s13, -1
	s_mov_b32 s34, exec_lo
                                        ; implicit-def: $sgpr17
	v_cmpx_eq_u16_e32 0x80, v105
; %bb.8601:                             ;   in Loop: Header=BB6_5734 Depth=3
	s_mov_b32 s17, 0x7f800001
	s_xor_b32 s13, exec_lo, -1
; %bb.8602:                             ;   in Loop: Header=BB6_5734 Depth=3
	s_or_b32 exec_lo, exec_lo, s34
	s_delay_alu instid0(SALU_CYCLE_1)
	s_and_b32 s13, s13, exec_lo
	s_or_saveexec_b32 s31, s31
	v_mov_b32_e32 v108, s17
	s_xor_b32 exec_lo, exec_lo, s31
	s_cbranch_execz .LBB6_7568
.LBB6_8603:                             ;   in Loop: Header=BB6_5734 Depth=3
	v_cmp_ne_u16_e32 vcc_lo, 0, v105
	v_mov_b32_e32 v108, 0
	s_and_not1_b32 s13, s13, exec_lo
	s_and_b32 s17, vcc_lo, exec_lo
	s_delay_alu instid0(SALU_CYCLE_1)
	s_or_b32 s13, s13, s17
	s_or_b32 exec_lo, exec_lo, s31
	s_and_saveexec_b32 s17, s13
	s_cbranch_execnz .LBB6_7569
	s_branch .LBB6_7570
.LBB6_8604:                             ;   in Loop: Header=BB6_5734 Depth=3
	s_mov_b32 s13, -1
	s_mov_b32 s34, exec_lo
                                        ; implicit-def: $sgpr17
	v_cmpx_eq_u16_e32 0x80, v106
; %bb.8605:                             ;   in Loop: Header=BB6_5734 Depth=3
	s_mov_b32 s17, 0x7f800001
	s_xor_b32 s13, exec_lo, -1
; %bb.8606:                             ;   in Loop: Header=BB6_5734 Depth=3
	s_or_b32 exec_lo, exec_lo, s34
	s_delay_alu instid0(SALU_CYCLE_1)
	s_and_b32 s13, s13, exec_lo
	s_or_saveexec_b32 s31, s31
	v_mov_b32_e32 v107, s17
	s_xor_b32 exec_lo, exec_lo, s31
	s_cbranch_execz .LBB6_7575
.LBB6_8607:                             ;   in Loop: Header=BB6_5734 Depth=3
	v_cmp_ne_u16_e32 vcc_lo, 0, v106
	v_mov_b32_e32 v107, 0
	s_and_not1_b32 s13, s13, exec_lo
	s_and_b32 s17, vcc_lo, exec_lo
	s_delay_alu instid0(SALU_CYCLE_1)
	s_or_b32 s13, s13, s17
	s_or_b32 exec_lo, exec_lo, s31
	s_and_saveexec_b32 s17, s13
	s_cbranch_execnz .LBB6_7576
	s_branch .LBB6_7577
.LBB6_8608:                             ;   in Loop: Header=BB6_5734 Depth=3
	s_mov_b32 s13, -1
	s_mov_b32 s34, exec_lo
                                        ; implicit-def: $sgpr17
	v_cmpx_eq_u16_e32 0x80, v105
; %bb.8609:                             ;   in Loop: Header=BB6_5734 Depth=3
	s_mov_b32 s17, 0x7f800001
	s_xor_b32 s13, exec_lo, -1
; %bb.8610:                             ;   in Loop: Header=BB6_5734 Depth=3
	s_or_b32 exec_lo, exec_lo, s34
	s_delay_alu instid0(SALU_CYCLE_1)
	s_and_b32 s13, s13, exec_lo
	s_or_saveexec_b32 s31, s31
	v_mov_b32_e32 v15, s17
	s_xor_b32 exec_lo, exec_lo, s31
	s_cbranch_execz .LBB6_7579
.LBB6_8611:                             ;   in Loop: Header=BB6_5734 Depth=3
	v_cmp_ne_u16_e32 vcc_lo, 0, v105
	v_mov_b32_e32 v15, 0
	s_and_not1_b32 s13, s13, exec_lo
	s_and_b32 s17, vcc_lo, exec_lo
	s_delay_alu instid0(SALU_CYCLE_1)
	s_or_b32 s13, s13, s17
	s_or_b32 exec_lo, exec_lo, s31
	s_and_saveexec_b32 s17, s13
	s_cbranch_execnz .LBB6_7580
	s_branch .LBB6_7581
.LBB6_8612:                             ;   in Loop: Header=BB6_5644 Depth=2
	s_mov_b32 s13, -1
	s_branch .LBB6_10846
.LBB6_8613:                             ;   in Loop: Header=BB6_5644 Depth=2
	s_or_b32 exec_lo, exec_lo, s15
.LBB6_8614:                             ;   in Loop: Header=BB6_5644 Depth=2
	s_delay_alu instid0(SALU_CYCLE_1) | instskip(SKIP_4) | instid1(VALU_DEP_2)
	s_or_b32 exec_lo, exec_lo, s14
	v_lshlrev_b32_e32 v24, 11, v183
	v_mov_b32_e32 v16, 0
	s_mov_b32 s13, 0
	s_mov_b32 s16, exec_lo
                                        ; implicit-def: $vgpr17
                                        ; implicit-def: $vgpr18
                                        ; implicit-def: $vgpr8
	v_cmpx_ne_u32_e64 v182, v24
	s_cbranch_execz .LBB6_9345
; %bb.8615:                             ;   in Loop: Header=BB6_5644 Depth=2
	v_lshlrev_b32_e32 v2, 5, v2
	v_sub_nc_u32_e32 v9, v182, v24
	s_mov_b32 s17, exec_lo
	s_delay_alu instid0(VALU_DEP_2) | instskip(NEXT) | instid1(VALU_DEP_2)
	v_sub_nc_u32_e32 v2, v131, v2
	v_ashrrev_i32_e32 v10, 31, v9
	s_delay_alu instid0(VALU_DEP_2) | instskip(NEXT) | instid1(VALU_DEP_2)
	v_ashrrev_i32_e32 v8, 31, v2
	v_lshrrev_b32_e32 v10, 23, v10
	s_delay_alu instid0(VALU_DEP_2) | instskip(NEXT) | instid1(VALU_DEP_2)
	v_lshrrev_b32_e32 v8, 27, v8
	v_add_nc_u32_e32 v10, v9, v10
	s_delay_alu instid0(VALU_DEP_2) | instskip(NEXT) | instid1(VALU_DEP_1)
	v_add_nc_u32_e32 v8, v2, v8
	v_and_b32_e32 v11, 0xffffffe0, v8
	s_delay_alu instid0(VALU_DEP_1) | instskip(NEXT) | instid1(VALU_DEP_4)
	v_sub_nc_u32_e32 v25, v2, v11
	v_and_b32_e32 v2, 0xfffffe00, v10
	v_ashrrev_i32_e32 v11, 5, v8
	v_ashrrev_i32_e32 v10, 9, v10
	s_delay_alu instid0(VALU_DEP_4) | instskip(NEXT) | instid1(VALU_DEP_4)
	v_lshlrev_b32_e32 v8, 4, v25
	v_sub_nc_u32_e32 v26, v9, v2
	s_delay_alu instid0(VALU_DEP_2) | instskip(NEXT) | instid1(VALU_DEP_2)
	v_lshl_add_u32 v8, v11, 9, v8
	v_cmp_lt_i32_e64 s13, 15, v26
	s_delay_alu instid0(VALU_DEP_2) | instskip(NEXT) | instid1(VALU_DEP_2)
	v_sub_nc_u32_e32 v32, v9, v8
	v_add_co_ci_u32_e64 v10, vcc_lo, 0, v10, s13
	s_delay_alu instid0(VALU_DEP_1) | instskip(NEXT) | instid1(VALU_DEP_3)
	v_sub_nc_u32_e32 v27, v10, v11
	v_cmpx_lt_i32_e32 15, v32
	s_cbranch_execz .LBB6_9342
; %bb.8616:                             ;   in Loop: Header=BB6_5644 Depth=2
	s_cbranch_execz .LBB6_8617
; %bb.17450:
	s_getpc_b64 s[48:49]
.Lpost_getpc396:
	s_add_u32 s48, s48, (.LBB6_17072-.Lpost_getpc396)&4294967295
	s_addc_u32 s49, s49, (.LBB6_17072-.Lpost_getpc396)>>32
	s_setpc_b64 s[48:49]
.LBB6_8617:                             ;   in Loop: Header=BB6_5644 Depth=2
	ds_load_b128 v[9:12], v0
	v_add_nc_u32_e32 v8, v8, v24
	s_bitcmp1_b32 s30, 0
	s_mov_b32 s31, 0
	s_cselect_b32 s34, -1, 0
	s_delay_alu instid0(VALU_DEP_1) | instskip(SKIP_2) | instid1(VALU_DEP_2)
	v_ashrrev_i32_e32 v13, 31, v8
	s_waitcnt lgkmcnt(0)
	v_add_co_u32 v16, vcc_lo, v9, v8
	v_add_co_ci_u32_e32 v17, vcc_lo, v10, v13, vcc_lo
	s_delay_alu instid0(VALU_DEP_1) | instskip(SKIP_2) | instid1(VALU_DEP_1)
	v_mov_b32_e32 v21, v17
	v_add_co_u32 v18, vcc_lo, v11, v8
	v_add_co_ci_u32_e32 v19, vcc_lo, v12, v13, vcc_lo
	v_dual_mov_b32 v20, v16 :: v_dual_mov_b32 v23, v19
	s_delay_alu instid0(VALU_DEP_3)
	v_mov_b32_e32 v22, v18
.LBB6_8618:                             ;   Parent Loop BB6_51 Depth=1
                                        ;     Parent Loop BB6_5644 Depth=2
                                        ; =>    This Loop Header: Depth=3
                                        ;         Child Loop BB6_9083 Depth 4
	global_load_b128 v[12:15], v[20:21], off slc dlc
	global_load_b128 v[8:11], v[22:23], off slc dlc
	s_and_b32 vcc_lo, exec_lo, s34
	s_waitcnt vmcnt(1)
	v_and_b32_e32 v33, 0xff, v12
	s_delay_alu instid0(VALU_DEP_1)
	v_cmp_lt_i16_e64 s14, 0x7f, v33
	s_cbranch_vccz .LBB6_8628
; %bb.8619:                             ;   in Loop: Header=BB6_8618 Depth=3
	s_mov_b32 s15, 0
                                        ; implicit-def: $sgpr35
	s_delay_alu instid0(VALU_DEP_1) | instskip(NEXT) | instid1(SALU_CYCLE_1)
	s_and_saveexec_b32 vcc_lo, s14
	s_xor_b32 s14, exec_lo, vcc_lo
	s_cbranch_execnz .LBB6_9085
; %bb.8620:                             ;   in Loop: Header=BB6_8618 Depth=3
	s_or_saveexec_b32 s14, s14
	v_mov_b32_e32 v34, s35
	s_xor_b32 exec_lo, exec_lo, s14
	s_cbranch_execnz .LBB6_9088
.LBB6_8621:                             ;   in Loop: Header=BB6_8618 Depth=3
	s_or_b32 exec_lo, exec_lo, s14
	s_and_saveexec_b32 s14, s15
	s_cbranch_execz .LBB6_8623
.LBB6_8622:                             ;   in Loop: Header=BB6_8618 Depth=3
	v_bfe_u32 v37, v12, 3, 4
	v_lshlrev_b32_e32 v38, 24, v12
	s_delay_alu instid0(VALU_DEP_2) | instskip(SKIP_1) | instid1(VALU_DEP_1)
	v_cmp_eq_u32_e32 vcc_lo, 0, v37
	v_and_b32_e32 v34, 7, v12
	v_clz_i32_u32_e32 v35, v34
	s_delay_alu instid0(VALU_DEP_1) | instskip(NEXT) | instid1(VALU_DEP_1)
	v_min_u32_e32 v35, 32, v35
	v_subrev_nc_u32_e32 v36, 28, v35
	v_sub_nc_u32_e32 v35, 29, v35
	s_delay_alu instid0(VALU_DEP_1) | instskip(NEXT) | instid1(VALU_DEP_1)
	v_dual_cndmask_b32 v35, v37, v35 :: v_dual_lshlrev_b32 v36, v36, v12
	v_and_b32_e32 v36, 7, v36
	s_delay_alu instid0(VALU_DEP_2) | instskip(NEXT) | instid1(VALU_DEP_2)
	v_lshl_add_u32 v35, v35, 23, 0x3b800000
	v_cndmask_b32_e32 v34, v34, v36, vcc_lo
	v_and_b32_e32 v36, 0x80000000, v38
	s_delay_alu instid0(VALU_DEP_2) | instskip(NEXT) | instid1(VALU_DEP_1)
	v_lshlrev_b32_e32 v34, 20, v34
	v_or3_b32 v34, v36, v35, v34
.LBB6_8623:                             ;   in Loop: Header=BB6_8618 Depth=3
	s_or_b32 exec_lo, exec_lo, s14
	s_waitcnt vmcnt(0)
	v_and_b32_e32 v36, 0xff, v8
	s_mov_b32 s14, 0
	s_mov_b32 s35, exec_lo
                                        ; implicit-def: $sgpr15
	s_delay_alu instid0(VALU_DEP_1)
	v_cmpx_lt_i16_e32 0x7f, v36
	s_xor_b32 s35, exec_lo, s35
	s_cbranch_execnz .LBB6_9089
; %bb.8624:                             ;   in Loop: Header=BB6_8618 Depth=3
	s_or_saveexec_b32 s35, s35
	v_mov_b32_e32 v35, s15
	s_xor_b32 exec_lo, exec_lo, s35
	s_cbranch_execnz .LBB6_9092
.LBB6_8625:                             ;   in Loop: Header=BB6_8618 Depth=3
	s_or_b32 exec_lo, exec_lo, s35
	s_and_saveexec_b32 s15, s14
	s_cbranch_execz .LBB6_8627
.LBB6_8626:                             ;   in Loop: Header=BB6_8618 Depth=3
	v_and_b32_e32 v35, 7, v8
	v_bfe_u32 v38, v8, 3, 4
	v_lshlrev_b32_e32 v39, 24, v8
	s_delay_alu instid0(VALU_DEP_3) | instskip(NEXT) | instid1(VALU_DEP_3)
	v_clz_i32_u32_e32 v36, v35
	v_cmp_eq_u32_e32 vcc_lo, 0, v38
	s_delay_alu instid0(VALU_DEP_2) | instskip(NEXT) | instid1(VALU_DEP_1)
	v_min_u32_e32 v36, 32, v36
	v_subrev_nc_u32_e32 v37, 28, v36
	v_sub_nc_u32_e32 v36, 29, v36
	s_delay_alu instid0(VALU_DEP_2) | instskip(NEXT) | instid1(VALU_DEP_1)
	v_lshlrev_b32_e32 v37, v37, v8
	v_dual_cndmask_b32 v36, v38, v36 :: v_dual_and_b32 v37, 7, v37
	s_delay_alu instid0(VALU_DEP_1) | instskip(NEXT) | instid1(VALU_DEP_2)
	v_lshl_add_u32 v36, v36, 23, 0x3b800000
	v_cndmask_b32_e32 v35, v35, v37, vcc_lo
	v_and_b32_e32 v37, 0x80000000, v39
	s_delay_alu instid0(VALU_DEP_2) | instskip(NEXT) | instid1(VALU_DEP_1)
	v_lshlrev_b32_e32 v35, 20, v35
	v_or3_b32 v35, v37, v36, v35
.LBB6_8627:                             ;   in Loop: Header=BB6_8618 Depth=3
	s_or_b32 exec_lo, exec_lo, s15
	s_delay_alu instid0(VALU_DEP_1) | instskip(SKIP_1) | instid1(VALU_DEP_1)
	v_dual_max_f32 v35, v35, v35 :: v_dual_max_f32 v34, v34, v34
	s_mov_b32 s14, 0
	v_max_f32_e32 v34, v34, v35
	s_branch .LBB6_8629
.LBB6_8628:                             ;   in Loop: Header=BB6_8618 Depth=3
	s_mov_b32 s14, -1
                                        ; implicit-def: $vgpr34
.LBB6_8629:                             ;   in Loop: Header=BB6_8618 Depth=3
	s_delay_alu instid0(SALU_CYCLE_1)
	s_and_b32 vcc_lo, exec_lo, s14
	s_cbranch_vccz .LBB6_8639
; %bb.8630:                             ;   in Loop: Header=BB6_8618 Depth=3
	s_mov_b32 s14, 0
	s_mov_b32 s35, exec_lo
                                        ; implicit-def: $sgpr15
	v_cmpx_lt_i16_e32 0x7f, v33
	s_xor_b32 s35, exec_lo, s35
	s_cbranch_execnz .LBB6_9093
; %bb.8631:                             ;   in Loop: Header=BB6_8618 Depth=3
	s_or_saveexec_b32 s35, s35
	v_mov_b32_e32 v34, s15
	s_xor_b32 exec_lo, exec_lo, s35
	s_cbranch_execnz .LBB6_9096
.LBB6_8632:                             ;   in Loop: Header=BB6_8618 Depth=3
	s_or_b32 exec_lo, exec_lo, s35
	s_and_saveexec_b32 s15, s14
	s_cbranch_execz .LBB6_8634
.LBB6_8633:                             ;   in Loop: Header=BB6_8618 Depth=3
	v_bfe_u32 v36, v12, 3, 4
	v_lshlrev_b32_e32 v37, 24, v12
	s_delay_alu instid0(VALU_DEP_2) | instskip(SKIP_1) | instid1(VALU_DEP_1)
	v_cmp_eq_u32_e32 vcc_lo, 0, v36
	v_and_b32_e32 v33, 7, v12
	v_clz_i32_u32_e32 v34, v33
	s_delay_alu instid0(VALU_DEP_1) | instskip(NEXT) | instid1(VALU_DEP_1)
	v_min_u32_e32 v34, 32, v34
	v_subrev_nc_u32_e32 v35, 28, v34
	v_sub_nc_u32_e32 v34, 29, v34
	s_delay_alu instid0(VALU_DEP_1) | instskip(NEXT) | instid1(VALU_DEP_1)
	v_dual_cndmask_b32 v34, v36, v34 :: v_dual_lshlrev_b32 v35, v35, v12
	v_and_b32_e32 v35, 7, v35
	s_delay_alu instid0(VALU_DEP_2) | instskip(NEXT) | instid1(VALU_DEP_2)
	v_lshl_add_u32 v34, v34, 23, 0x3b800000
	v_cndmask_b32_e32 v33, v33, v35, vcc_lo
	v_and_b32_e32 v35, 0x80000000, v37
	s_delay_alu instid0(VALU_DEP_2) | instskip(NEXT) | instid1(VALU_DEP_1)
	v_lshlrev_b32_e32 v33, 20, v33
	v_or3_b32 v34, v35, v34, v33
.LBB6_8634:                             ;   in Loop: Header=BB6_8618 Depth=3
	s_or_b32 exec_lo, exec_lo, s15
	s_waitcnt vmcnt(0)
	v_and_b32_e32 v35, 0xff, v8
	s_mov_b32 s14, 0
	s_mov_b32 s35, exec_lo
                                        ; implicit-def: $sgpr15
	s_delay_alu instid0(VALU_DEP_1)
	v_cmpx_lt_i16_e32 0x7f, v35
	s_xor_b32 s35, exec_lo, s35
	s_cbranch_execnz .LBB6_9097
; %bb.8635:                             ;   in Loop: Header=BB6_8618 Depth=3
	s_or_saveexec_b32 s35, s35
	v_mov_b32_e32 v33, s15
	s_xor_b32 exec_lo, exec_lo, s35
	s_cbranch_execnz .LBB6_9100
.LBB6_8636:                             ;   in Loop: Header=BB6_8618 Depth=3
	s_or_b32 exec_lo, exec_lo, s35
	s_and_saveexec_b32 s15, s14
	s_cbranch_execz .LBB6_8638
.LBB6_8637:                             ;   in Loop: Header=BB6_8618 Depth=3
	v_and_b32_e32 v33, 7, v8
	v_bfe_u32 v37, v8, 3, 4
	v_lshlrev_b32_e32 v38, 24, v8
	s_delay_alu instid0(VALU_DEP_3) | instskip(NEXT) | instid1(VALU_DEP_3)
	v_clz_i32_u32_e32 v35, v33
	v_cmp_eq_u32_e32 vcc_lo, 0, v37
	s_delay_alu instid0(VALU_DEP_2) | instskip(NEXT) | instid1(VALU_DEP_1)
	v_min_u32_e32 v35, 32, v35
	v_subrev_nc_u32_e32 v36, 28, v35
	v_sub_nc_u32_e32 v35, 29, v35
	s_delay_alu instid0(VALU_DEP_1) | instskip(NEXT) | instid1(VALU_DEP_1)
	v_dual_cndmask_b32 v35, v37, v35 :: v_dual_lshlrev_b32 v36, v36, v8
	v_and_b32_e32 v36, 7, v36
	s_delay_alu instid0(VALU_DEP_2) | instskip(NEXT) | instid1(VALU_DEP_2)
	v_lshl_add_u32 v35, v35, 23, 0x3b800000
	v_dual_cndmask_b32 v33, v33, v36 :: v_dual_and_b32 v36, 0x80000000, v38
	s_delay_alu instid0(VALU_DEP_1) | instskip(NEXT) | instid1(VALU_DEP_1)
	v_lshlrev_b32_e32 v33, 20, v33
	v_or3_b32 v33, v36, v35, v33
.LBB6_8638:                             ;   in Loop: Header=BB6_8618 Depth=3
	s_or_b32 exec_lo, exec_lo, s15
	s_delay_alu instid0(VALU_DEP_1) | instskip(NEXT) | instid1(VALU_DEP_1)
	v_dual_max_f32 v33, v33, v33 :: v_dual_max_f32 v34, v34, v34
	v_min_f32_e32 v34, v34, v33
.LBB6_8639:                             ;   in Loop: Header=BB6_8618 Depth=3
	s_delay_alu instid0(VALU_DEP_1) | instskip(NEXT) | instid1(VALU_DEP_1)
	v_and_b32_e32 v33, 0x7f800000, v34
	v_cmp_ne_u32_e32 vcc_lo, 0x7f800000, v33
	v_mov_b32_e32 v33, 0x80
	s_and_saveexec_b32 s15, vcc_lo
	s_cbranch_execz .LBB6_8647
; %bb.8640:                             ;   in Loop: Header=BB6_8618 Depth=3
	v_mov_b32_e32 v33, 0
	s_mov_b32 s35, exec_lo
	v_cmpx_ne_u32_e32 0, v34
	s_cbranch_execz .LBB6_8646
; %bb.8641:                             ;   in Loop: Header=BB6_8618 Depth=3
	v_bfe_u32 v33, v34, 23, 8
	s_delay_alu instid0(VALU_DEP_1) | instskip(SKIP_1) | instid1(VALU_DEP_2)
	v_sub_nc_u32_e32 v36, 0x78, v33
	v_cmp_gt_u32_e32 vcc_lo, 0x79, v33
	v_dual_cndmask_b32 v36, 0, v36 :: v_dual_and_b32 v35, 0x7fffff, v34
	s_delay_alu instid0(VALU_DEP_1) | instskip(SKIP_2) | instid1(VALU_DEP_4)
	v_or_b32_e32 v37, 0x800000, v35
	v_cmp_eq_u32_e32 vcc_lo, 0, v33
	v_add_nc_u32_e32 v33, 0xffffff89, v33
	v_cndmask_b32_e64 v36, v36, 0x77, vcc_lo
	s_delay_alu instid0(VALU_DEP_2) | instskip(SKIP_1) | instid1(VALU_DEP_3)
	v_cndmask_b32_e64 v33, v33, 0xffffff8a, vcc_lo
	v_cndmask_b32_e32 v35, v37, v35, vcc_lo
	v_lshl_add_u32 v37, 0x100000, v36, -1
	v_lshlrev_b32_e64 v48, v36, 0x80000
	s_delay_alu instid0(VALU_DEP_3) | instskip(SKIP_1) | instid1(VALU_DEP_4)
	v_lshrrev_b32_e32 v38, v36, v35
	v_add_nc_u32_e32 v36, v36, v33
	v_and_b32_e32 v35, v37, v35
	s_delay_alu instid0(VALU_DEP_3) | instskip(NEXT) | instid1(VALU_DEP_2)
	v_bfe_u32 v39, v38, 20, 1
	v_cmp_eq_u32_e64 s14, v35, v48
	s_delay_alu instid0(VALU_DEP_2) | instskip(NEXT) | instid1(VALU_DEP_1)
	v_add_nc_u32_e32 v37, -1, v39
	v_cndmask_b32_e64 v35, 0, v37, s14
	v_lshrrev_b32_e32 v37, 23, v38
	s_mov_b32 s14, exec_lo
	s_delay_alu instid0(VALU_DEP_2) | instskip(NEXT) | instid1(VALU_DEP_2)
	v_add_nc_u32_e32 v35, v35, v38
	v_xor_b32_e32 v37, 1, v37
	s_delay_alu instid0(VALU_DEP_2) | instskip(NEXT) | instid1(VALU_DEP_1)
	v_and_b32_e32 v33, 0xfffff, v35
	v_add_nc_u32_e32 v35, v33, v38
                                        ; implicit-def: $vgpr33
	s_delay_alu instid0(VALU_DEP_3)
	v_cmpx_ne_u32_e64 v36, v37
	s_xor_b32 s14, exec_lo, s14
; %bb.8642:                             ;   in Loop: Header=BB6_8618 Depth=3
	s_delay_alu instid0(VALU_DEP_2) | instskip(SKIP_2) | instid1(VALU_DEP_2)
	v_cmp_lt_u32_e32 vcc_lo, 0xffffff, v35
	v_sub_nc_u32_e32 v33, v36, v37
	v_cndmask_b32_e64 v36, 0, 1, vcc_lo
	v_add_co_ci_u32_e32 v33, vcc_lo, 0, v33, vcc_lo
	s_delay_alu instid0(VALU_DEP_2)
	v_lshrrev_b32_e32 v35, v36, v35
; %bb.8643:                             ;   in Loop: Header=BB6_8618 Depth=3
	s_and_not1_saveexec_b32 s14, s14
; %bb.8644:                             ;   in Loop: Header=BB6_8618 Depth=3
	s_delay_alu instid0(VALU_DEP_1)
	v_bfe_u32 v33, v35, 23, 1
; %bb.8645:                             ;   in Loop: Header=BB6_8618 Depth=3
	s_or_b32 exec_lo, exec_lo, s14
	v_lshrrev_b32_e32 v35, 20, v35
	s_delay_alu instid0(VALU_DEP_2) | instskip(SKIP_2) | instid1(VALU_DEP_2)
	v_cmp_gt_i32_e32 vcc_lo, 16, v33
	v_lshrrev_b32_e32 v34, 24, v34
	v_min_i32_e32 v36, 15, v33
	v_dual_cndmask_b32 v35, 7, v35 :: v_dual_and_b32 v34, 0x80, v34
	s_delay_alu instid0(VALU_DEP_1) | instskip(SKIP_1) | instid1(VALU_DEP_2)
	v_or_b32_e32 v33, v33, v35
	v_and_b32_e32 v37, 7, v35
	v_cmp_ne_u32_e32 vcc_lo, 0, v33
	v_lshlrev_b32_e32 v36, 3, v36
	s_delay_alu instid0(VALU_DEP_1) | instskip(NEXT) | instid1(VALU_DEP_1)
	v_or3_b32 v34, v36, v34, v37
	v_cndmask_b32_e32 v33, 0, v34, vcc_lo
.LBB6_8646:                             ;   in Loop: Header=BB6_8618 Depth=3
	s_or_b32 exec_lo, exec_lo, s35
.LBB6_8647:                             ;   in Loop: Header=BB6_8618 Depth=3
	s_delay_alu instid0(SALU_CYCLE_1) | instskip(SKIP_4) | instid1(VALU_DEP_2)
	s_or_b32 exec_lo, exec_lo, s15
	v_lshrrev_b16 v35, 8, v12
	s_waitcnt vmcnt(0)
	v_lshrrev_b16 v34, 8, v8
	s_and_b32 vcc_lo, exec_lo, s34
	v_cmp_lt_i16_e64 s14, 0x7f, v35
	s_cbranch_vccz .LBB6_8657
; %bb.8648:                             ;   in Loop: Header=BB6_8618 Depth=3
	s_mov_b32 s15, 0
                                        ; implicit-def: $sgpr35
	s_delay_alu instid0(VALU_DEP_1) | instskip(NEXT) | instid1(SALU_CYCLE_1)
	s_and_saveexec_b32 vcc_lo, s14
	s_xor_b32 s14, exec_lo, vcc_lo
	s_cbranch_execnz .LBB6_9101
; %bb.8649:                             ;   in Loop: Header=BB6_8618 Depth=3
	s_or_saveexec_b32 s14, s14
	v_mov_b32_e32 v36, s35
	s_xor_b32 exec_lo, exec_lo, s14
	s_cbranch_execnz .LBB6_9104
.LBB6_8650:                             ;   in Loop: Header=BB6_8618 Depth=3
	s_or_b32 exec_lo, exec_lo, s14
	s_and_saveexec_b32 s14, s15
	s_cbranch_execz .LBB6_8652
.LBB6_8651:                             ;   in Loop: Header=BB6_8618 Depth=3
	v_and_b32_e32 v36, 0xffff, v35
	s_delay_alu instid0(VALU_DEP_1) | instskip(NEXT) | instid1(VALU_DEP_1)
	v_and_b32_e32 v37, 7, v36
	v_clz_i32_u32_e32 v38, v37
	s_delay_alu instid0(VALU_DEP_1) | instskip(NEXT) | instid1(VALU_DEP_1)
	v_min_u32_e32 v38, 32, v38
	v_subrev_nc_u32_e32 v39, 28, v38
	v_sub_nc_u32_e32 v38, 29, v38
	s_delay_alu instid0(VALU_DEP_2) | instskip(SKIP_1) | instid1(VALU_DEP_2)
	v_lshlrev_b32_e32 v39, v39, v36
	v_bfe_u32 v36, v36, 3, 4
	v_and_b32_e32 v39, 7, v39
	s_delay_alu instid0(VALU_DEP_2) | instskip(SKIP_1) | instid1(VALU_DEP_3)
	v_cmp_eq_u32_e32 vcc_lo, 0, v36
	v_cndmask_b32_e32 v36, v36, v38, vcc_lo
	v_dual_cndmask_b32 v37, v37, v39 :: v_dual_lshlrev_b32 v48, 16, v12
	s_delay_alu instid0(VALU_DEP_2) | instskip(NEXT) | instid1(VALU_DEP_2)
	v_lshl_add_u32 v36, v36, 23, 0x3b800000
	v_and_b32_e32 v38, 0x80000000, v48
	s_delay_alu instid0(VALU_DEP_3) | instskip(NEXT) | instid1(VALU_DEP_1)
	v_lshlrev_b32_e32 v37, 20, v37
	v_or3_b32 v36, v38, v36, v37
.LBB6_8652:                             ;   in Loop: Header=BB6_8618 Depth=3
	s_or_b32 exec_lo, exec_lo, s14
	s_mov_b32 s14, 0
	s_mov_b32 s35, exec_lo
                                        ; implicit-def: $sgpr15
	v_cmpx_lt_i16_e32 0x7f, v34
	s_xor_b32 s35, exec_lo, s35
	s_cbranch_execnz .LBB6_9105
; %bb.8653:                             ;   in Loop: Header=BB6_8618 Depth=3
	s_or_saveexec_b32 s35, s35
	v_mov_b32_e32 v37, s15
	s_xor_b32 exec_lo, exec_lo, s35
	s_cbranch_execnz .LBB6_9108
.LBB6_8654:                             ;   in Loop: Header=BB6_8618 Depth=3
	s_or_b32 exec_lo, exec_lo, s35
	s_and_saveexec_b32 s15, s14
	s_cbranch_execz .LBB6_8656
.LBB6_8655:                             ;   in Loop: Header=BB6_8618 Depth=3
	v_and_b32_e32 v37, 0xffff, v34
	v_lshlrev_b32_e32 v49, 16, v8
	s_delay_alu instid0(VALU_DEP_2) | instskip(NEXT) | instid1(VALU_DEP_1)
	v_and_b32_e32 v38, 7, v37
	v_clz_i32_u32_e32 v39, v38
	s_delay_alu instid0(VALU_DEP_1) | instskip(NEXT) | instid1(VALU_DEP_1)
	v_min_u32_e32 v39, 32, v39
	v_subrev_nc_u32_e32 v48, 28, v39
	v_sub_nc_u32_e32 v39, 29, v39
	s_delay_alu instid0(VALU_DEP_2) | instskip(SKIP_1) | instid1(VALU_DEP_2)
	v_lshlrev_b32_e32 v48, v48, v37
	v_bfe_u32 v37, v37, 3, 4
	v_and_b32_e32 v48, 7, v48
	s_delay_alu instid0(VALU_DEP_2) | instskip(NEXT) | instid1(VALU_DEP_2)
	v_cmp_eq_u32_e32 vcc_lo, 0, v37
	v_dual_cndmask_b32 v37, v37, v39 :: v_dual_cndmask_b32 v38, v38, v48
	v_and_b32_e32 v39, 0x80000000, v49
	s_delay_alu instid0(VALU_DEP_2) | instskip(NEXT) | instid1(VALU_DEP_3)
	v_lshl_add_u32 v37, v37, 23, 0x3b800000
	v_lshlrev_b32_e32 v38, 20, v38
	s_delay_alu instid0(VALU_DEP_1)
	v_or3_b32 v37, v39, v37, v38
.LBB6_8656:                             ;   in Loop: Header=BB6_8618 Depth=3
	s_or_b32 exec_lo, exec_lo, s15
	s_delay_alu instid0(VALU_DEP_1) | instskip(SKIP_1) | instid1(VALU_DEP_1)
	v_dual_max_f32 v37, v37, v37 :: v_dual_max_f32 v36, v36, v36
	s_mov_b32 s14, 0
	v_max_f32_e32 v36, v36, v37
	s_branch .LBB6_8658
.LBB6_8657:                             ;   in Loop: Header=BB6_8618 Depth=3
	s_mov_b32 s14, -1
                                        ; implicit-def: $vgpr36
.LBB6_8658:                             ;   in Loop: Header=BB6_8618 Depth=3
	s_delay_alu instid0(SALU_CYCLE_1)
	s_and_b32 vcc_lo, exec_lo, s14
	s_cbranch_vccz .LBB6_8668
; %bb.8659:                             ;   in Loop: Header=BB6_8618 Depth=3
	s_mov_b32 s14, 0
	s_mov_b32 s35, exec_lo
                                        ; implicit-def: $sgpr15
	v_cmpx_lt_i16_e32 0x7f, v35
	s_xor_b32 s35, exec_lo, s35
	s_cbranch_execnz .LBB6_9109
; %bb.8660:                             ;   in Loop: Header=BB6_8618 Depth=3
	s_or_saveexec_b32 s35, s35
	v_mov_b32_e32 v36, s15
	s_xor_b32 exec_lo, exec_lo, s35
	s_cbranch_execnz .LBB6_9112
.LBB6_8661:                             ;   in Loop: Header=BB6_8618 Depth=3
	s_or_b32 exec_lo, exec_lo, s35
	s_and_saveexec_b32 s15, s14
	s_cbranch_execz .LBB6_8663
.LBB6_8662:                             ;   in Loop: Header=BB6_8618 Depth=3
	v_and_b32_e32 v35, 0xffff, v35
	v_lshlrev_b32_e32 v39, 16, v12
	s_delay_alu instid0(VALU_DEP_2) | instskip(NEXT) | instid1(VALU_DEP_1)
	v_and_b32_e32 v36, 7, v35
	v_clz_i32_u32_e32 v37, v36
	s_delay_alu instid0(VALU_DEP_1) | instskip(NEXT) | instid1(VALU_DEP_1)
	v_min_u32_e32 v37, 32, v37
	v_subrev_nc_u32_e32 v38, 28, v37
	v_sub_nc_u32_e32 v37, 29, v37
	s_delay_alu instid0(VALU_DEP_2) | instskip(SKIP_1) | instid1(VALU_DEP_2)
	v_lshlrev_b32_e32 v38, v38, v35
	v_bfe_u32 v35, v35, 3, 4
	v_and_b32_e32 v38, 7, v38
	s_delay_alu instid0(VALU_DEP_2) | instskip(NEXT) | instid1(VALU_DEP_2)
	v_cmp_eq_u32_e32 vcc_lo, 0, v35
	v_dual_cndmask_b32 v35, v35, v37 :: v_dual_cndmask_b32 v36, v36, v38
	v_and_b32_e32 v37, 0x80000000, v39
	s_delay_alu instid0(VALU_DEP_2) | instskip(NEXT) | instid1(VALU_DEP_3)
	v_lshl_add_u32 v35, v35, 23, 0x3b800000
	v_lshlrev_b32_e32 v36, 20, v36
	s_delay_alu instid0(VALU_DEP_1)
	v_or3_b32 v36, v37, v35, v36
.LBB6_8663:                             ;   in Loop: Header=BB6_8618 Depth=3
	s_or_b32 exec_lo, exec_lo, s15
	s_mov_b32 s14, 0
	s_mov_b32 s35, exec_lo
                                        ; implicit-def: $sgpr15
	v_cmpx_lt_i16_e32 0x7f, v34
	s_xor_b32 s35, exec_lo, s35
	s_cbranch_execnz .LBB6_9113
; %bb.8664:                             ;   in Loop: Header=BB6_8618 Depth=3
	s_or_saveexec_b32 s35, s35
	v_mov_b32_e32 v35, s15
	s_xor_b32 exec_lo, exec_lo, s35
	s_cbranch_execnz .LBB6_9116
.LBB6_8665:                             ;   in Loop: Header=BB6_8618 Depth=3
	s_or_b32 exec_lo, exec_lo, s35
	s_and_saveexec_b32 s15, s14
	s_cbranch_execz .LBB6_8667
.LBB6_8666:                             ;   in Loop: Header=BB6_8618 Depth=3
	v_and_b32_e32 v34, 0xffff, v34
	v_lshlrev_b32_e32 v39, 16, v8
	s_delay_alu instid0(VALU_DEP_2) | instskip(NEXT) | instid1(VALU_DEP_1)
	v_and_b32_e32 v35, 7, v34
	v_clz_i32_u32_e32 v37, v35
	s_delay_alu instid0(VALU_DEP_1) | instskip(NEXT) | instid1(VALU_DEP_1)
	v_min_u32_e32 v37, 32, v37
	v_subrev_nc_u32_e32 v38, 28, v37
	v_sub_nc_u32_e32 v37, 29, v37
	s_delay_alu instid0(VALU_DEP_2) | instskip(SKIP_1) | instid1(VALU_DEP_2)
	v_lshlrev_b32_e32 v38, v38, v34
	v_bfe_u32 v34, v34, 3, 4
	v_and_b32_e32 v38, 7, v38
	s_delay_alu instid0(VALU_DEP_2) | instskip(NEXT) | instid1(VALU_DEP_2)
	v_cmp_eq_u32_e32 vcc_lo, 0, v34
	v_dual_cndmask_b32 v34, v34, v37 :: v_dual_cndmask_b32 v35, v35, v38
	v_and_b32_e32 v37, 0x80000000, v39
	s_delay_alu instid0(VALU_DEP_2) | instskip(NEXT) | instid1(VALU_DEP_3)
	v_lshl_add_u32 v34, v34, 23, 0x3b800000
	v_lshlrev_b32_e32 v35, 20, v35
	s_delay_alu instid0(VALU_DEP_1)
	v_or3_b32 v35, v37, v34, v35
.LBB6_8667:                             ;   in Loop: Header=BB6_8618 Depth=3
	s_or_b32 exec_lo, exec_lo, s15
	s_delay_alu instid0(VALU_DEP_1) | instskip(NEXT) | instid1(VALU_DEP_1)
	v_dual_max_f32 v34, v35, v35 :: v_dual_max_f32 v35, v36, v36
	v_min_f32_e32 v36, v35, v34
.LBB6_8668:                             ;   in Loop: Header=BB6_8618 Depth=3
	s_delay_alu instid0(VALU_DEP_1) | instskip(NEXT) | instid1(VALU_DEP_1)
	v_and_b32_e32 v34, 0x7f800000, v36
	v_cmp_ne_u32_e32 vcc_lo, 0x7f800000, v34
	v_mov_b32_e32 v34, 0x80
	s_and_saveexec_b32 s15, vcc_lo
	s_cbranch_execz .LBB6_8676
; %bb.8669:                             ;   in Loop: Header=BB6_8618 Depth=3
	v_mov_b32_e32 v34, 0
	s_mov_b32 s35, exec_lo
	v_cmpx_ne_u32_e32 0, v36
	s_cbranch_execz .LBB6_8675
; %bb.8670:                             ;   in Loop: Header=BB6_8618 Depth=3
	v_bfe_u32 v34, v36, 23, 8
	v_and_b32_e32 v35, 0x7fffff, v36
	s_delay_alu instid0(VALU_DEP_2) | instskip(SKIP_1) | instid1(VALU_DEP_3)
	v_sub_nc_u32_e32 v37, 0x78, v34
	v_cmp_gt_u32_e32 vcc_lo, 0x79, v34
	v_or_b32_e32 v38, 0x800000, v35
	s_delay_alu instid0(VALU_DEP_3) | instskip(SKIP_2) | instid1(VALU_DEP_3)
	v_cndmask_b32_e32 v37, 0, v37, vcc_lo
	v_cmp_eq_u32_e32 vcc_lo, 0, v34
	v_add_nc_u32_e32 v34, 0xffffff89, v34
	v_cndmask_b32_e64 v37, v37, 0x77, vcc_lo
	v_cndmask_b32_e32 v35, v38, v35, vcc_lo
	s_delay_alu instid0(VALU_DEP_3) | instskip(NEXT) | instid1(VALU_DEP_3)
	v_cndmask_b32_e64 v34, v34, 0xffffff8a, vcc_lo
	v_lshl_add_u32 v38, 0x100000, v37, -1
	s_delay_alu instid0(VALU_DEP_3) | instskip(SKIP_1) | instid1(VALU_DEP_4)
	v_lshrrev_b32_e32 v39, v37, v35
	v_lshlrev_b32_e64 v49, v37, 0x80000
	v_add_nc_u32_e32 v37, v37, v34
	s_delay_alu instid0(VALU_DEP_4) | instskip(NEXT) | instid1(VALU_DEP_4)
	v_and_b32_e32 v35, v38, v35
	v_bfe_u32 v48, v39, 20, 1
	s_delay_alu instid0(VALU_DEP_2) | instskip(NEXT) | instid1(VALU_DEP_2)
	v_cmp_eq_u32_e64 s14, v35, v49
	v_add_nc_u32_e32 v38, -1, v48
	s_delay_alu instid0(VALU_DEP_1) | instskip(SKIP_2) | instid1(VALU_DEP_2)
	v_cndmask_b32_e64 v35, 0, v38, s14
	v_lshrrev_b32_e32 v38, 23, v39
	s_mov_b32 s14, exec_lo
	v_add_nc_u32_e32 v35, v35, v39
	s_delay_alu instid0(VALU_DEP_2) | instskip(NEXT) | instid1(VALU_DEP_2)
	v_xor_b32_e32 v38, 1, v38
	v_and_b32_e32 v34, 0xfffff, v35
	s_delay_alu instid0(VALU_DEP_1) | instskip(NEXT) | instid1(VALU_DEP_3)
	v_add_nc_u32_e32 v35, v34, v39
                                        ; implicit-def: $vgpr34
	v_cmpx_ne_u32_e64 v37, v38
	s_xor_b32 s14, exec_lo, s14
; %bb.8671:                             ;   in Loop: Header=BB6_8618 Depth=3
	s_delay_alu instid0(VALU_DEP_2) | instskip(SKIP_2) | instid1(VALU_DEP_2)
	v_cmp_lt_u32_e32 vcc_lo, 0xffffff, v35
	v_sub_nc_u32_e32 v34, v37, v38
	v_cndmask_b32_e64 v37, 0, 1, vcc_lo
	v_add_co_ci_u32_e32 v34, vcc_lo, 0, v34, vcc_lo
	s_delay_alu instid0(VALU_DEP_2)
	v_lshrrev_b32_e32 v35, v37, v35
; %bb.8672:                             ;   in Loop: Header=BB6_8618 Depth=3
	s_and_not1_saveexec_b32 s14, s14
; %bb.8673:                             ;   in Loop: Header=BB6_8618 Depth=3
	s_delay_alu instid0(VALU_DEP_1)
	v_bfe_u32 v34, v35, 23, 1
; %bb.8674:                             ;   in Loop: Header=BB6_8618 Depth=3
	s_or_b32 exec_lo, exec_lo, s14
	v_lshrrev_b32_e32 v35, 20, v35
	s_delay_alu instid0(VALU_DEP_2) | instskip(SKIP_2) | instid1(VALU_DEP_2)
	v_cmp_gt_i32_e32 vcc_lo, 16, v34
	v_lshrrev_b32_e32 v36, 24, v36
	v_min_i32_e32 v37, 15, v34
	v_dual_cndmask_b32 v35, 7, v35 :: v_dual_and_b32 v36, 0x80, v36
	s_delay_alu instid0(VALU_DEP_1) | instskip(SKIP_1) | instid1(VALU_DEP_2)
	v_or_b32_e32 v34, v34, v35
	v_and_b32_e32 v38, 7, v35
	v_cmp_ne_u32_e32 vcc_lo, 0, v34
	v_lshlrev_b32_e32 v37, 3, v37
	s_delay_alu instid0(VALU_DEP_1) | instskip(NEXT) | instid1(VALU_DEP_1)
	v_or3_b32 v35, v37, v36, v38
	v_cndmask_b32_e32 v34, 0, v35, vcc_lo
.LBB6_8675:                             ;   in Loop: Header=BB6_8618 Depth=3
	s_or_b32 exec_lo, exec_lo, s35
.LBB6_8676:                             ;   in Loop: Header=BB6_8618 Depth=3
	s_delay_alu instid0(SALU_CYCLE_1) | instskip(SKIP_3) | instid1(VALU_DEP_2)
	s_or_b32 exec_lo, exec_lo, s15
	v_lshrrev_b32_e32 v36, 16, v12
	v_lshrrev_b32_e32 v35, 16, v8
	s_and_b32 vcc_lo, exec_lo, s34
	v_and_b32_e32 v37, 0xff, v36
	s_delay_alu instid0(VALU_DEP_1)
	v_cmp_lt_i16_e64 s14, 0x7f, v37
	s_cbranch_vccz .LBB6_8686
; %bb.8677:                             ;   in Loop: Header=BB6_8618 Depth=3
	s_mov_b32 s15, 0
                                        ; implicit-def: $sgpr35
	s_delay_alu instid0(VALU_DEP_1) | instskip(NEXT) | instid1(SALU_CYCLE_1)
	s_and_saveexec_b32 vcc_lo, s14
	s_xor_b32 s14, exec_lo, vcc_lo
	s_cbranch_execnz .LBB6_9117
; %bb.8678:                             ;   in Loop: Header=BB6_8618 Depth=3
	s_or_saveexec_b32 s14, s14
	v_mov_b32_e32 v38, s35
	s_xor_b32 exec_lo, exec_lo, s14
	s_cbranch_execnz .LBB6_9120
.LBB6_8679:                             ;   in Loop: Header=BB6_8618 Depth=3
	s_or_b32 exec_lo, exec_lo, s14
	s_and_saveexec_b32 s14, s15
	s_cbranch_execz .LBB6_8681
.LBB6_8680:                             ;   in Loop: Header=BB6_8618 Depth=3
	v_bfe_u32 v38, v12, 16, 3
	v_bfe_u32 v49, v12, 19, 4
	v_lshlrev_b32_e32 v50, 24, v36
	s_delay_alu instid0(VALU_DEP_3) | instskip(NEXT) | instid1(VALU_DEP_3)
	v_clz_i32_u32_e32 v39, v38
	v_cmp_eq_u32_e32 vcc_lo, 0, v49
	s_delay_alu instid0(VALU_DEP_2) | instskip(NEXT) | instid1(VALU_DEP_1)
	v_min_u32_e32 v39, 32, v39
	v_subrev_nc_u32_e32 v48, 28, v39
	v_sub_nc_u32_e32 v39, 29, v39
	s_delay_alu instid0(VALU_DEP_1) | instskip(NEXT) | instid1(VALU_DEP_1)
	v_dual_cndmask_b32 v39, v49, v39 :: v_dual_lshlrev_b32 v48, v48, v36
	v_and_b32_e32 v48, 7, v48
	s_delay_alu instid0(VALU_DEP_2) | instskip(NEXT) | instid1(VALU_DEP_2)
	v_lshl_add_u32 v39, v39, 23, 0x3b800000
	v_cndmask_b32_e32 v38, v38, v48, vcc_lo
	v_and_b32_e32 v48, 0x80000000, v50
	s_delay_alu instid0(VALU_DEP_2) | instskip(NEXT) | instid1(VALU_DEP_1)
	v_lshlrev_b32_e32 v38, 20, v38
	v_or3_b32 v38, v48, v39, v38
.LBB6_8681:                             ;   in Loop: Header=BB6_8618 Depth=3
	s_or_b32 exec_lo, exec_lo, s14
	v_and_b32_e32 v48, 0xff, v35
	s_mov_b32 s14, 0
	s_mov_b32 s35, exec_lo
                                        ; implicit-def: $sgpr15
	s_delay_alu instid0(VALU_DEP_1)
	v_cmpx_lt_i16_e32 0x7f, v48
	s_xor_b32 s35, exec_lo, s35
	s_cbranch_execnz .LBB6_9121
; %bb.8682:                             ;   in Loop: Header=BB6_8618 Depth=3
	s_or_saveexec_b32 s35, s35
	v_mov_b32_e32 v39, s15
	s_xor_b32 exec_lo, exec_lo, s35
	s_cbranch_execnz .LBB6_9124
.LBB6_8683:                             ;   in Loop: Header=BB6_8618 Depth=3
	s_or_b32 exec_lo, exec_lo, s35
	s_and_saveexec_b32 s15, s14
	s_cbranch_execz .LBB6_8685
.LBB6_8684:                             ;   in Loop: Header=BB6_8618 Depth=3
	v_bfe_u32 v39, v8, 16, 3
	v_bfe_u32 v50, v8, 19, 4
	v_lshlrev_b32_e32 v51, 24, v35
	s_delay_alu instid0(VALU_DEP_3) | instskip(NEXT) | instid1(VALU_DEP_3)
	v_clz_i32_u32_e32 v48, v39
	v_cmp_eq_u32_e32 vcc_lo, 0, v50
	s_delay_alu instid0(VALU_DEP_2) | instskip(NEXT) | instid1(VALU_DEP_1)
	v_min_u32_e32 v48, 32, v48
	v_subrev_nc_u32_e32 v49, 28, v48
	v_sub_nc_u32_e32 v48, 29, v48
	s_delay_alu instid0(VALU_DEP_1) | instskip(NEXT) | instid1(VALU_DEP_1)
	v_dual_cndmask_b32 v48, v50, v48 :: v_dual_lshlrev_b32 v49, v49, v35
	v_and_b32_e32 v49, 7, v49
	s_delay_alu instid0(VALU_DEP_2) | instskip(NEXT) | instid1(VALU_DEP_2)
	v_lshl_add_u32 v48, v48, 23, 0x3b800000
	v_cndmask_b32_e32 v39, v39, v49, vcc_lo
	v_and_b32_e32 v49, 0x80000000, v51
	s_delay_alu instid0(VALU_DEP_2) | instskip(NEXT) | instid1(VALU_DEP_1)
	v_lshlrev_b32_e32 v39, 20, v39
	v_or3_b32 v39, v49, v48, v39
.LBB6_8685:                             ;   in Loop: Header=BB6_8618 Depth=3
	s_or_b32 exec_lo, exec_lo, s15
	s_delay_alu instid0(VALU_DEP_1) | instskip(SKIP_1) | instid1(VALU_DEP_1)
	v_dual_max_f32 v39, v39, v39 :: v_dual_max_f32 v38, v38, v38
	s_mov_b32 s14, 0
	v_max_f32_e32 v38, v38, v39
	s_branch .LBB6_8687
.LBB6_8686:                             ;   in Loop: Header=BB6_8618 Depth=3
	s_mov_b32 s14, -1
                                        ; implicit-def: $vgpr38
.LBB6_8687:                             ;   in Loop: Header=BB6_8618 Depth=3
	s_delay_alu instid0(SALU_CYCLE_1)
	s_and_b32 vcc_lo, exec_lo, s14
	s_cbranch_vccz .LBB6_8697
; %bb.8688:                             ;   in Loop: Header=BB6_8618 Depth=3
	s_mov_b32 s14, 0
	s_mov_b32 s35, exec_lo
                                        ; implicit-def: $sgpr15
	v_cmpx_lt_i16_e32 0x7f, v37
	s_xor_b32 s35, exec_lo, s35
	s_cbranch_execnz .LBB6_9125
; %bb.8689:                             ;   in Loop: Header=BB6_8618 Depth=3
	s_or_saveexec_b32 s35, s35
	v_mov_b32_e32 v38, s15
	s_xor_b32 exec_lo, exec_lo, s35
	s_cbranch_execnz .LBB6_9128
.LBB6_8690:                             ;   in Loop: Header=BB6_8618 Depth=3
	s_or_b32 exec_lo, exec_lo, s35
	s_and_saveexec_b32 s15, s14
	s_cbranch_execz .LBB6_8692
.LBB6_8691:                             ;   in Loop: Header=BB6_8618 Depth=3
	v_bfe_u32 v37, v12, 16, 3
	v_bfe_u32 v48, v12, 19, 4
	s_delay_alu instid0(VALU_DEP_2) | instskip(NEXT) | instid1(VALU_DEP_2)
	v_clz_i32_u32_e32 v38, v37
	v_cmp_eq_u32_e32 vcc_lo, 0, v48
	s_delay_alu instid0(VALU_DEP_2) | instskip(NEXT) | instid1(VALU_DEP_1)
	v_min_u32_e32 v38, 32, v38
	v_subrev_nc_u32_e32 v39, 28, v38
	v_sub_nc_u32_e32 v38, 29, v38
	s_delay_alu instid0(VALU_DEP_1) | instskip(NEXT) | instid1(VALU_DEP_1)
	v_dual_cndmask_b32 v38, v48, v38 :: v_dual_lshlrev_b32 v39, v39, v36
	v_and_b32_e32 v39, 7, v39
	v_lshlrev_b32_e32 v36, 24, v36
	s_delay_alu instid0(VALU_DEP_3) | instskip(NEXT) | instid1(VALU_DEP_2)
	v_lshl_add_u32 v38, v38, 23, 0x3b800000
	v_dual_cndmask_b32 v37, v37, v39 :: v_dual_and_b32 v36, 0x80000000, v36
	s_delay_alu instid0(VALU_DEP_1) | instskip(NEXT) | instid1(VALU_DEP_1)
	v_lshlrev_b32_e32 v37, 20, v37
	v_or3_b32 v38, v36, v38, v37
.LBB6_8692:                             ;   in Loop: Header=BB6_8618 Depth=3
	s_or_b32 exec_lo, exec_lo, s15
	v_and_b32_e32 v37, 0xff, v35
	s_mov_b32 s14, 0
	s_mov_b32 s35, exec_lo
                                        ; implicit-def: $sgpr15
	s_delay_alu instid0(VALU_DEP_1)
	v_cmpx_lt_i16_e32 0x7f, v37
	s_xor_b32 s35, exec_lo, s35
	s_cbranch_execnz .LBB6_9129
; %bb.8693:                             ;   in Loop: Header=BB6_8618 Depth=3
	s_or_saveexec_b32 s35, s35
	v_mov_b32_e32 v36, s15
	s_xor_b32 exec_lo, exec_lo, s35
	s_cbranch_execnz .LBB6_9132
.LBB6_8694:                             ;   in Loop: Header=BB6_8618 Depth=3
	s_or_b32 exec_lo, exec_lo, s35
	s_and_saveexec_b32 s15, s14
	s_cbranch_execz .LBB6_8696
.LBB6_8695:                             ;   in Loop: Header=BB6_8618 Depth=3
	v_bfe_u32 v36, v8, 16, 3
	v_bfe_u32 v48, v8, 19, 4
	s_delay_alu instid0(VALU_DEP_2) | instskip(NEXT) | instid1(VALU_DEP_2)
	v_clz_i32_u32_e32 v37, v36
	v_cmp_eq_u32_e32 vcc_lo, 0, v48
	s_delay_alu instid0(VALU_DEP_2) | instskip(NEXT) | instid1(VALU_DEP_1)
	v_min_u32_e32 v37, 32, v37
	v_subrev_nc_u32_e32 v39, 28, v37
	v_sub_nc_u32_e32 v37, 29, v37
	s_delay_alu instid0(VALU_DEP_2) | instskip(SKIP_1) | instid1(VALU_DEP_2)
	v_lshlrev_b32_e32 v39, v39, v35
	v_lshlrev_b32_e32 v35, 24, v35
	v_and_b32_e32 v39, 7, v39
	s_delay_alu instid0(VALU_DEP_2) | instskip(NEXT) | instid1(VALU_DEP_2)
	v_and_b32_e32 v35, 0x80000000, v35
	v_cndmask_b32_e32 v36, v36, v39, vcc_lo
	s_delay_alu instid0(VALU_DEP_1) | instskip(NEXT) | instid1(VALU_DEP_1)
	v_dual_cndmask_b32 v37, v48, v37 :: v_dual_lshlrev_b32 v36, 20, v36
	v_lshl_add_u32 v37, v37, 23, 0x3b800000
	s_delay_alu instid0(VALU_DEP_1)
	v_or3_b32 v36, v35, v37, v36
.LBB6_8696:                             ;   in Loop: Header=BB6_8618 Depth=3
	s_or_b32 exec_lo, exec_lo, s15
	s_delay_alu instid0(VALU_DEP_1) | instskip(NEXT) | instid1(VALU_DEP_1)
	v_dual_max_f32 v35, v36, v36 :: v_dual_max_f32 v36, v38, v38
	v_min_f32_e32 v38, v36, v35
.LBB6_8697:                             ;   in Loop: Header=BB6_8618 Depth=3
	s_delay_alu instid0(VALU_DEP_1) | instskip(NEXT) | instid1(VALU_DEP_1)
	v_and_b32_e32 v35, 0x7f800000, v38
	v_cmp_ne_u32_e32 vcc_lo, 0x7f800000, v35
	v_mov_b32_e32 v35, 0x80
	s_and_saveexec_b32 s15, vcc_lo
	s_cbranch_execz .LBB6_8705
; %bb.8698:                             ;   in Loop: Header=BB6_8618 Depth=3
	v_mov_b32_e32 v35, 0
	s_mov_b32 s35, exec_lo
	v_cmpx_ne_u32_e32 0, v38
	s_cbranch_execz .LBB6_8704
; %bb.8699:                             ;   in Loop: Header=BB6_8618 Depth=3
	v_bfe_u32 v35, v38, 23, 8
	s_delay_alu instid0(VALU_DEP_1) | instskip(SKIP_1) | instid1(VALU_DEP_2)
	v_sub_nc_u32_e32 v37, 0x78, v35
	v_cmp_gt_u32_e32 vcc_lo, 0x79, v35
	v_dual_cndmask_b32 v37, 0, v37 :: v_dual_and_b32 v36, 0x7fffff, v38
	s_delay_alu instid0(VALU_DEP_1) | instskip(SKIP_2) | instid1(VALU_DEP_4)
	v_or_b32_e32 v39, 0x800000, v36
	v_cmp_eq_u32_e32 vcc_lo, 0, v35
	v_add_nc_u32_e32 v35, 0xffffff89, v35
	v_cndmask_b32_e64 v37, v37, 0x77, vcc_lo
	s_delay_alu instid0(VALU_DEP_4) | instskip(NEXT) | instid1(VALU_DEP_3)
	v_cndmask_b32_e32 v36, v39, v36, vcc_lo
	v_cndmask_b32_e64 v35, v35, 0xffffff8a, vcc_lo
	s_delay_alu instid0(VALU_DEP_3) | instskip(NEXT) | instid1(VALU_DEP_3)
	v_lshl_add_u32 v39, 0x100000, v37, -1
	v_lshrrev_b32_e32 v48, v37, v36
	v_lshlrev_b32_e64 v50, v37, 0x80000
	s_delay_alu instid0(VALU_DEP_4) | instskip(NEXT) | instid1(VALU_DEP_4)
	v_add_nc_u32_e32 v37, v37, v35
	v_and_b32_e32 v36, v39, v36
	s_delay_alu instid0(VALU_DEP_4) | instskip(NEXT) | instid1(VALU_DEP_2)
	v_bfe_u32 v49, v48, 20, 1
	v_cmp_eq_u32_e64 s14, v36, v50
	s_delay_alu instid0(VALU_DEP_2) | instskip(NEXT) | instid1(VALU_DEP_1)
	v_add_nc_u32_e32 v39, -1, v49
	v_cndmask_b32_e64 v36, 0, v39, s14
	v_lshrrev_b32_e32 v39, 23, v48
	s_mov_b32 s14, exec_lo
	s_delay_alu instid0(VALU_DEP_2) | instskip(NEXT) | instid1(VALU_DEP_2)
	v_add_nc_u32_e32 v36, v36, v48
	v_xor_b32_e32 v39, 1, v39
	s_delay_alu instid0(VALU_DEP_2) | instskip(NEXT) | instid1(VALU_DEP_1)
	v_and_b32_e32 v35, 0xfffff, v36
	v_add_nc_u32_e32 v36, v35, v48
                                        ; implicit-def: $vgpr35
	s_delay_alu instid0(VALU_DEP_3)
	v_cmpx_ne_u32_e64 v37, v39
	s_xor_b32 s14, exec_lo, s14
; %bb.8700:                             ;   in Loop: Header=BB6_8618 Depth=3
	s_delay_alu instid0(VALU_DEP_2) | instskip(SKIP_2) | instid1(VALU_DEP_2)
	v_cmp_lt_u32_e32 vcc_lo, 0xffffff, v36
	v_sub_nc_u32_e32 v35, v37, v39
	v_cndmask_b32_e64 v37, 0, 1, vcc_lo
	v_add_co_ci_u32_e32 v35, vcc_lo, 0, v35, vcc_lo
	s_delay_alu instid0(VALU_DEP_2)
	v_lshrrev_b32_e32 v36, v37, v36
; %bb.8701:                             ;   in Loop: Header=BB6_8618 Depth=3
	s_and_not1_saveexec_b32 s14, s14
; %bb.8702:                             ;   in Loop: Header=BB6_8618 Depth=3
	s_delay_alu instid0(VALU_DEP_1)
	v_bfe_u32 v35, v36, 23, 1
; %bb.8703:                             ;   in Loop: Header=BB6_8618 Depth=3
	s_or_b32 exec_lo, exec_lo, s14
	v_lshrrev_b32_e32 v36, 20, v36
	s_delay_alu instid0(VALU_DEP_2) | instskip(SKIP_2) | instid1(VALU_DEP_2)
	v_cmp_gt_i32_e32 vcc_lo, 16, v35
	v_lshrrev_b32_e32 v37, 24, v38
	v_min_i32_e32 v38, 15, v35
	v_dual_cndmask_b32 v36, 7, v36 :: v_dual_and_b32 v37, 0x80, v37
	s_delay_alu instid0(VALU_DEP_1) | instskip(SKIP_1) | instid1(VALU_DEP_2)
	v_or_b32_e32 v35, v35, v36
	v_and_b32_e32 v39, 7, v36
	v_cmp_ne_u32_e32 vcc_lo, 0, v35
	v_lshlrev_b32_e32 v38, 3, v38
	s_delay_alu instid0(VALU_DEP_1) | instskip(NEXT) | instid1(VALU_DEP_1)
	v_or3_b32 v36, v38, v37, v39
	v_cndmask_b32_e32 v35, 0, v36, vcc_lo
.LBB6_8704:                             ;   in Loop: Header=BB6_8618 Depth=3
	s_or_b32 exec_lo, exec_lo, s35
.LBB6_8705:                             ;   in Loop: Header=BB6_8618 Depth=3
	s_delay_alu instid0(SALU_CYCLE_1) | instskip(SKIP_3) | instid1(VALU_DEP_2)
	s_or_b32 exec_lo, exec_lo, s15
	v_lshrrev_b32_e32 v37, 24, v12
	v_lshrrev_b32_e32 v36, 24, v8
	s_and_b32 vcc_lo, exec_lo, s34
	v_cmp_lt_i16_e64 s14, 0x7f, v37
	s_cbranch_vccz .LBB6_8715
; %bb.8706:                             ;   in Loop: Header=BB6_8618 Depth=3
	s_mov_b32 s15, 0
                                        ; implicit-def: $sgpr35
	s_delay_alu instid0(VALU_DEP_1) | instskip(NEXT) | instid1(SALU_CYCLE_1)
	s_and_saveexec_b32 vcc_lo, s14
	s_xor_b32 s14, exec_lo, vcc_lo
	s_cbranch_execnz .LBB6_9133
; %bb.8707:                             ;   in Loop: Header=BB6_8618 Depth=3
	s_or_saveexec_b32 s14, s14
	v_mov_b32_e32 v38, s35
	s_xor_b32 exec_lo, exec_lo, s14
	s_cbranch_execnz .LBB6_9136
.LBB6_8708:                             ;   in Loop: Header=BB6_8618 Depth=3
	s_or_b32 exec_lo, exec_lo, s14
	s_and_saveexec_b32 s14, s15
	s_cbranch_execz .LBB6_8710
.LBB6_8709:                             ;   in Loop: Header=BB6_8618 Depth=3
	v_bfe_u32 v38, v12, 24, 3
	v_bfe_u32 v49, v12, 27, 4
	s_delay_alu instid0(VALU_DEP_2) | instskip(NEXT) | instid1(VALU_DEP_2)
	v_clz_i32_u32_e32 v39, v38
	v_cmp_eq_u32_e32 vcc_lo, 0, v49
	s_delay_alu instid0(VALU_DEP_2) | instskip(NEXT) | instid1(VALU_DEP_1)
	v_min_u32_e32 v39, 32, v39
	v_subrev_nc_u32_e32 v48, 28, v39
	v_sub_nc_u32_e32 v39, 29, v39
	s_delay_alu instid0(VALU_DEP_1) | instskip(NEXT) | instid1(VALU_DEP_1)
	v_dual_cndmask_b32 v39, v49, v39 :: v_dual_lshlrev_b32 v48, v48, v37
	v_and_b32_e32 v48, 7, v48
	s_delay_alu instid0(VALU_DEP_2) | instskip(NEXT) | instid1(VALU_DEP_2)
	v_lshl_add_u32 v39, v39, 23, 0x3b800000
	v_cndmask_b32_e32 v38, v38, v48, vcc_lo
	v_and_b32_e32 v48, 0x80000000, v12
	s_delay_alu instid0(VALU_DEP_2) | instskip(NEXT) | instid1(VALU_DEP_1)
	v_lshlrev_b32_e32 v38, 20, v38
	v_or3_b32 v38, v48, v39, v38
.LBB6_8710:                             ;   in Loop: Header=BB6_8618 Depth=3
	s_or_b32 exec_lo, exec_lo, s14
	s_mov_b32 s14, 0
	s_mov_b32 s35, exec_lo
                                        ; implicit-def: $sgpr15
	v_cmpx_lt_i16_e32 0x7f, v36
	s_xor_b32 s35, exec_lo, s35
	s_cbranch_execnz .LBB6_9137
; %bb.8711:                             ;   in Loop: Header=BB6_8618 Depth=3
	s_or_saveexec_b32 s35, s35
	v_mov_b32_e32 v39, s15
	s_xor_b32 exec_lo, exec_lo, s35
	s_cbranch_execnz .LBB6_9140
.LBB6_8712:                             ;   in Loop: Header=BB6_8618 Depth=3
	s_or_b32 exec_lo, exec_lo, s35
	s_and_saveexec_b32 s15, s14
	s_cbranch_execz .LBB6_8714
.LBB6_8713:                             ;   in Loop: Header=BB6_8618 Depth=3
	v_bfe_u32 v39, v8, 24, 3
	v_bfe_u32 v50, v8, 27, 4
	s_delay_alu instid0(VALU_DEP_2) | instskip(NEXT) | instid1(VALU_DEP_2)
	v_clz_i32_u32_e32 v48, v39
	v_cmp_eq_u32_e32 vcc_lo, 0, v50
	s_delay_alu instid0(VALU_DEP_2) | instskip(NEXT) | instid1(VALU_DEP_1)
	v_min_u32_e32 v48, 32, v48
	v_subrev_nc_u32_e32 v49, 28, v48
	v_sub_nc_u32_e32 v48, 29, v48
	s_delay_alu instid0(VALU_DEP_2) | instskip(NEXT) | instid1(VALU_DEP_1)
	v_lshlrev_b32_e32 v49, v49, v36
	v_dual_cndmask_b32 v48, v50, v48 :: v_dual_and_b32 v49, 7, v49
	s_delay_alu instid0(VALU_DEP_1) | instskip(NEXT) | instid1(VALU_DEP_2)
	v_lshl_add_u32 v48, v48, 23, 0x3b800000
	v_cndmask_b32_e32 v39, v39, v49, vcc_lo
	v_and_b32_e32 v49, 0x80000000, v8
	s_delay_alu instid0(VALU_DEP_2) | instskip(NEXT) | instid1(VALU_DEP_1)
	v_lshlrev_b32_e32 v39, 20, v39
	v_or3_b32 v39, v49, v48, v39
.LBB6_8714:                             ;   in Loop: Header=BB6_8618 Depth=3
	s_or_b32 exec_lo, exec_lo, s15
	s_delay_alu instid0(VALU_DEP_1) | instskip(SKIP_1) | instid1(VALU_DEP_1)
	v_dual_max_f32 v39, v39, v39 :: v_dual_max_f32 v38, v38, v38
	s_mov_b32 s14, 0
	v_max_f32_e32 v38, v38, v39
	s_branch .LBB6_8716
.LBB6_8715:                             ;   in Loop: Header=BB6_8618 Depth=3
	s_mov_b32 s14, -1
                                        ; implicit-def: $vgpr38
.LBB6_8716:                             ;   in Loop: Header=BB6_8618 Depth=3
	s_delay_alu instid0(SALU_CYCLE_1)
	s_and_b32 vcc_lo, exec_lo, s14
	s_cbranch_vccz .LBB6_8726
; %bb.8717:                             ;   in Loop: Header=BB6_8618 Depth=3
	s_mov_b32 s14, 0
	s_mov_b32 s35, exec_lo
                                        ; implicit-def: $sgpr15
	v_cmpx_lt_i16_e32 0x7f, v37
	s_xor_b32 s35, exec_lo, s35
	s_cbranch_execnz .LBB6_9141
; %bb.8718:                             ;   in Loop: Header=BB6_8618 Depth=3
	s_or_saveexec_b32 s35, s35
	v_mov_b32_e32 v38, s15
	s_xor_b32 exec_lo, exec_lo, s35
	s_cbranch_execnz .LBB6_9144
.LBB6_8719:                             ;   in Loop: Header=BB6_8618 Depth=3
	s_or_b32 exec_lo, exec_lo, s35
	s_and_saveexec_b32 s15, s14
	s_cbranch_execz .LBB6_8721
.LBB6_8720:                             ;   in Loop: Header=BB6_8618 Depth=3
	v_bfe_u32 v38, v12, 24, 3
	s_delay_alu instid0(VALU_DEP_1) | instskip(NEXT) | instid1(VALU_DEP_1)
	v_clz_i32_u32_e32 v39, v38
	v_min_u32_e32 v39, 32, v39
	s_delay_alu instid0(VALU_DEP_1) | instskip(SKIP_1) | instid1(VALU_DEP_2)
	v_subrev_nc_u32_e32 v48, 28, v39
	v_sub_nc_u32_e32 v39, 29, v39
	v_lshlrev_b32_e32 v37, v48, v37
	v_bfe_u32 v48, v12, 27, 4
	v_and_b32_e32 v12, 0x80000000, v12
	s_delay_alu instid0(VALU_DEP_3) | instskip(NEXT) | instid1(VALU_DEP_3)
	v_and_b32_e32 v37, 7, v37
	v_cmp_eq_u32_e32 vcc_lo, 0, v48
	v_cndmask_b32_e32 v39, v48, v39, vcc_lo
	s_delay_alu instid0(VALU_DEP_3) | instskip(NEXT) | instid1(VALU_DEP_2)
	v_cndmask_b32_e32 v37, v38, v37, vcc_lo
	v_lshl_add_u32 v38, v39, 23, 0x3b800000
	s_delay_alu instid0(VALU_DEP_2) | instskip(NEXT) | instid1(VALU_DEP_1)
	v_lshlrev_b32_e32 v37, 20, v37
	v_or3_b32 v38, v12, v38, v37
.LBB6_8721:                             ;   in Loop: Header=BB6_8618 Depth=3
	s_or_b32 exec_lo, exec_lo, s15
	s_mov_b32 s14, 0
	s_mov_b32 s35, exec_lo
                                        ; implicit-def: $sgpr15
	v_cmpx_lt_i16_e32 0x7f, v36
	s_xor_b32 s35, exec_lo, s35
	s_cbranch_execnz .LBB6_9145
; %bb.8722:                             ;   in Loop: Header=BB6_8618 Depth=3
	s_or_saveexec_b32 s35, s35
	v_mov_b32_e32 v12, s15
	s_xor_b32 exec_lo, exec_lo, s35
	s_cbranch_execnz .LBB6_9148
.LBB6_8723:                             ;   in Loop: Header=BB6_8618 Depth=3
	s_or_b32 exec_lo, exec_lo, s35
	s_and_saveexec_b32 s15, s14
	s_cbranch_execz .LBB6_8725
.LBB6_8724:                             ;   in Loop: Header=BB6_8618 Depth=3
	v_bfe_u32 v12, v8, 24, 3
	s_delay_alu instid0(VALU_DEP_1) | instskip(NEXT) | instid1(VALU_DEP_1)
	v_clz_i32_u32_e32 v37, v12
	v_min_u32_e32 v37, 32, v37
	s_delay_alu instid0(VALU_DEP_1) | instskip(SKIP_1) | instid1(VALU_DEP_2)
	v_subrev_nc_u32_e32 v39, 28, v37
	v_sub_nc_u32_e32 v37, 29, v37
	v_lshlrev_b32_e32 v36, v39, v36
	v_bfe_u32 v39, v8, 27, 4
	v_and_b32_e32 v8, 0x80000000, v8
	s_delay_alu instid0(VALU_DEP_2) | instskip(NEXT) | instid1(VALU_DEP_4)
	v_cmp_eq_u32_e32 vcc_lo, 0, v39
	v_dual_cndmask_b32 v37, v39, v37 :: v_dual_and_b32 v36, 7, v36
	s_delay_alu instid0(VALU_DEP_1) | instskip(NEXT) | instid1(VALU_DEP_2)
	v_cndmask_b32_e32 v12, v12, v36, vcc_lo
	v_lshl_add_u32 v36, v37, 23, 0x3b800000
	s_delay_alu instid0(VALU_DEP_2) | instskip(NEXT) | instid1(VALU_DEP_1)
	v_lshlrev_b32_e32 v12, 20, v12
	v_or3_b32 v12, v8, v36, v12
.LBB6_8725:                             ;   in Loop: Header=BB6_8618 Depth=3
	s_or_b32 exec_lo, exec_lo, s15
	s_delay_alu instid0(VALU_DEP_1) | instskip(SKIP_1) | instid1(VALU_DEP_1)
	v_max_f32_e32 v8, v12, v12
	v_max_f32_e32 v12, v38, v38
	v_min_f32_e32 v38, v12, v8
.LBB6_8726:                             ;   in Loop: Header=BB6_8618 Depth=3
	s_delay_alu instid0(VALU_DEP_1) | instskip(NEXT) | instid1(VALU_DEP_1)
	v_and_b32_e32 v8, 0x7f800000, v38
	v_cmp_ne_u32_e32 vcc_lo, 0x7f800000, v8
	v_mov_b32_e32 v8, 0x80
	s_and_saveexec_b32 s15, vcc_lo
	s_cbranch_execz .LBB6_8734
; %bb.8727:                             ;   in Loop: Header=BB6_8618 Depth=3
	v_mov_b32_e32 v8, 0
	s_mov_b32 s35, exec_lo
	v_cmpx_ne_u32_e32 0, v38
	s_cbranch_execz .LBB6_8733
; %bb.8728:                             ;   in Loop: Header=BB6_8618 Depth=3
	v_bfe_u32 v8, v38, 23, 8
	v_and_b32_e32 v12, 0x7fffff, v38
	s_delay_alu instid0(VALU_DEP_2) | instskip(SKIP_1) | instid1(VALU_DEP_3)
	v_sub_nc_u32_e32 v36, 0x78, v8
	v_cmp_gt_u32_e32 vcc_lo, 0x79, v8
	v_or_b32_e32 v37, 0x800000, v12
	s_delay_alu instid0(VALU_DEP_3) | instskip(SKIP_2) | instid1(VALU_DEP_3)
	v_cndmask_b32_e32 v36, 0, v36, vcc_lo
	v_cmp_eq_u32_e32 vcc_lo, 0, v8
	v_add_nc_u32_e32 v8, 0xffffff89, v8
	v_cndmask_b32_e64 v36, v36, 0x77, vcc_lo
	v_cndmask_b32_e32 v12, v37, v12, vcc_lo
	s_delay_alu instid0(VALU_DEP_3) | instskip(NEXT) | instid1(VALU_DEP_3)
	v_cndmask_b32_e64 v8, v8, 0xffffff8a, vcc_lo
	v_lshl_add_u32 v37, 0x100000, v36, -1
	s_delay_alu instid0(VALU_DEP_3) | instskip(SKIP_1) | instid1(VALU_DEP_4)
	v_lshrrev_b32_e32 v39, v36, v12
	v_lshlrev_b32_e64 v49, v36, 0x80000
	v_add_nc_u32_e32 v36, v36, v8
	s_delay_alu instid0(VALU_DEP_4) | instskip(NEXT) | instid1(VALU_DEP_4)
	v_and_b32_e32 v12, v37, v12
	v_bfe_u32 v48, v39, 20, 1
	s_delay_alu instid0(VALU_DEP_2) | instskip(NEXT) | instid1(VALU_DEP_2)
	v_cmp_eq_u32_e64 s14, v12, v49
	v_add_nc_u32_e32 v37, -1, v48
	s_delay_alu instid0(VALU_DEP_1) | instskip(SKIP_2) | instid1(VALU_DEP_2)
	v_cndmask_b32_e64 v12, 0, v37, s14
	v_lshrrev_b32_e32 v37, 23, v39
	s_mov_b32 s14, exec_lo
	v_add_nc_u32_e32 v12, v12, v39
	s_delay_alu instid0(VALU_DEP_2) | instskip(NEXT) | instid1(VALU_DEP_2)
	v_xor_b32_e32 v37, 1, v37
	v_and_b32_e32 v8, 0xfffff, v12
	s_delay_alu instid0(VALU_DEP_1) | instskip(NEXT) | instid1(VALU_DEP_3)
	v_add_nc_u32_e32 v12, v8, v39
                                        ; implicit-def: $vgpr8
	v_cmpx_ne_u32_e64 v36, v37
	s_xor_b32 s14, exec_lo, s14
; %bb.8729:                             ;   in Loop: Header=BB6_8618 Depth=3
	s_delay_alu instid0(VALU_DEP_2) | instskip(SKIP_2) | instid1(VALU_DEP_2)
	v_cmp_lt_u32_e32 vcc_lo, 0xffffff, v12
	v_sub_nc_u32_e32 v8, v36, v37
	v_cndmask_b32_e64 v36, 0, 1, vcc_lo
	v_add_co_ci_u32_e32 v8, vcc_lo, 0, v8, vcc_lo
	s_delay_alu instid0(VALU_DEP_2)
	v_lshrrev_b32_e32 v12, v36, v12
; %bb.8730:                             ;   in Loop: Header=BB6_8618 Depth=3
	s_and_not1_saveexec_b32 s14, s14
; %bb.8731:                             ;   in Loop: Header=BB6_8618 Depth=3
	s_delay_alu instid0(VALU_DEP_1)
	v_bfe_u32 v8, v12, 23, 1
; %bb.8732:                             ;   in Loop: Header=BB6_8618 Depth=3
	s_or_b32 exec_lo, exec_lo, s14
	v_lshrrev_b32_e32 v12, 20, v12
	s_delay_alu instid0(VALU_DEP_2) | instskip(SKIP_2) | instid1(VALU_DEP_4)
	v_cmp_gt_i32_e32 vcc_lo, 16, v8
	v_lshrrev_b32_e32 v36, 24, v38
	v_min_i32_e32 v37, 15, v8
	v_cndmask_b32_e32 v12, 7, v12, vcc_lo
	s_delay_alu instid0(VALU_DEP_3) | instskip(NEXT) | instid1(VALU_DEP_3)
	v_and_b32_e32 v36, 0x80, v36
	v_lshlrev_b32_e32 v37, 3, v37
	s_delay_alu instid0(VALU_DEP_3) | instskip(SKIP_1) | instid1(VALU_DEP_2)
	v_and_b32_e32 v38, 7, v12
	v_or_b32_e32 v8, v8, v12
	v_or3_b32 v12, v37, v36, v38
	s_delay_alu instid0(VALU_DEP_2) | instskip(NEXT) | instid1(VALU_DEP_2)
	v_cmp_ne_u32_e32 vcc_lo, 0, v8
	v_cndmask_b32_e32 v8, 0, v12, vcc_lo
.LBB6_8733:                             ;   in Loop: Header=BB6_8618 Depth=3
	s_or_b32 exec_lo, exec_lo, s35
.LBB6_8734:                             ;   in Loop: Header=BB6_8618 Depth=3
	s_delay_alu instid0(SALU_CYCLE_1) | instskip(SKIP_2) | instid1(VALU_DEP_1)
	s_or_b32 exec_lo, exec_lo, s15
	v_and_b32_e32 v12, 0xff, v13
	s_and_b32 vcc_lo, exec_lo, s34
	v_cmp_lt_i16_e64 s14, 0x7f, v12
	s_cbranch_vccz .LBB6_8744
; %bb.8735:                             ;   in Loop: Header=BB6_8618 Depth=3
	s_mov_b32 s15, 0
                                        ; implicit-def: $sgpr35
	s_delay_alu instid0(VALU_DEP_1) | instskip(NEXT) | instid1(SALU_CYCLE_1)
	s_and_saveexec_b32 vcc_lo, s14
	s_xor_b32 s14, exec_lo, vcc_lo
	s_cbranch_execnz .LBB6_9149
; %bb.8736:                             ;   in Loop: Header=BB6_8618 Depth=3
	s_or_saveexec_b32 s14, s14
	v_mov_b32_e32 v36, s35
	s_xor_b32 exec_lo, exec_lo, s14
	s_cbranch_execnz .LBB6_9152
.LBB6_8737:                             ;   in Loop: Header=BB6_8618 Depth=3
	s_or_b32 exec_lo, exec_lo, s14
	s_and_saveexec_b32 s14, s15
	s_cbranch_execz .LBB6_8739
.LBB6_8738:                             ;   in Loop: Header=BB6_8618 Depth=3
	v_and_b32_e32 v36, 7, v13
	v_bfe_u32 v39, v13, 3, 4
	v_lshlrev_b32_e32 v48, 24, v13
	s_delay_alu instid0(VALU_DEP_3) | instskip(NEXT) | instid1(VALU_DEP_3)
	v_clz_i32_u32_e32 v37, v36
	v_cmp_eq_u32_e32 vcc_lo, 0, v39
	s_delay_alu instid0(VALU_DEP_2) | instskip(NEXT) | instid1(VALU_DEP_1)
	v_min_u32_e32 v37, 32, v37
	v_subrev_nc_u32_e32 v38, 28, v37
	v_sub_nc_u32_e32 v37, 29, v37
	s_delay_alu instid0(VALU_DEP_2) | instskip(NEXT) | instid1(VALU_DEP_1)
	v_lshlrev_b32_e32 v38, v38, v13
	v_dual_cndmask_b32 v37, v39, v37 :: v_dual_and_b32 v38, 7, v38
	s_delay_alu instid0(VALU_DEP_1) | instskip(NEXT) | instid1(VALU_DEP_2)
	v_lshl_add_u32 v37, v37, 23, 0x3b800000
	v_cndmask_b32_e32 v36, v36, v38, vcc_lo
	v_and_b32_e32 v38, 0x80000000, v48
	s_delay_alu instid0(VALU_DEP_2) | instskip(NEXT) | instid1(VALU_DEP_1)
	v_lshlrev_b32_e32 v36, 20, v36
	v_or3_b32 v36, v38, v37, v36
.LBB6_8739:                             ;   in Loop: Header=BB6_8618 Depth=3
	s_or_b32 exec_lo, exec_lo, s14
	v_and_b32_e32 v38, 0xff, v9
	s_mov_b32 s14, 0
	s_mov_b32 s35, exec_lo
                                        ; implicit-def: $sgpr15
	s_delay_alu instid0(VALU_DEP_1)
	v_cmpx_lt_i16_e32 0x7f, v38
	s_xor_b32 s35, exec_lo, s35
	s_cbranch_execnz .LBB6_9153
; %bb.8740:                             ;   in Loop: Header=BB6_8618 Depth=3
	s_or_saveexec_b32 s35, s35
	v_mov_b32_e32 v37, s15
	s_xor_b32 exec_lo, exec_lo, s35
	s_cbranch_execnz .LBB6_9156
.LBB6_8741:                             ;   in Loop: Header=BB6_8618 Depth=3
	s_or_b32 exec_lo, exec_lo, s35
	s_and_saveexec_b32 s15, s14
	s_cbranch_execz .LBB6_8743
.LBB6_8742:                             ;   in Loop: Header=BB6_8618 Depth=3
	v_bfe_u32 v48, v9, 3, 4
	v_lshlrev_b32_e32 v49, 24, v9
	s_delay_alu instid0(VALU_DEP_2) | instskip(SKIP_1) | instid1(VALU_DEP_1)
	v_cmp_eq_u32_e32 vcc_lo, 0, v48
	v_and_b32_e32 v37, 7, v9
	v_clz_i32_u32_e32 v38, v37
	s_delay_alu instid0(VALU_DEP_1) | instskip(NEXT) | instid1(VALU_DEP_1)
	v_min_u32_e32 v38, 32, v38
	v_subrev_nc_u32_e32 v39, 28, v38
	v_sub_nc_u32_e32 v38, 29, v38
	s_delay_alu instid0(VALU_DEP_1) | instskip(NEXT) | instid1(VALU_DEP_1)
	v_dual_cndmask_b32 v38, v48, v38 :: v_dual_lshlrev_b32 v39, v39, v9
	v_and_b32_e32 v39, 7, v39
	s_delay_alu instid0(VALU_DEP_2) | instskip(NEXT) | instid1(VALU_DEP_2)
	v_lshl_add_u32 v38, v38, 23, 0x3b800000
	v_cndmask_b32_e32 v37, v37, v39, vcc_lo
	v_and_b32_e32 v39, 0x80000000, v49
	s_delay_alu instid0(VALU_DEP_2) | instskip(NEXT) | instid1(VALU_DEP_1)
	v_lshlrev_b32_e32 v37, 20, v37
	v_or3_b32 v37, v39, v38, v37
.LBB6_8743:                             ;   in Loop: Header=BB6_8618 Depth=3
	s_or_b32 exec_lo, exec_lo, s15
	s_delay_alu instid0(VALU_DEP_1) | instskip(SKIP_1) | instid1(VALU_DEP_1)
	v_dual_max_f32 v37, v37, v37 :: v_dual_max_f32 v36, v36, v36
	s_mov_b32 s14, 0
	v_max_f32_e32 v36, v36, v37
	s_branch .LBB6_8745
.LBB6_8744:                             ;   in Loop: Header=BB6_8618 Depth=3
	s_mov_b32 s14, -1
                                        ; implicit-def: $vgpr36
.LBB6_8745:                             ;   in Loop: Header=BB6_8618 Depth=3
	s_delay_alu instid0(SALU_CYCLE_1)
	s_and_b32 vcc_lo, exec_lo, s14
	s_cbranch_vccz .LBB6_8755
; %bb.8746:                             ;   in Loop: Header=BB6_8618 Depth=3
	s_mov_b32 s14, 0
	s_mov_b32 s35, exec_lo
                                        ; implicit-def: $sgpr15
	v_cmpx_lt_i16_e32 0x7f, v12
	s_xor_b32 s35, exec_lo, s35
	s_cbranch_execnz .LBB6_9157
; %bb.8747:                             ;   in Loop: Header=BB6_8618 Depth=3
	s_or_saveexec_b32 s35, s35
	v_mov_b32_e32 v36, s15
	s_xor_b32 exec_lo, exec_lo, s35
	s_cbranch_execnz .LBB6_9160
.LBB6_8748:                             ;   in Loop: Header=BB6_8618 Depth=3
	s_or_b32 exec_lo, exec_lo, s35
	s_and_saveexec_b32 s15, s14
	s_cbranch_execz .LBB6_8750
.LBB6_8749:                             ;   in Loop: Header=BB6_8618 Depth=3
	v_and_b32_e32 v12, 7, v13
	v_bfe_u32 v38, v13, 3, 4
	v_lshlrev_b32_e32 v39, 24, v13
	s_delay_alu instid0(VALU_DEP_3) | instskip(NEXT) | instid1(VALU_DEP_3)
	v_clz_i32_u32_e32 v36, v12
	v_cmp_eq_u32_e32 vcc_lo, 0, v38
	s_delay_alu instid0(VALU_DEP_2) | instskip(NEXT) | instid1(VALU_DEP_1)
	v_min_u32_e32 v36, 32, v36
	v_subrev_nc_u32_e32 v37, 28, v36
	v_sub_nc_u32_e32 v36, 29, v36
	s_delay_alu instid0(VALU_DEP_1) | instskip(NEXT) | instid1(VALU_DEP_1)
	v_dual_cndmask_b32 v36, v38, v36 :: v_dual_lshlrev_b32 v37, v37, v13
	v_and_b32_e32 v37, 7, v37
	s_delay_alu instid0(VALU_DEP_2) | instskip(NEXT) | instid1(VALU_DEP_2)
	v_lshl_add_u32 v36, v36, 23, 0x3b800000
	v_dual_cndmask_b32 v12, v12, v37 :: v_dual_and_b32 v37, 0x80000000, v39
	s_delay_alu instid0(VALU_DEP_1) | instskip(NEXT) | instid1(VALU_DEP_1)
	v_lshlrev_b32_e32 v12, 20, v12
	v_or3_b32 v36, v37, v36, v12
.LBB6_8750:                             ;   in Loop: Header=BB6_8618 Depth=3
	s_or_b32 exec_lo, exec_lo, s15
	v_and_b32_e32 v37, 0xff, v9
	s_mov_b32 s14, 0
	s_mov_b32 s35, exec_lo
                                        ; implicit-def: $sgpr15
	s_delay_alu instid0(VALU_DEP_1)
	v_cmpx_lt_i16_e32 0x7f, v37
	s_xor_b32 s35, exec_lo, s35
	s_cbranch_execnz .LBB6_9161
; %bb.8751:                             ;   in Loop: Header=BB6_8618 Depth=3
	s_or_saveexec_b32 s35, s35
	v_mov_b32_e32 v12, s15
	s_xor_b32 exec_lo, exec_lo, s35
	s_cbranch_execnz .LBB6_9164
.LBB6_8752:                             ;   in Loop: Header=BB6_8618 Depth=3
	s_or_b32 exec_lo, exec_lo, s35
	s_and_saveexec_b32 s15, s14
	s_cbranch_execz .LBB6_8754
.LBB6_8753:                             ;   in Loop: Header=BB6_8618 Depth=3
	v_and_b32_e32 v12, 7, v9
	v_bfe_u32 v39, v9, 3, 4
	v_lshlrev_b32_e32 v48, 24, v9
	s_delay_alu instid0(VALU_DEP_3) | instskip(NEXT) | instid1(VALU_DEP_3)
	v_clz_i32_u32_e32 v37, v12
	v_cmp_eq_u32_e32 vcc_lo, 0, v39
	s_delay_alu instid0(VALU_DEP_2) | instskip(NEXT) | instid1(VALU_DEP_1)
	v_min_u32_e32 v37, 32, v37
	v_subrev_nc_u32_e32 v38, 28, v37
	v_sub_nc_u32_e32 v37, 29, v37
	s_delay_alu instid0(VALU_DEP_2) | instskip(NEXT) | instid1(VALU_DEP_1)
	v_lshlrev_b32_e32 v38, v38, v9
	v_dual_cndmask_b32 v37, v39, v37 :: v_dual_and_b32 v38, 7, v38
	s_delay_alu instid0(VALU_DEP_1) | instskip(NEXT) | instid1(VALU_DEP_2)
	v_lshl_add_u32 v37, v37, 23, 0x3b800000
	v_cndmask_b32_e32 v12, v12, v38, vcc_lo
	v_and_b32_e32 v38, 0x80000000, v48
	s_delay_alu instid0(VALU_DEP_2) | instskip(NEXT) | instid1(VALU_DEP_1)
	v_lshlrev_b32_e32 v12, 20, v12
	v_or3_b32 v12, v38, v37, v12
.LBB6_8754:                             ;   in Loop: Header=BB6_8618 Depth=3
	s_or_b32 exec_lo, exec_lo, s15
	s_delay_alu instid0(VALU_DEP_1) | instskip(SKIP_1) | instid1(VALU_DEP_1)
	v_max_f32_e32 v12, v12, v12
	v_max_f32_e32 v36, v36, v36
	v_min_f32_e32 v36, v36, v12
.LBB6_8755:                             ;   in Loop: Header=BB6_8618 Depth=3
	s_delay_alu instid0(VALU_DEP_1) | instskip(NEXT) | instid1(VALU_DEP_1)
	v_and_b32_e32 v12, 0x7f800000, v36
	v_cmp_ne_u32_e32 vcc_lo, 0x7f800000, v12
	v_mov_b32_e32 v12, 0x80
	s_and_saveexec_b32 s15, vcc_lo
	s_cbranch_execz .LBB6_8763
; %bb.8756:                             ;   in Loop: Header=BB6_8618 Depth=3
	v_mov_b32_e32 v12, 0
	s_mov_b32 s35, exec_lo
	v_cmpx_ne_u32_e32 0, v36
	s_cbranch_execz .LBB6_8762
; %bb.8757:                             ;   in Loop: Header=BB6_8618 Depth=3
	v_bfe_u32 v12, v36, 23, 8
	s_delay_alu instid0(VALU_DEP_1) | instskip(SKIP_1) | instid1(VALU_DEP_2)
	v_sub_nc_u32_e32 v38, 0x78, v12
	v_cmp_gt_u32_e32 vcc_lo, 0x79, v12
	v_dual_cndmask_b32 v38, 0, v38 :: v_dual_and_b32 v37, 0x7fffff, v36
	s_delay_alu instid0(VALU_DEP_1) | instskip(SKIP_2) | instid1(VALU_DEP_4)
	v_or_b32_e32 v39, 0x800000, v37
	v_cmp_eq_u32_e32 vcc_lo, 0, v12
	v_add_nc_u32_e32 v12, 0xffffff89, v12
	v_cndmask_b32_e64 v38, v38, 0x77, vcc_lo
	s_delay_alu instid0(VALU_DEP_4) | instskip(NEXT) | instid1(VALU_DEP_3)
	v_cndmask_b32_e32 v37, v39, v37, vcc_lo
	v_cndmask_b32_e64 v12, v12, 0xffffff8a, vcc_lo
	s_delay_alu instid0(VALU_DEP_3) | instskip(NEXT) | instid1(VALU_DEP_3)
	v_lshl_add_u32 v39, 0x100000, v38, -1
	v_lshrrev_b32_e32 v48, v38, v37
	v_lshlrev_b32_e64 v50, v38, 0x80000
	s_delay_alu instid0(VALU_DEP_4) | instskip(NEXT) | instid1(VALU_DEP_4)
	v_add_nc_u32_e32 v38, v38, v12
	v_and_b32_e32 v37, v39, v37
	s_delay_alu instid0(VALU_DEP_4) | instskip(NEXT) | instid1(VALU_DEP_2)
	v_bfe_u32 v49, v48, 20, 1
	v_cmp_eq_u32_e64 s14, v37, v50
	s_delay_alu instid0(VALU_DEP_2) | instskip(NEXT) | instid1(VALU_DEP_1)
	v_add_nc_u32_e32 v39, -1, v49
	v_cndmask_b32_e64 v37, 0, v39, s14
	v_lshrrev_b32_e32 v39, 23, v48
	s_mov_b32 s14, exec_lo
	s_delay_alu instid0(VALU_DEP_2) | instskip(NEXT) | instid1(VALU_DEP_2)
	v_add_nc_u32_e32 v37, v37, v48
	v_xor_b32_e32 v39, 1, v39
	s_delay_alu instid0(VALU_DEP_2) | instskip(NEXT) | instid1(VALU_DEP_1)
	v_and_b32_e32 v12, 0xfffff, v37
	v_add_nc_u32_e32 v37, v12, v48
                                        ; implicit-def: $vgpr12
	s_delay_alu instid0(VALU_DEP_3)
	v_cmpx_ne_u32_e64 v38, v39
	s_xor_b32 s14, exec_lo, s14
; %bb.8758:                             ;   in Loop: Header=BB6_8618 Depth=3
	s_delay_alu instid0(VALU_DEP_2) | instskip(SKIP_2) | instid1(VALU_DEP_2)
	v_cmp_lt_u32_e32 vcc_lo, 0xffffff, v37
	v_sub_nc_u32_e32 v12, v38, v39
	v_cndmask_b32_e64 v38, 0, 1, vcc_lo
	v_add_co_ci_u32_e32 v12, vcc_lo, 0, v12, vcc_lo
	s_delay_alu instid0(VALU_DEP_2)
	v_lshrrev_b32_e32 v37, v38, v37
; %bb.8759:                             ;   in Loop: Header=BB6_8618 Depth=3
	s_and_not1_saveexec_b32 s14, s14
; %bb.8760:                             ;   in Loop: Header=BB6_8618 Depth=3
	s_delay_alu instid0(VALU_DEP_1)
	v_bfe_u32 v12, v37, 23, 1
; %bb.8761:                             ;   in Loop: Header=BB6_8618 Depth=3
	s_or_b32 exec_lo, exec_lo, s14
	v_lshrrev_b32_e32 v37, 20, v37
	s_delay_alu instid0(VALU_DEP_2) | instskip(SKIP_2) | instid1(VALU_DEP_2)
	v_cmp_gt_i32_e32 vcc_lo, 16, v12
	v_lshrrev_b32_e32 v36, 24, v36
	v_min_i32_e32 v38, 15, v12
	v_dual_cndmask_b32 v37, 7, v37 :: v_dual_and_b32 v36, 0x80, v36
	s_delay_alu instid0(VALU_DEP_2) | instskip(NEXT) | instid1(VALU_DEP_2)
	v_lshlrev_b32_e32 v38, 3, v38
	v_or_b32_e32 v12, v12, v37
	s_delay_alu instid0(VALU_DEP_1) | instskip(SKIP_1) | instid1(VALU_DEP_1)
	v_cmp_ne_u32_e32 vcc_lo, 0, v12
	v_and_b32_e32 v39, 7, v37
	v_or3_b32 v36, v38, v36, v39
	s_delay_alu instid0(VALU_DEP_1)
	v_cndmask_b32_e32 v12, 0, v36, vcc_lo
.LBB6_8762:                             ;   in Loop: Header=BB6_8618 Depth=3
	s_or_b32 exec_lo, exec_lo, s35
.LBB6_8763:                             ;   in Loop: Header=BB6_8618 Depth=3
	s_delay_alu instid0(SALU_CYCLE_1) | instskip(SKIP_3) | instid1(VALU_DEP_2)
	s_or_b32 exec_lo, exec_lo, s15
	v_lshrrev_b16 v37, 8, v13
	v_lshrrev_b16 v36, 8, v9
	s_and_b32 vcc_lo, exec_lo, s34
	v_cmp_lt_i16_e64 s14, 0x7f, v37
	s_cbranch_vccz .LBB6_8773
; %bb.8764:                             ;   in Loop: Header=BB6_8618 Depth=3
	s_mov_b32 s15, 0
                                        ; implicit-def: $sgpr35
	s_delay_alu instid0(VALU_DEP_1) | instskip(NEXT) | instid1(SALU_CYCLE_1)
	s_and_saveexec_b32 vcc_lo, s14
	s_xor_b32 s14, exec_lo, vcc_lo
	s_cbranch_execnz .LBB6_9165
; %bb.8765:                             ;   in Loop: Header=BB6_8618 Depth=3
	s_or_saveexec_b32 s14, s14
	v_mov_b32_e32 v38, s35
	s_xor_b32 exec_lo, exec_lo, s14
	s_cbranch_execnz .LBB6_9168
.LBB6_8766:                             ;   in Loop: Header=BB6_8618 Depth=3
	s_or_b32 exec_lo, exec_lo, s14
	s_and_saveexec_b32 s14, s15
	s_cbranch_execz .LBB6_8768
.LBB6_8767:                             ;   in Loop: Header=BB6_8618 Depth=3
	v_and_b32_e32 v38, 0xffff, v37
	v_lshlrev_b32_e32 v50, 16, v13
	s_delay_alu instid0(VALU_DEP_2) | instskip(NEXT) | instid1(VALU_DEP_1)
	v_and_b32_e32 v39, 7, v38
	v_clz_i32_u32_e32 v48, v39
	s_delay_alu instid0(VALU_DEP_1) | instskip(NEXT) | instid1(VALU_DEP_1)
	v_min_u32_e32 v48, 32, v48
	v_subrev_nc_u32_e32 v49, 28, v48
	v_sub_nc_u32_e32 v48, 29, v48
	s_delay_alu instid0(VALU_DEP_2) | instskip(SKIP_1) | instid1(VALU_DEP_2)
	v_lshlrev_b32_e32 v49, v49, v38
	v_bfe_u32 v38, v38, 3, 4
	v_and_b32_e32 v49, 7, v49
	s_delay_alu instid0(VALU_DEP_2) | instskip(NEXT) | instid1(VALU_DEP_2)
	v_cmp_eq_u32_e32 vcc_lo, 0, v38
	v_dual_cndmask_b32 v38, v38, v48 :: v_dual_cndmask_b32 v39, v39, v49
	v_and_b32_e32 v48, 0x80000000, v50
	s_delay_alu instid0(VALU_DEP_2) | instskip(NEXT) | instid1(VALU_DEP_3)
	v_lshl_add_u32 v38, v38, 23, 0x3b800000
	v_lshlrev_b32_e32 v39, 20, v39
	s_delay_alu instid0(VALU_DEP_1)
	v_or3_b32 v38, v48, v38, v39
.LBB6_8768:                             ;   in Loop: Header=BB6_8618 Depth=3
	s_or_b32 exec_lo, exec_lo, s14
	s_mov_b32 s14, 0
	s_mov_b32 s35, exec_lo
                                        ; implicit-def: $sgpr15
	v_cmpx_lt_i16_e32 0x7f, v36
	s_xor_b32 s35, exec_lo, s35
	s_cbranch_execnz .LBB6_9169
; %bb.8769:                             ;   in Loop: Header=BB6_8618 Depth=3
	s_or_saveexec_b32 s35, s35
	v_mov_b32_e32 v39, s15
	s_xor_b32 exec_lo, exec_lo, s35
	s_cbranch_execnz .LBB6_9172
.LBB6_8770:                             ;   in Loop: Header=BB6_8618 Depth=3
	s_or_b32 exec_lo, exec_lo, s35
	s_and_saveexec_b32 s15, s14
	s_cbranch_execz .LBB6_8772
.LBB6_8771:                             ;   in Loop: Header=BB6_8618 Depth=3
	v_and_b32_e32 v39, 0xffff, v36
	v_lshlrev_b32_e32 v51, 16, v9
	s_delay_alu instid0(VALU_DEP_2) | instskip(NEXT) | instid1(VALU_DEP_1)
	v_and_b32_e32 v48, 7, v39
	v_clz_i32_u32_e32 v49, v48
	s_delay_alu instid0(VALU_DEP_1) | instskip(NEXT) | instid1(VALU_DEP_1)
	v_min_u32_e32 v49, 32, v49
	v_subrev_nc_u32_e32 v50, 28, v49
	v_sub_nc_u32_e32 v49, 29, v49
	s_delay_alu instid0(VALU_DEP_2) | instskip(SKIP_1) | instid1(VALU_DEP_2)
	v_lshlrev_b32_e32 v50, v50, v39
	v_bfe_u32 v39, v39, 3, 4
	v_and_b32_e32 v50, 7, v50
	s_delay_alu instid0(VALU_DEP_2) | instskip(NEXT) | instid1(VALU_DEP_2)
	v_cmp_eq_u32_e32 vcc_lo, 0, v39
	v_dual_cndmask_b32 v39, v39, v49 :: v_dual_cndmask_b32 v48, v48, v50
	v_and_b32_e32 v49, 0x80000000, v51
	s_delay_alu instid0(VALU_DEP_2) | instskip(NEXT) | instid1(VALU_DEP_3)
	v_lshl_add_u32 v39, v39, 23, 0x3b800000
	v_lshlrev_b32_e32 v48, 20, v48
	s_delay_alu instid0(VALU_DEP_1)
	v_or3_b32 v39, v49, v39, v48
.LBB6_8772:                             ;   in Loop: Header=BB6_8618 Depth=3
	s_or_b32 exec_lo, exec_lo, s15
	s_delay_alu instid0(VALU_DEP_1) | instskip(SKIP_1) | instid1(VALU_DEP_1)
	v_dual_max_f32 v39, v39, v39 :: v_dual_max_f32 v38, v38, v38
	s_mov_b32 s14, 0
	v_max_f32_e32 v38, v38, v39
	s_branch .LBB6_8774
.LBB6_8773:                             ;   in Loop: Header=BB6_8618 Depth=3
	s_mov_b32 s14, -1
                                        ; implicit-def: $vgpr38
.LBB6_8774:                             ;   in Loop: Header=BB6_8618 Depth=3
	s_delay_alu instid0(SALU_CYCLE_1)
	s_and_b32 vcc_lo, exec_lo, s14
	s_cbranch_vccz .LBB6_8784
; %bb.8775:                             ;   in Loop: Header=BB6_8618 Depth=3
	s_mov_b32 s14, 0
	s_mov_b32 s35, exec_lo
                                        ; implicit-def: $sgpr15
	v_cmpx_lt_i16_e32 0x7f, v37
	s_xor_b32 s35, exec_lo, s35
	s_cbranch_execnz .LBB6_9173
; %bb.8776:                             ;   in Loop: Header=BB6_8618 Depth=3
	s_or_saveexec_b32 s35, s35
	v_mov_b32_e32 v38, s15
	s_xor_b32 exec_lo, exec_lo, s35
	s_cbranch_execnz .LBB6_9176
.LBB6_8777:                             ;   in Loop: Header=BB6_8618 Depth=3
	s_or_b32 exec_lo, exec_lo, s35
	s_and_saveexec_b32 s15, s14
	s_cbranch_execz .LBB6_8779
.LBB6_8778:                             ;   in Loop: Header=BB6_8618 Depth=3
	v_and_b32_e32 v37, 0xffff, v37
	v_lshlrev_b32_e32 v49, 16, v13
	s_delay_alu instid0(VALU_DEP_2) | instskip(NEXT) | instid1(VALU_DEP_1)
	v_and_b32_e32 v38, 7, v37
	v_clz_i32_u32_e32 v39, v38
	s_delay_alu instid0(VALU_DEP_1) | instskip(NEXT) | instid1(VALU_DEP_1)
	v_min_u32_e32 v39, 32, v39
	v_subrev_nc_u32_e32 v48, 28, v39
	v_sub_nc_u32_e32 v39, 29, v39
	s_delay_alu instid0(VALU_DEP_2) | instskip(SKIP_1) | instid1(VALU_DEP_2)
	v_lshlrev_b32_e32 v48, v48, v37
	v_bfe_u32 v37, v37, 3, 4
	v_and_b32_e32 v48, 7, v48
	s_delay_alu instid0(VALU_DEP_2) | instskip(NEXT) | instid1(VALU_DEP_2)
	v_cmp_eq_u32_e32 vcc_lo, 0, v37
	v_dual_cndmask_b32 v37, v37, v39 :: v_dual_cndmask_b32 v38, v38, v48
	v_and_b32_e32 v39, 0x80000000, v49
	s_delay_alu instid0(VALU_DEP_2) | instskip(NEXT) | instid1(VALU_DEP_3)
	v_lshl_add_u32 v37, v37, 23, 0x3b800000
	v_lshlrev_b32_e32 v38, 20, v38
	s_delay_alu instid0(VALU_DEP_1)
	v_or3_b32 v38, v39, v37, v38
.LBB6_8779:                             ;   in Loop: Header=BB6_8618 Depth=3
	s_or_b32 exec_lo, exec_lo, s15
	s_mov_b32 s14, 0
	s_mov_b32 s35, exec_lo
                                        ; implicit-def: $sgpr15
	v_cmpx_lt_i16_e32 0x7f, v36
	s_xor_b32 s35, exec_lo, s35
	s_cbranch_execnz .LBB6_9177
; %bb.8780:                             ;   in Loop: Header=BB6_8618 Depth=3
	s_or_saveexec_b32 s35, s35
	v_mov_b32_e32 v37, s15
	s_xor_b32 exec_lo, exec_lo, s35
	s_cbranch_execnz .LBB6_9180
.LBB6_8781:                             ;   in Loop: Header=BB6_8618 Depth=3
	s_or_b32 exec_lo, exec_lo, s35
	s_and_saveexec_b32 s15, s14
	s_cbranch_execz .LBB6_8783
.LBB6_8782:                             ;   in Loop: Header=BB6_8618 Depth=3
	v_and_b32_e32 v36, 0xffff, v36
	v_lshlrev_b32_e32 v49, 16, v9
	s_delay_alu instid0(VALU_DEP_2) | instskip(NEXT) | instid1(VALU_DEP_1)
	v_and_b32_e32 v37, 7, v36
	v_clz_i32_u32_e32 v39, v37
	s_delay_alu instid0(VALU_DEP_1) | instskip(NEXT) | instid1(VALU_DEP_1)
	v_min_u32_e32 v39, 32, v39
	v_subrev_nc_u32_e32 v48, 28, v39
	v_sub_nc_u32_e32 v39, 29, v39
	s_delay_alu instid0(VALU_DEP_2) | instskip(SKIP_1) | instid1(VALU_DEP_2)
	v_lshlrev_b32_e32 v48, v48, v36
	v_bfe_u32 v36, v36, 3, 4
	v_and_b32_e32 v48, 7, v48
	s_delay_alu instid0(VALU_DEP_2) | instskip(NEXT) | instid1(VALU_DEP_2)
	v_cmp_eq_u32_e32 vcc_lo, 0, v36
	v_dual_cndmask_b32 v36, v36, v39 :: v_dual_cndmask_b32 v37, v37, v48
	v_and_b32_e32 v39, 0x80000000, v49
	s_delay_alu instid0(VALU_DEP_2) | instskip(NEXT) | instid1(VALU_DEP_3)
	v_lshl_add_u32 v36, v36, 23, 0x3b800000
	v_lshlrev_b32_e32 v37, 20, v37
	s_delay_alu instid0(VALU_DEP_1)
	v_or3_b32 v37, v39, v36, v37
.LBB6_8783:                             ;   in Loop: Header=BB6_8618 Depth=3
	s_or_b32 exec_lo, exec_lo, s15
	s_delay_alu instid0(VALU_DEP_1) | instskip(NEXT) | instid1(VALU_DEP_1)
	v_dual_max_f32 v36, v37, v37 :: v_dual_max_f32 v37, v38, v38
	v_min_f32_e32 v38, v37, v36
.LBB6_8784:                             ;   in Loop: Header=BB6_8618 Depth=3
	s_delay_alu instid0(VALU_DEP_1) | instskip(NEXT) | instid1(VALU_DEP_1)
	v_and_b32_e32 v36, 0x7f800000, v38
	v_cmp_ne_u32_e32 vcc_lo, 0x7f800000, v36
	v_mov_b32_e32 v36, 0x80
	s_and_saveexec_b32 s15, vcc_lo
	s_cbranch_execz .LBB6_8792
; %bb.8785:                             ;   in Loop: Header=BB6_8618 Depth=3
	v_mov_b32_e32 v36, 0
	s_mov_b32 s35, exec_lo
	v_cmpx_ne_u32_e32 0, v38
	s_cbranch_execz .LBB6_8791
; %bb.8786:                             ;   in Loop: Header=BB6_8618 Depth=3
	v_bfe_u32 v36, v38, 23, 8
	v_and_b32_e32 v37, 0x7fffff, v38
	s_delay_alu instid0(VALU_DEP_2) | instskip(SKIP_1) | instid1(VALU_DEP_3)
	v_sub_nc_u32_e32 v39, 0x78, v36
	v_cmp_gt_u32_e32 vcc_lo, 0x79, v36
	v_or_b32_e32 v48, 0x800000, v37
	s_delay_alu instid0(VALU_DEP_3) | instskip(SKIP_2) | instid1(VALU_DEP_3)
	v_cndmask_b32_e32 v39, 0, v39, vcc_lo
	v_cmp_eq_u32_e32 vcc_lo, 0, v36
	v_add_nc_u32_e32 v36, 0xffffff89, v36
	v_cndmask_b32_e64 v39, v39, 0x77, vcc_lo
	v_cndmask_b32_e32 v37, v48, v37, vcc_lo
	s_delay_alu instid0(VALU_DEP_3) | instskip(NEXT) | instid1(VALU_DEP_3)
	v_cndmask_b32_e64 v36, v36, 0xffffff8a, vcc_lo
	v_lshl_add_u32 v48, 0x100000, v39, -1
	s_delay_alu instid0(VALU_DEP_3) | instskip(SKIP_1) | instid1(VALU_DEP_4)
	v_lshrrev_b32_e32 v49, v39, v37
	v_lshlrev_b32_e64 v51, v39, 0x80000
	v_add_nc_u32_e32 v39, v39, v36
	s_delay_alu instid0(VALU_DEP_4) | instskip(NEXT) | instid1(VALU_DEP_4)
	v_and_b32_e32 v37, v48, v37
	v_bfe_u32 v50, v49, 20, 1
	s_delay_alu instid0(VALU_DEP_2) | instskip(NEXT) | instid1(VALU_DEP_2)
	v_cmp_eq_u32_e64 s14, v37, v51
	v_add_nc_u32_e32 v48, -1, v50
	s_delay_alu instid0(VALU_DEP_1) | instskip(SKIP_2) | instid1(VALU_DEP_2)
	v_cndmask_b32_e64 v37, 0, v48, s14
	v_lshrrev_b32_e32 v48, 23, v49
	s_mov_b32 s14, exec_lo
	v_add_nc_u32_e32 v37, v37, v49
	s_delay_alu instid0(VALU_DEP_2) | instskip(NEXT) | instid1(VALU_DEP_2)
	v_xor_b32_e32 v48, 1, v48
	v_and_b32_e32 v36, 0xfffff, v37
	s_delay_alu instid0(VALU_DEP_1) | instskip(NEXT) | instid1(VALU_DEP_3)
	v_add_nc_u32_e32 v37, v36, v49
                                        ; implicit-def: $vgpr36
	v_cmpx_ne_u32_e64 v39, v48
	s_xor_b32 s14, exec_lo, s14
; %bb.8787:                             ;   in Loop: Header=BB6_8618 Depth=3
	s_delay_alu instid0(VALU_DEP_2) | instskip(SKIP_2) | instid1(VALU_DEP_2)
	v_cmp_lt_u32_e32 vcc_lo, 0xffffff, v37
	v_sub_nc_u32_e32 v36, v39, v48
	v_cndmask_b32_e64 v39, 0, 1, vcc_lo
	v_add_co_ci_u32_e32 v36, vcc_lo, 0, v36, vcc_lo
	s_delay_alu instid0(VALU_DEP_2)
	v_lshrrev_b32_e32 v37, v39, v37
; %bb.8788:                             ;   in Loop: Header=BB6_8618 Depth=3
	s_and_not1_saveexec_b32 s14, s14
; %bb.8789:                             ;   in Loop: Header=BB6_8618 Depth=3
	s_delay_alu instid0(VALU_DEP_1)
	v_bfe_u32 v36, v37, 23, 1
; %bb.8790:                             ;   in Loop: Header=BB6_8618 Depth=3
	s_or_b32 exec_lo, exec_lo, s14
	v_lshrrev_b32_e32 v37, 20, v37
	s_delay_alu instid0(VALU_DEP_2) | instskip(SKIP_2) | instid1(VALU_DEP_2)
	v_cmp_gt_i32_e32 vcc_lo, 16, v36
	v_lshrrev_b32_e32 v38, 24, v38
	v_min_i32_e32 v39, 15, v36
	v_dual_cndmask_b32 v37, 7, v37 :: v_dual_and_b32 v38, 0x80, v38
	s_delay_alu instid0(VALU_DEP_1) | instskip(SKIP_1) | instid1(VALU_DEP_2)
	v_or_b32_e32 v36, v36, v37
	v_and_b32_e32 v48, 7, v37
	v_cmp_ne_u32_e32 vcc_lo, 0, v36
	v_lshlrev_b32_e32 v39, 3, v39
	s_delay_alu instid0(VALU_DEP_1) | instskip(NEXT) | instid1(VALU_DEP_1)
	v_or3_b32 v37, v39, v38, v48
	v_cndmask_b32_e32 v36, 0, v37, vcc_lo
.LBB6_8791:                             ;   in Loop: Header=BB6_8618 Depth=3
	s_or_b32 exec_lo, exec_lo, s35
.LBB6_8792:                             ;   in Loop: Header=BB6_8618 Depth=3
	s_delay_alu instid0(SALU_CYCLE_1) | instskip(SKIP_3) | instid1(VALU_DEP_2)
	s_or_b32 exec_lo, exec_lo, s15
	v_lshrrev_b32_e32 v38, 16, v13
	v_lshrrev_b32_e32 v37, 16, v9
	s_and_b32 vcc_lo, exec_lo, s34
	v_and_b32_e32 v39, 0xff, v38
	s_delay_alu instid0(VALU_DEP_1)
	v_cmp_lt_i16_e64 s14, 0x7f, v39
	s_cbranch_vccz .LBB6_8802
; %bb.8793:                             ;   in Loop: Header=BB6_8618 Depth=3
	s_mov_b32 s15, 0
                                        ; implicit-def: $sgpr35
	s_delay_alu instid0(VALU_DEP_1) | instskip(NEXT) | instid1(SALU_CYCLE_1)
	s_and_saveexec_b32 vcc_lo, s14
	s_xor_b32 s14, exec_lo, vcc_lo
	s_cbranch_execnz .LBB6_9181
; %bb.8794:                             ;   in Loop: Header=BB6_8618 Depth=3
	s_or_saveexec_b32 s14, s14
	v_mov_b32_e32 v48, s35
	s_xor_b32 exec_lo, exec_lo, s14
	s_cbranch_execnz .LBB6_9184
.LBB6_8795:                             ;   in Loop: Header=BB6_8618 Depth=3
	s_or_b32 exec_lo, exec_lo, s14
	s_and_saveexec_b32 s14, s15
	s_cbranch_execz .LBB6_8797
.LBB6_8796:                             ;   in Loop: Header=BB6_8618 Depth=3
	v_bfe_u32 v48, v13, 16, 3
	v_bfe_u32 v51, v13, 19, 4
	v_lshlrev_b32_e32 v101, 24, v38
	s_delay_alu instid0(VALU_DEP_3) | instskip(NEXT) | instid1(VALU_DEP_3)
	v_clz_i32_u32_e32 v49, v48
	v_cmp_eq_u32_e32 vcc_lo, 0, v51
	s_delay_alu instid0(VALU_DEP_2) | instskip(NEXT) | instid1(VALU_DEP_1)
	v_min_u32_e32 v49, 32, v49
	v_subrev_nc_u32_e32 v50, 28, v49
	v_sub_nc_u32_e32 v49, 29, v49
	s_delay_alu instid0(VALU_DEP_1) | instskip(NEXT) | instid1(VALU_DEP_1)
	v_dual_cndmask_b32 v49, v51, v49 :: v_dual_lshlrev_b32 v50, v50, v38
	v_and_b32_e32 v50, 7, v50
	s_delay_alu instid0(VALU_DEP_2) | instskip(NEXT) | instid1(VALU_DEP_2)
	v_lshl_add_u32 v49, v49, 23, 0x3b800000
	v_cndmask_b32_e32 v48, v48, v50, vcc_lo
	v_and_b32_e32 v50, 0x80000000, v101
	s_delay_alu instid0(VALU_DEP_2) | instskip(NEXT) | instid1(VALU_DEP_1)
	v_lshlrev_b32_e32 v48, 20, v48
	v_or3_b32 v48, v50, v49, v48
.LBB6_8797:                             ;   in Loop: Header=BB6_8618 Depth=3
	s_or_b32 exec_lo, exec_lo, s14
	v_and_b32_e32 v50, 0xff, v37
	s_mov_b32 s14, 0
	s_mov_b32 s35, exec_lo
                                        ; implicit-def: $sgpr15
	s_delay_alu instid0(VALU_DEP_1)
	v_cmpx_lt_i16_e32 0x7f, v50
	s_xor_b32 s35, exec_lo, s35
	s_cbranch_execnz .LBB6_9185
; %bb.8798:                             ;   in Loop: Header=BB6_8618 Depth=3
	s_or_saveexec_b32 s35, s35
	v_mov_b32_e32 v49, s15
	s_xor_b32 exec_lo, exec_lo, s35
	s_cbranch_execnz .LBB6_9188
.LBB6_8799:                             ;   in Loop: Header=BB6_8618 Depth=3
	s_or_b32 exec_lo, exec_lo, s35
	s_and_saveexec_b32 s15, s14
	s_cbranch_execz .LBB6_8801
.LBB6_8800:                             ;   in Loop: Header=BB6_8618 Depth=3
	v_bfe_u32 v49, v9, 16, 3
	v_bfe_u32 v101, v9, 19, 4
	s_delay_alu instid0(VALU_DEP_2) | instskip(NEXT) | instid1(VALU_DEP_2)
	v_clz_i32_u32_e32 v50, v49
	v_cmp_eq_u32_e32 vcc_lo, 0, v101
	s_delay_alu instid0(VALU_DEP_2) | instskip(NEXT) | instid1(VALU_DEP_1)
	v_min_u32_e32 v50, 32, v50
	v_subrev_nc_u32_e32 v51, 28, v50
	v_sub_nc_u32_e32 v50, 29, v50
	s_delay_alu instid0(VALU_DEP_1) | instskip(NEXT) | instid1(VALU_DEP_1)
	v_dual_cndmask_b32 v50, v101, v50 :: v_dual_lshlrev_b32 v51, v51, v37
	v_and_b32_e32 v51, 7, v51
	v_lshlrev_b32_e32 v102, 24, v37
	s_delay_alu instid0(VALU_DEP_3) | instskip(NEXT) | instid1(VALU_DEP_3)
	v_lshl_add_u32 v50, v50, 23, 0x3b800000
	v_cndmask_b32_e32 v49, v49, v51, vcc_lo
	s_delay_alu instid0(VALU_DEP_3) | instskip(NEXT) | instid1(VALU_DEP_2)
	v_and_b32_e32 v51, 0x80000000, v102
	v_lshlrev_b32_e32 v49, 20, v49
	s_delay_alu instid0(VALU_DEP_1)
	v_or3_b32 v49, v51, v50, v49
.LBB6_8801:                             ;   in Loop: Header=BB6_8618 Depth=3
	s_or_b32 exec_lo, exec_lo, s15
	s_delay_alu instid0(VALU_DEP_1) | instskip(SKIP_1) | instid1(VALU_DEP_1)
	v_dual_max_f32 v49, v49, v49 :: v_dual_max_f32 v48, v48, v48
	s_mov_b32 s14, 0
	v_max_f32_e32 v48, v48, v49
	s_branch .LBB6_8803
.LBB6_8802:                             ;   in Loop: Header=BB6_8618 Depth=3
	s_mov_b32 s14, -1
                                        ; implicit-def: $vgpr48
.LBB6_8803:                             ;   in Loop: Header=BB6_8618 Depth=3
	s_delay_alu instid0(SALU_CYCLE_1)
	s_and_b32 vcc_lo, exec_lo, s14
	s_cbranch_vccz .LBB6_8813
; %bb.8804:                             ;   in Loop: Header=BB6_8618 Depth=3
	s_mov_b32 s14, 0
	s_mov_b32 s35, exec_lo
                                        ; implicit-def: $sgpr15
	v_cmpx_lt_i16_e32 0x7f, v39
	s_xor_b32 s35, exec_lo, s35
	s_cbranch_execnz .LBB6_9189
; %bb.8805:                             ;   in Loop: Header=BB6_8618 Depth=3
	s_or_saveexec_b32 s35, s35
	v_mov_b32_e32 v48, s15
	s_xor_b32 exec_lo, exec_lo, s35
	s_cbranch_execnz .LBB6_9192
.LBB6_8806:                             ;   in Loop: Header=BB6_8618 Depth=3
	s_or_b32 exec_lo, exec_lo, s35
	s_and_saveexec_b32 s15, s14
	s_cbranch_execz .LBB6_8808
.LBB6_8807:                             ;   in Loop: Header=BB6_8618 Depth=3
	v_bfe_u32 v39, v13, 16, 3
	v_bfe_u32 v50, v13, 19, 4
	s_delay_alu instid0(VALU_DEP_2) | instskip(NEXT) | instid1(VALU_DEP_2)
	v_clz_i32_u32_e32 v48, v39
	v_cmp_eq_u32_e32 vcc_lo, 0, v50
	s_delay_alu instid0(VALU_DEP_2) | instskip(NEXT) | instid1(VALU_DEP_1)
	v_min_u32_e32 v48, 32, v48
	v_subrev_nc_u32_e32 v49, 28, v48
	v_sub_nc_u32_e32 v48, 29, v48
	s_delay_alu instid0(VALU_DEP_1) | instskip(NEXT) | instid1(VALU_DEP_1)
	v_dual_cndmask_b32 v48, v50, v48 :: v_dual_lshlrev_b32 v49, v49, v38
	v_and_b32_e32 v49, 7, v49
	v_lshlrev_b32_e32 v38, 24, v38
	s_delay_alu instid0(VALU_DEP_3) | instskip(NEXT) | instid1(VALU_DEP_2)
	v_lshl_add_u32 v48, v48, 23, 0x3b800000
	v_dual_cndmask_b32 v39, v39, v49 :: v_dual_and_b32 v38, 0x80000000, v38
	s_delay_alu instid0(VALU_DEP_1) | instskip(NEXT) | instid1(VALU_DEP_1)
	v_lshlrev_b32_e32 v39, 20, v39
	v_or3_b32 v48, v38, v48, v39
.LBB6_8808:                             ;   in Loop: Header=BB6_8618 Depth=3
	s_or_b32 exec_lo, exec_lo, s15
	v_and_b32_e32 v39, 0xff, v37
	s_mov_b32 s14, 0
	s_mov_b32 s35, exec_lo
                                        ; implicit-def: $sgpr15
	s_delay_alu instid0(VALU_DEP_1)
	v_cmpx_lt_i16_e32 0x7f, v39
	s_xor_b32 s35, exec_lo, s35
	s_cbranch_execnz .LBB6_9193
; %bb.8809:                             ;   in Loop: Header=BB6_8618 Depth=3
	s_or_saveexec_b32 s35, s35
	v_mov_b32_e32 v38, s15
	s_xor_b32 exec_lo, exec_lo, s35
	s_cbranch_execnz .LBB6_9196
.LBB6_8810:                             ;   in Loop: Header=BB6_8618 Depth=3
	s_or_b32 exec_lo, exec_lo, s35
	s_and_saveexec_b32 s15, s14
	s_cbranch_execz .LBB6_8812
.LBB6_8811:                             ;   in Loop: Header=BB6_8618 Depth=3
	v_bfe_u32 v38, v9, 16, 3
	v_bfe_u32 v50, v9, 19, 4
	s_delay_alu instid0(VALU_DEP_2) | instskip(NEXT) | instid1(VALU_DEP_2)
	v_clz_i32_u32_e32 v39, v38
	v_cmp_eq_u32_e32 vcc_lo, 0, v50
	s_delay_alu instid0(VALU_DEP_2) | instskip(NEXT) | instid1(VALU_DEP_1)
	v_min_u32_e32 v39, 32, v39
	v_subrev_nc_u32_e32 v49, 28, v39
	v_sub_nc_u32_e32 v39, 29, v39
	s_delay_alu instid0(VALU_DEP_2) | instskip(SKIP_1) | instid1(VALU_DEP_2)
	v_lshlrev_b32_e32 v49, v49, v37
	v_lshlrev_b32_e32 v37, 24, v37
	v_and_b32_e32 v49, 7, v49
	s_delay_alu instid0(VALU_DEP_2) | instskip(NEXT) | instid1(VALU_DEP_2)
	v_and_b32_e32 v37, 0x80000000, v37
	v_cndmask_b32_e32 v38, v38, v49, vcc_lo
	s_delay_alu instid0(VALU_DEP_1) | instskip(NEXT) | instid1(VALU_DEP_1)
	v_dual_cndmask_b32 v39, v50, v39 :: v_dual_lshlrev_b32 v38, 20, v38
	v_lshl_add_u32 v39, v39, 23, 0x3b800000
	s_delay_alu instid0(VALU_DEP_1)
	v_or3_b32 v38, v37, v39, v38
.LBB6_8812:                             ;   in Loop: Header=BB6_8618 Depth=3
	s_or_b32 exec_lo, exec_lo, s15
	s_delay_alu instid0(VALU_DEP_1) | instskip(NEXT) | instid1(VALU_DEP_1)
	v_dual_max_f32 v37, v38, v38 :: v_dual_max_f32 v38, v48, v48
	v_min_f32_e32 v48, v38, v37
.LBB6_8813:                             ;   in Loop: Header=BB6_8618 Depth=3
	s_delay_alu instid0(VALU_DEP_1) | instskip(NEXT) | instid1(VALU_DEP_1)
	v_and_b32_e32 v37, 0x7f800000, v48
	v_cmp_ne_u32_e32 vcc_lo, 0x7f800000, v37
	v_mov_b32_e32 v37, 0x80
	s_and_saveexec_b32 s15, vcc_lo
	s_cbranch_execz .LBB6_8821
; %bb.8814:                             ;   in Loop: Header=BB6_8618 Depth=3
	v_mov_b32_e32 v37, 0
	s_mov_b32 s35, exec_lo
	v_cmpx_ne_u32_e32 0, v48
	s_cbranch_execz .LBB6_8820
; %bb.8815:                             ;   in Loop: Header=BB6_8618 Depth=3
	v_bfe_u32 v37, v48, 23, 8
	s_delay_alu instid0(VALU_DEP_1) | instskip(SKIP_1) | instid1(VALU_DEP_2)
	v_sub_nc_u32_e32 v39, 0x78, v37
	v_cmp_gt_u32_e32 vcc_lo, 0x79, v37
	v_dual_cndmask_b32 v39, 0, v39 :: v_dual_and_b32 v38, 0x7fffff, v48
	s_delay_alu instid0(VALU_DEP_1) | instskip(SKIP_2) | instid1(VALU_DEP_4)
	v_or_b32_e32 v49, 0x800000, v38
	v_cmp_eq_u32_e32 vcc_lo, 0, v37
	v_add_nc_u32_e32 v37, 0xffffff89, v37
	v_cndmask_b32_e64 v39, v39, 0x77, vcc_lo
	s_delay_alu instid0(VALU_DEP_4) | instskip(NEXT) | instid1(VALU_DEP_3)
	v_cndmask_b32_e32 v38, v49, v38, vcc_lo
	v_cndmask_b32_e64 v37, v37, 0xffffff8a, vcc_lo
	s_delay_alu instid0(VALU_DEP_3) | instskip(NEXT) | instid1(VALU_DEP_3)
	v_lshl_add_u32 v49, 0x100000, v39, -1
	v_lshrrev_b32_e32 v50, v39, v38
	v_lshlrev_b32_e64 v101, v39, 0x80000
	s_delay_alu instid0(VALU_DEP_4) | instskip(NEXT) | instid1(VALU_DEP_4)
	v_add_nc_u32_e32 v39, v39, v37
	v_and_b32_e32 v38, v49, v38
	s_delay_alu instid0(VALU_DEP_4) | instskip(NEXT) | instid1(VALU_DEP_2)
	v_bfe_u32 v51, v50, 20, 1
	v_cmp_eq_u32_e64 s14, v38, v101
	s_delay_alu instid0(VALU_DEP_2) | instskip(NEXT) | instid1(VALU_DEP_1)
	v_add_nc_u32_e32 v49, -1, v51
	v_cndmask_b32_e64 v38, 0, v49, s14
	v_lshrrev_b32_e32 v49, 23, v50
	s_mov_b32 s14, exec_lo
	s_delay_alu instid0(VALU_DEP_2) | instskip(NEXT) | instid1(VALU_DEP_2)
	v_add_nc_u32_e32 v38, v38, v50
	v_xor_b32_e32 v49, 1, v49
	s_delay_alu instid0(VALU_DEP_2) | instskip(NEXT) | instid1(VALU_DEP_1)
	v_and_b32_e32 v37, 0xfffff, v38
	v_add_nc_u32_e32 v38, v37, v50
                                        ; implicit-def: $vgpr37
	s_delay_alu instid0(VALU_DEP_3)
	v_cmpx_ne_u32_e64 v39, v49
	s_xor_b32 s14, exec_lo, s14
; %bb.8816:                             ;   in Loop: Header=BB6_8618 Depth=3
	s_delay_alu instid0(VALU_DEP_2) | instskip(SKIP_2) | instid1(VALU_DEP_2)
	v_cmp_lt_u32_e32 vcc_lo, 0xffffff, v38
	v_sub_nc_u32_e32 v37, v39, v49
	v_cndmask_b32_e64 v39, 0, 1, vcc_lo
	v_add_co_ci_u32_e32 v37, vcc_lo, 0, v37, vcc_lo
	s_delay_alu instid0(VALU_DEP_2)
	v_lshrrev_b32_e32 v38, v39, v38
; %bb.8817:                             ;   in Loop: Header=BB6_8618 Depth=3
	s_and_not1_saveexec_b32 s14, s14
; %bb.8818:                             ;   in Loop: Header=BB6_8618 Depth=3
	s_delay_alu instid0(VALU_DEP_1)
	v_bfe_u32 v37, v38, 23, 1
; %bb.8819:                             ;   in Loop: Header=BB6_8618 Depth=3
	s_or_b32 exec_lo, exec_lo, s14
	v_lshrrev_b32_e32 v38, 20, v38
	s_delay_alu instid0(VALU_DEP_2) | instskip(SKIP_2) | instid1(VALU_DEP_2)
	v_cmp_gt_i32_e32 vcc_lo, 16, v37
	v_min_i32_e32 v39, 15, v37
	v_lshrrev_b32_e32 v48, 24, v48
	v_dual_cndmask_b32 v38, 7, v38 :: v_dual_lshlrev_b32 v39, 3, v39
	s_delay_alu instid0(VALU_DEP_1) | instskip(SKIP_1) | instid1(VALU_DEP_3)
	v_or_b32_e32 v37, v37, v38
	v_and_b32_e32 v49, 7, v38
	v_and_b32_e32 v39, 0xf8, v39
	s_delay_alu instid0(VALU_DEP_3) | instskip(SKIP_1) | instid1(VALU_DEP_1)
	v_cmp_ne_u32_e32 vcc_lo, 0, v37
	v_and_b32_e32 v48, 0x80, v48
	v_or3_b32 v38, v39, v48, v49
	s_delay_alu instid0(VALU_DEP_1)
	v_cndmask_b32_e32 v37, 0, v38, vcc_lo
.LBB6_8820:                             ;   in Loop: Header=BB6_8618 Depth=3
	s_or_b32 exec_lo, exec_lo, s35
.LBB6_8821:                             ;   in Loop: Header=BB6_8618 Depth=3
	s_delay_alu instid0(SALU_CYCLE_1) | instskip(SKIP_3) | instid1(VALU_DEP_2)
	s_or_b32 exec_lo, exec_lo, s15
	v_lshrrev_b32_e32 v39, 24, v13
	v_lshrrev_b32_e32 v38, 24, v9
	s_and_b32 vcc_lo, exec_lo, s34
	v_cmp_lt_i16_e64 s14, 0x7f, v39
	s_cbranch_vccz .LBB6_8831
; %bb.8822:                             ;   in Loop: Header=BB6_8618 Depth=3
	s_mov_b32 s15, 0
                                        ; implicit-def: $sgpr35
	s_delay_alu instid0(VALU_DEP_1) | instskip(NEXT) | instid1(SALU_CYCLE_1)
	s_and_saveexec_b32 vcc_lo, s14
	s_xor_b32 s14, exec_lo, vcc_lo
	s_cbranch_execnz .LBB6_9197
; %bb.8823:                             ;   in Loop: Header=BB6_8618 Depth=3
	s_or_saveexec_b32 s14, s14
	v_mov_b32_e32 v48, s35
	s_xor_b32 exec_lo, exec_lo, s14
	s_cbranch_execnz .LBB6_9200
.LBB6_8824:                             ;   in Loop: Header=BB6_8618 Depth=3
	s_or_b32 exec_lo, exec_lo, s14
	s_and_saveexec_b32 s14, s15
	s_cbranch_execz .LBB6_8826
.LBB6_8825:                             ;   in Loop: Header=BB6_8618 Depth=3
	v_bfe_u32 v48, v13, 24, 3
	v_bfe_u32 v51, v13, 27, 4
	s_delay_alu instid0(VALU_DEP_2) | instskip(NEXT) | instid1(VALU_DEP_2)
	v_clz_i32_u32_e32 v49, v48
	v_cmp_eq_u32_e32 vcc_lo, 0, v51
	s_delay_alu instid0(VALU_DEP_2) | instskip(NEXT) | instid1(VALU_DEP_1)
	v_min_u32_e32 v49, 32, v49
	v_subrev_nc_u32_e32 v50, 28, v49
	v_sub_nc_u32_e32 v49, 29, v49
	s_delay_alu instid0(VALU_DEP_1) | instskip(NEXT) | instid1(VALU_DEP_1)
	v_dual_cndmask_b32 v49, v51, v49 :: v_dual_lshlrev_b32 v50, v50, v39
	v_and_b32_e32 v50, 7, v50
	s_delay_alu instid0(VALU_DEP_2) | instskip(NEXT) | instid1(VALU_DEP_2)
	v_lshl_add_u32 v49, v49, 23, 0x3b800000
	v_cndmask_b32_e32 v48, v48, v50, vcc_lo
	v_and_b32_e32 v50, 0x80000000, v13
	s_delay_alu instid0(VALU_DEP_2) | instskip(NEXT) | instid1(VALU_DEP_1)
	v_lshlrev_b32_e32 v48, 20, v48
	v_or3_b32 v48, v50, v49, v48
.LBB6_8826:                             ;   in Loop: Header=BB6_8618 Depth=3
	s_or_b32 exec_lo, exec_lo, s14
	s_mov_b32 s14, 0
	s_mov_b32 s35, exec_lo
                                        ; implicit-def: $sgpr15
	v_cmpx_lt_i16_e32 0x7f, v38
	s_xor_b32 s35, exec_lo, s35
	s_cbranch_execnz .LBB6_9201
; %bb.8827:                             ;   in Loop: Header=BB6_8618 Depth=3
	s_or_saveexec_b32 s35, s35
	v_mov_b32_e32 v49, s15
	s_xor_b32 exec_lo, exec_lo, s35
	s_cbranch_execnz .LBB6_9204
.LBB6_8828:                             ;   in Loop: Header=BB6_8618 Depth=3
	s_or_b32 exec_lo, exec_lo, s35
	s_and_saveexec_b32 s15, s14
	s_cbranch_execz .LBB6_8830
.LBB6_8829:                             ;   in Loop: Header=BB6_8618 Depth=3
	v_bfe_u32 v49, v9, 24, 3
	v_bfe_u32 v101, v9, 27, 4
	s_delay_alu instid0(VALU_DEP_2) | instskip(NEXT) | instid1(VALU_DEP_2)
	v_clz_i32_u32_e32 v50, v49
	v_cmp_eq_u32_e32 vcc_lo, 0, v101
	s_delay_alu instid0(VALU_DEP_2) | instskip(NEXT) | instid1(VALU_DEP_1)
	v_min_u32_e32 v50, 32, v50
	v_subrev_nc_u32_e32 v51, 28, v50
	v_sub_nc_u32_e32 v50, 29, v50
	s_delay_alu instid0(VALU_DEP_2) | instskip(NEXT) | instid1(VALU_DEP_1)
	v_lshlrev_b32_e32 v51, v51, v38
	v_dual_cndmask_b32 v50, v101, v50 :: v_dual_and_b32 v51, 7, v51
	s_delay_alu instid0(VALU_DEP_1) | instskip(NEXT) | instid1(VALU_DEP_2)
	v_lshl_add_u32 v50, v50, 23, 0x3b800000
	v_cndmask_b32_e32 v49, v49, v51, vcc_lo
	v_and_b32_e32 v51, 0x80000000, v9
	s_delay_alu instid0(VALU_DEP_2) | instskip(NEXT) | instid1(VALU_DEP_1)
	v_lshlrev_b32_e32 v49, 20, v49
	v_or3_b32 v49, v51, v50, v49
.LBB6_8830:                             ;   in Loop: Header=BB6_8618 Depth=3
	s_or_b32 exec_lo, exec_lo, s15
	s_delay_alu instid0(VALU_DEP_1) | instskip(SKIP_1) | instid1(VALU_DEP_1)
	v_dual_max_f32 v49, v49, v49 :: v_dual_max_f32 v48, v48, v48
	s_mov_b32 s14, 0
	v_max_f32_e32 v48, v48, v49
	s_branch .LBB6_8832
.LBB6_8831:                             ;   in Loop: Header=BB6_8618 Depth=3
	s_mov_b32 s14, -1
                                        ; implicit-def: $vgpr48
.LBB6_8832:                             ;   in Loop: Header=BB6_8618 Depth=3
	s_delay_alu instid0(SALU_CYCLE_1)
	s_and_b32 vcc_lo, exec_lo, s14
	s_cbranch_vccz .LBB6_8842
; %bb.8833:                             ;   in Loop: Header=BB6_8618 Depth=3
	s_mov_b32 s14, 0
	s_mov_b32 s35, exec_lo
                                        ; implicit-def: $sgpr15
	v_cmpx_lt_i16_e32 0x7f, v39
	s_xor_b32 s35, exec_lo, s35
	s_cbranch_execnz .LBB6_9205
; %bb.8834:                             ;   in Loop: Header=BB6_8618 Depth=3
	s_or_saveexec_b32 s35, s35
	v_mov_b32_e32 v48, s15
	s_xor_b32 exec_lo, exec_lo, s35
	s_cbranch_execnz .LBB6_9208
.LBB6_8835:                             ;   in Loop: Header=BB6_8618 Depth=3
	s_or_b32 exec_lo, exec_lo, s35
	s_and_saveexec_b32 s15, s14
	s_cbranch_execz .LBB6_8837
.LBB6_8836:                             ;   in Loop: Header=BB6_8618 Depth=3
	v_bfe_u32 v48, v13, 24, 3
	s_delay_alu instid0(VALU_DEP_1) | instskip(NEXT) | instid1(VALU_DEP_1)
	v_clz_i32_u32_e32 v49, v48
	v_min_u32_e32 v49, 32, v49
	s_delay_alu instid0(VALU_DEP_1) | instskip(SKIP_1) | instid1(VALU_DEP_2)
	v_subrev_nc_u32_e32 v50, 28, v49
	v_sub_nc_u32_e32 v49, 29, v49
	v_lshlrev_b32_e32 v39, v50, v39
	v_bfe_u32 v50, v13, 27, 4
	v_and_b32_e32 v13, 0x80000000, v13
	s_delay_alu instid0(VALU_DEP_3) | instskip(NEXT) | instid1(VALU_DEP_3)
	v_and_b32_e32 v39, 7, v39
	v_cmp_eq_u32_e32 vcc_lo, 0, v50
	v_cndmask_b32_e32 v49, v50, v49, vcc_lo
	s_delay_alu instid0(VALU_DEP_3) | instskip(NEXT) | instid1(VALU_DEP_2)
	v_cndmask_b32_e32 v39, v48, v39, vcc_lo
	v_lshl_add_u32 v48, v49, 23, 0x3b800000
	s_delay_alu instid0(VALU_DEP_2) | instskip(NEXT) | instid1(VALU_DEP_1)
	v_lshlrev_b32_e32 v39, 20, v39
	v_or3_b32 v48, v13, v48, v39
.LBB6_8837:                             ;   in Loop: Header=BB6_8618 Depth=3
	s_or_b32 exec_lo, exec_lo, s15
	s_mov_b32 s14, 0
	s_mov_b32 s35, exec_lo
                                        ; implicit-def: $sgpr15
	v_cmpx_lt_i16_e32 0x7f, v38
	s_xor_b32 s35, exec_lo, s35
	s_cbranch_execnz .LBB6_9209
; %bb.8838:                             ;   in Loop: Header=BB6_8618 Depth=3
	s_or_saveexec_b32 s35, s35
	v_mov_b32_e32 v13, s15
	s_xor_b32 exec_lo, exec_lo, s35
	s_cbranch_execnz .LBB6_9212
.LBB6_8839:                             ;   in Loop: Header=BB6_8618 Depth=3
	s_or_b32 exec_lo, exec_lo, s35
	s_and_saveexec_b32 s15, s14
	s_cbranch_execz .LBB6_8841
.LBB6_8840:                             ;   in Loop: Header=BB6_8618 Depth=3
	v_bfe_u32 v13, v9, 24, 3
	s_delay_alu instid0(VALU_DEP_1) | instskip(NEXT) | instid1(VALU_DEP_1)
	v_clz_i32_u32_e32 v39, v13
	v_min_u32_e32 v39, 32, v39
	s_delay_alu instid0(VALU_DEP_1) | instskip(SKIP_1) | instid1(VALU_DEP_2)
	v_subrev_nc_u32_e32 v49, 28, v39
	v_sub_nc_u32_e32 v39, 29, v39
	v_lshlrev_b32_e32 v38, v49, v38
	v_bfe_u32 v49, v9, 27, 4
	v_and_b32_e32 v9, 0x80000000, v9
	s_delay_alu instid0(VALU_DEP_2) | instskip(NEXT) | instid1(VALU_DEP_4)
	v_cmp_eq_u32_e32 vcc_lo, 0, v49
	v_dual_cndmask_b32 v39, v49, v39 :: v_dual_and_b32 v38, 7, v38
	s_delay_alu instid0(VALU_DEP_1) | instskip(NEXT) | instid1(VALU_DEP_2)
	v_cndmask_b32_e32 v13, v13, v38, vcc_lo
	v_lshl_add_u32 v38, v39, 23, 0x3b800000
	s_delay_alu instid0(VALU_DEP_2) | instskip(NEXT) | instid1(VALU_DEP_1)
	v_lshlrev_b32_e32 v13, 20, v13
	v_or3_b32 v13, v9, v38, v13
.LBB6_8841:                             ;   in Loop: Header=BB6_8618 Depth=3
	s_or_b32 exec_lo, exec_lo, s15
	s_delay_alu instid0(VALU_DEP_1) | instskip(SKIP_1) | instid1(VALU_DEP_1)
	v_max_f32_e32 v9, v13, v13
	v_max_f32_e32 v13, v48, v48
	v_min_f32_e32 v48, v13, v9
.LBB6_8842:                             ;   in Loop: Header=BB6_8618 Depth=3
	s_delay_alu instid0(VALU_DEP_1) | instskip(NEXT) | instid1(VALU_DEP_1)
	v_and_b32_e32 v9, 0x7f800000, v48
	v_cmp_ne_u32_e32 vcc_lo, 0x7f800000, v9
	v_mov_b32_e32 v9, 0x8000
	s_and_saveexec_b32 s15, vcc_lo
	s_cbranch_execz .LBB6_8850
; %bb.8843:                             ;   in Loop: Header=BB6_8618 Depth=3
	v_mov_b32_e32 v9, 0
	s_mov_b32 s35, exec_lo
	v_cmpx_ne_u32_e32 0, v48
	s_cbranch_execz .LBB6_8849
; %bb.8844:                             ;   in Loop: Header=BB6_8618 Depth=3
	v_bfe_u32 v9, v48, 23, 8
	s_delay_alu instid0(VALU_DEP_1) | instskip(SKIP_1) | instid1(VALU_DEP_2)
	v_sub_nc_u32_e32 v38, 0x78, v9
	v_cmp_gt_u32_e32 vcc_lo, 0x79, v9
	v_dual_cndmask_b32 v38, 0, v38 :: v_dual_and_b32 v13, 0x7fffff, v48
	s_delay_alu instid0(VALU_DEP_1) | instskip(SKIP_2) | instid1(VALU_DEP_4)
	v_or_b32_e32 v39, 0x800000, v13
	v_cmp_eq_u32_e32 vcc_lo, 0, v9
	v_add_nc_u32_e32 v9, 0xffffff89, v9
	v_cndmask_b32_e64 v38, v38, 0x77, vcc_lo
	s_delay_alu instid0(VALU_DEP_4) | instskip(NEXT) | instid1(VALU_DEP_3)
	v_cndmask_b32_e32 v13, v39, v13, vcc_lo
	v_cndmask_b32_e64 v9, v9, 0xffffff8a, vcc_lo
	s_delay_alu instid0(VALU_DEP_3) | instskip(NEXT) | instid1(VALU_DEP_3)
	v_lshl_add_u32 v39, 0x100000, v38, -1
	v_lshrrev_b32_e32 v49, v38, v13
	v_lshlrev_b32_e64 v51, v38, 0x80000
	s_delay_alu instid0(VALU_DEP_4) | instskip(NEXT) | instid1(VALU_DEP_4)
	v_add_nc_u32_e32 v38, v38, v9
	v_and_b32_e32 v13, v39, v13
	s_delay_alu instid0(VALU_DEP_4) | instskip(NEXT) | instid1(VALU_DEP_2)
	v_bfe_u32 v50, v49, 20, 1
	v_cmp_eq_u32_e64 s14, v13, v51
	s_delay_alu instid0(VALU_DEP_2) | instskip(NEXT) | instid1(VALU_DEP_1)
	v_add_nc_u32_e32 v39, -1, v50
	v_cndmask_b32_e64 v13, 0, v39, s14
	v_lshrrev_b32_e32 v39, 23, v49
	s_mov_b32 s14, exec_lo
	s_delay_alu instid0(VALU_DEP_2) | instskip(NEXT) | instid1(VALU_DEP_2)
	v_add_nc_u32_e32 v13, v13, v49
	v_xor_b32_e32 v39, 1, v39
	s_delay_alu instid0(VALU_DEP_2) | instskip(NEXT) | instid1(VALU_DEP_1)
	v_and_b32_e32 v9, 0xfffff, v13
	v_add_nc_u32_e32 v13, v9, v49
                                        ; implicit-def: $vgpr9
	s_delay_alu instid0(VALU_DEP_3)
	v_cmpx_ne_u32_e64 v38, v39
	s_xor_b32 s14, exec_lo, s14
; %bb.8845:                             ;   in Loop: Header=BB6_8618 Depth=3
	s_delay_alu instid0(VALU_DEP_2) | instskip(SKIP_2) | instid1(VALU_DEP_2)
	v_cmp_lt_u32_e32 vcc_lo, 0xffffff, v13
	v_sub_nc_u32_e32 v9, v38, v39
	v_cndmask_b32_e64 v38, 0, 1, vcc_lo
	v_add_co_ci_u32_e32 v9, vcc_lo, 0, v9, vcc_lo
	s_delay_alu instid0(VALU_DEP_2)
	v_lshrrev_b32_e32 v13, v38, v13
; %bb.8846:                             ;   in Loop: Header=BB6_8618 Depth=3
	s_and_not1_saveexec_b32 s14, s14
; %bb.8847:                             ;   in Loop: Header=BB6_8618 Depth=3
	s_delay_alu instid0(VALU_DEP_1)
	v_bfe_u32 v9, v13, 23, 1
; %bb.8848:                             ;   in Loop: Header=BB6_8618 Depth=3
	s_or_b32 exec_lo, exec_lo, s14
	v_lshrrev_b32_e32 v13, 20, v13
	s_delay_alu instid0(VALU_DEP_2) | instskip(SKIP_2) | instid1(VALU_DEP_2)
	v_cmp_gt_i32_e32 vcc_lo, 16, v9
	v_min_i32_e32 v38, 15, v9
	v_lshrrev_b32_e32 v39, 24, v48
	v_dual_cndmask_b32 v13, 7, v13 :: v_dual_lshlrev_b32 v38, 3, v38
	s_delay_alu instid0(VALU_DEP_2) | instskip(NEXT) | instid1(VALU_DEP_2)
	v_and_b32_e32 v39, 0x80, v39
	v_or_b32_e32 v9, v9, v13
	v_and_b32_e32 v48, 7, v13
	s_delay_alu instid0(VALU_DEP_2) | instskip(SKIP_1) | instid1(VALU_DEP_1)
	v_cmp_ne_u32_e32 vcc_lo, 0, v9
	v_and_b32_e32 v38, 0xf8, v38
	v_or3_b32 v38, v39, v38, v48
	s_delay_alu instid0(VALU_DEP_1) | instskip(NEXT) | instid1(VALU_DEP_1)
	v_lshlrev_b32_e32 v13, 8, v38
	v_cndmask_b32_e32 v9, 0, v13, vcc_lo
.LBB6_8849:                             ;   in Loop: Header=BB6_8618 Depth=3
	s_or_b32 exec_lo, exec_lo, s35
.LBB6_8850:                             ;   in Loop: Header=BB6_8618 Depth=3
	s_delay_alu instid0(SALU_CYCLE_1) | instskip(SKIP_2) | instid1(VALU_DEP_1)
	s_or_b32 exec_lo, exec_lo, s15
	v_and_b32_e32 v13, 0xff, v14
	s_and_b32 vcc_lo, exec_lo, s34
	v_cmp_lt_i16_e64 s14, 0x7f, v13
	s_cbranch_vccz .LBB6_8860
; %bb.8851:                             ;   in Loop: Header=BB6_8618 Depth=3
	s_mov_b32 s15, 0
                                        ; implicit-def: $sgpr35
	s_delay_alu instid0(VALU_DEP_1) | instskip(NEXT) | instid1(SALU_CYCLE_1)
	s_and_saveexec_b32 vcc_lo, s14
	s_xor_b32 s14, exec_lo, vcc_lo
	s_cbranch_execnz .LBB6_9213
; %bb.8852:                             ;   in Loop: Header=BB6_8618 Depth=3
	s_or_saveexec_b32 s14, s14
	v_mov_b32_e32 v38, s35
	s_xor_b32 exec_lo, exec_lo, s14
	s_cbranch_execnz .LBB6_9216
.LBB6_8853:                             ;   in Loop: Header=BB6_8618 Depth=3
	s_or_b32 exec_lo, exec_lo, s14
	s_and_saveexec_b32 s14, s15
	s_cbranch_execz .LBB6_8855
.LBB6_8854:                             ;   in Loop: Header=BB6_8618 Depth=3
	v_bfe_u32 v49, v14, 3, 4
	v_lshlrev_b32_e32 v50, 24, v14
	s_delay_alu instid0(VALU_DEP_2) | instskip(SKIP_1) | instid1(VALU_DEP_1)
	v_cmp_eq_u32_e32 vcc_lo, 0, v49
	v_and_b32_e32 v38, 7, v14
	v_clz_i32_u32_e32 v39, v38
	s_delay_alu instid0(VALU_DEP_1) | instskip(NEXT) | instid1(VALU_DEP_1)
	v_min_u32_e32 v39, 32, v39
	v_subrev_nc_u32_e32 v48, 28, v39
	v_sub_nc_u32_e32 v39, 29, v39
	s_delay_alu instid0(VALU_DEP_1) | instskip(NEXT) | instid1(VALU_DEP_1)
	v_dual_cndmask_b32 v39, v49, v39 :: v_dual_lshlrev_b32 v48, v48, v14
	v_and_b32_e32 v48, 7, v48
	s_delay_alu instid0(VALU_DEP_2) | instskip(NEXT) | instid1(VALU_DEP_2)
	v_lshl_add_u32 v39, v39, 23, 0x3b800000
	v_cndmask_b32_e32 v38, v38, v48, vcc_lo
	v_and_b32_e32 v48, 0x80000000, v50
	s_delay_alu instid0(VALU_DEP_2) | instskip(NEXT) | instid1(VALU_DEP_1)
	v_lshlrev_b32_e32 v38, 20, v38
	v_or3_b32 v38, v48, v39, v38
.LBB6_8855:                             ;   in Loop: Header=BB6_8618 Depth=3
	s_or_b32 exec_lo, exec_lo, s14
	v_and_b32_e32 v48, 0xff, v10
	s_mov_b32 s14, 0
	s_mov_b32 s35, exec_lo
                                        ; implicit-def: $sgpr15
	s_delay_alu instid0(VALU_DEP_1)
	v_cmpx_lt_i16_e32 0x7f, v48
	s_xor_b32 s35, exec_lo, s35
	s_cbranch_execnz .LBB6_9217
; %bb.8856:                             ;   in Loop: Header=BB6_8618 Depth=3
	s_or_saveexec_b32 s35, s35
	v_mov_b32_e32 v39, s15
	s_xor_b32 exec_lo, exec_lo, s35
	s_cbranch_execnz .LBB6_9220
.LBB6_8857:                             ;   in Loop: Header=BB6_8618 Depth=3
	s_or_b32 exec_lo, exec_lo, s35
	s_and_saveexec_b32 s15, s14
	s_cbranch_execz .LBB6_8859
.LBB6_8858:                             ;   in Loop: Header=BB6_8618 Depth=3
	v_bfe_u32 v50, v10, 3, 4
	v_lshlrev_b32_e32 v51, 24, v10
	s_delay_alu instid0(VALU_DEP_2) | instskip(SKIP_1) | instid1(VALU_DEP_1)
	v_cmp_eq_u32_e32 vcc_lo, 0, v50
	v_and_b32_e32 v39, 7, v10
	v_clz_i32_u32_e32 v48, v39
	s_delay_alu instid0(VALU_DEP_1) | instskip(NEXT) | instid1(VALU_DEP_1)
	v_min_u32_e32 v48, 32, v48
	v_subrev_nc_u32_e32 v49, 28, v48
	v_sub_nc_u32_e32 v48, 29, v48
	s_delay_alu instid0(VALU_DEP_1) | instskip(NEXT) | instid1(VALU_DEP_1)
	v_dual_cndmask_b32 v48, v50, v48 :: v_dual_lshlrev_b32 v49, v49, v10
	v_and_b32_e32 v49, 7, v49
	s_delay_alu instid0(VALU_DEP_2) | instskip(NEXT) | instid1(VALU_DEP_2)
	v_lshl_add_u32 v48, v48, 23, 0x3b800000
	v_cndmask_b32_e32 v39, v39, v49, vcc_lo
	v_and_b32_e32 v49, 0x80000000, v51
	s_delay_alu instid0(VALU_DEP_2) | instskip(NEXT) | instid1(VALU_DEP_1)
	v_lshlrev_b32_e32 v39, 20, v39
	v_or3_b32 v39, v49, v48, v39
.LBB6_8859:                             ;   in Loop: Header=BB6_8618 Depth=3
	s_or_b32 exec_lo, exec_lo, s15
	s_delay_alu instid0(VALU_DEP_1) | instskip(SKIP_1) | instid1(VALU_DEP_1)
	v_dual_max_f32 v39, v39, v39 :: v_dual_max_f32 v38, v38, v38
	s_mov_b32 s14, 0
	v_max_f32_e32 v38, v38, v39
	s_branch .LBB6_8861
.LBB6_8860:                             ;   in Loop: Header=BB6_8618 Depth=3
	s_mov_b32 s14, -1
                                        ; implicit-def: $vgpr38
.LBB6_8861:                             ;   in Loop: Header=BB6_8618 Depth=3
	s_delay_alu instid0(SALU_CYCLE_1)
	s_and_b32 vcc_lo, exec_lo, s14
	s_cbranch_vccz .LBB6_8871
; %bb.8862:                             ;   in Loop: Header=BB6_8618 Depth=3
	s_mov_b32 s14, 0
	s_mov_b32 s35, exec_lo
                                        ; implicit-def: $sgpr15
	v_cmpx_lt_i16_e32 0x7f, v13
	s_xor_b32 s35, exec_lo, s35
	s_cbranch_execnz .LBB6_9221
; %bb.8863:                             ;   in Loop: Header=BB6_8618 Depth=3
	s_or_saveexec_b32 s35, s35
	v_mov_b32_e32 v38, s15
	s_xor_b32 exec_lo, exec_lo, s35
	s_cbranch_execnz .LBB6_9224
.LBB6_8864:                             ;   in Loop: Header=BB6_8618 Depth=3
	s_or_b32 exec_lo, exec_lo, s35
	s_and_saveexec_b32 s15, s14
	s_cbranch_execz .LBB6_8866
.LBB6_8865:                             ;   in Loop: Header=BB6_8618 Depth=3
	v_and_b32_e32 v13, 7, v14
	v_bfe_u32 v48, v14, 3, 4
	v_lshlrev_b32_e32 v49, 24, v14
	s_delay_alu instid0(VALU_DEP_3) | instskip(NEXT) | instid1(VALU_DEP_3)
	v_clz_i32_u32_e32 v38, v13
	v_cmp_eq_u32_e32 vcc_lo, 0, v48
	s_delay_alu instid0(VALU_DEP_2) | instskip(NEXT) | instid1(VALU_DEP_1)
	v_min_u32_e32 v38, 32, v38
	v_subrev_nc_u32_e32 v39, 28, v38
	v_sub_nc_u32_e32 v38, 29, v38
	s_delay_alu instid0(VALU_DEP_2) | instskip(NEXT) | instid1(VALU_DEP_1)
	v_lshlrev_b32_e32 v39, v39, v14
	v_dual_cndmask_b32 v38, v48, v38 :: v_dual_and_b32 v39, 7, v39
	s_delay_alu instid0(VALU_DEP_1) | instskip(NEXT) | instid1(VALU_DEP_2)
	v_lshl_add_u32 v38, v38, 23, 0x3b800000
	v_cndmask_b32_e32 v13, v13, v39, vcc_lo
	v_and_b32_e32 v39, 0x80000000, v49
	s_delay_alu instid0(VALU_DEP_2) | instskip(NEXT) | instid1(VALU_DEP_1)
	v_lshlrev_b32_e32 v13, 20, v13
	v_or3_b32 v38, v39, v38, v13
.LBB6_8866:                             ;   in Loop: Header=BB6_8618 Depth=3
	s_or_b32 exec_lo, exec_lo, s15
	v_and_b32_e32 v39, 0xff, v10
	s_mov_b32 s14, 0
	s_mov_b32 s35, exec_lo
                                        ; implicit-def: $sgpr15
	s_delay_alu instid0(VALU_DEP_1)
	v_cmpx_lt_i16_e32 0x7f, v39
	s_xor_b32 s35, exec_lo, s35
	s_cbranch_execnz .LBB6_9225
; %bb.8867:                             ;   in Loop: Header=BB6_8618 Depth=3
	s_or_saveexec_b32 s35, s35
	v_mov_b32_e32 v13, s15
	s_xor_b32 exec_lo, exec_lo, s35
	s_cbranch_execnz .LBB6_9228
.LBB6_8868:                             ;   in Loop: Header=BB6_8618 Depth=3
	s_or_b32 exec_lo, exec_lo, s35
	s_and_saveexec_b32 s15, s14
	s_cbranch_execz .LBB6_8870
.LBB6_8869:                             ;   in Loop: Header=BB6_8618 Depth=3
	v_and_b32_e32 v13, 7, v10
	v_bfe_u32 v49, v10, 3, 4
	s_delay_alu instid0(VALU_DEP_2) | instskip(NEXT) | instid1(VALU_DEP_2)
	v_clz_i32_u32_e32 v39, v13
	v_cmp_eq_u32_e32 vcc_lo, 0, v49
	s_delay_alu instid0(VALU_DEP_2) | instskip(NEXT) | instid1(VALU_DEP_1)
	v_min_u32_e32 v39, 32, v39
	v_subrev_nc_u32_e32 v48, 28, v39
	v_sub_nc_u32_e32 v39, 29, v39
	s_delay_alu instid0(VALU_DEP_1) | instskip(NEXT) | instid1(VALU_DEP_1)
	v_dual_cndmask_b32 v39, v49, v39 :: v_dual_lshlrev_b32 v48, v48, v10
	v_and_b32_e32 v48, 7, v48
	v_lshlrev_b32_e32 v50, 24, v10
	s_delay_alu instid0(VALU_DEP_3) | instskip(NEXT) | instid1(VALU_DEP_2)
	v_lshl_add_u32 v39, v39, 23, 0x3b800000
	v_dual_cndmask_b32 v13, v13, v48 :: v_dual_and_b32 v48, 0x80000000, v50
	s_delay_alu instid0(VALU_DEP_1) | instskip(NEXT) | instid1(VALU_DEP_1)
	v_lshlrev_b32_e32 v13, 20, v13
	v_or3_b32 v13, v48, v39, v13
.LBB6_8870:                             ;   in Loop: Header=BB6_8618 Depth=3
	s_or_b32 exec_lo, exec_lo, s15
	s_delay_alu instid0(VALU_DEP_1) | instskip(NEXT) | instid1(VALU_DEP_1)
	v_dual_max_f32 v13, v13, v13 :: v_dual_max_f32 v38, v38, v38
	v_min_f32_e32 v38, v38, v13
.LBB6_8871:                             ;   in Loop: Header=BB6_8618 Depth=3
	s_delay_alu instid0(VALU_DEP_1) | instskip(NEXT) | instid1(VALU_DEP_1)
	v_and_b32_e32 v13, 0x7f800000, v38
	v_cmp_ne_u32_e32 vcc_lo, 0x7f800000, v13
	v_mov_b32_e32 v13, 0x80
	s_and_saveexec_b32 s15, vcc_lo
	s_cbranch_execz .LBB6_8879
; %bb.8872:                             ;   in Loop: Header=BB6_8618 Depth=3
	v_mov_b32_e32 v13, 0
	s_mov_b32 s35, exec_lo
	v_cmpx_ne_u32_e32 0, v38
	s_cbranch_execz .LBB6_8878
; %bb.8873:                             ;   in Loop: Header=BB6_8618 Depth=3
	v_bfe_u32 v13, v38, 23, 8
	s_delay_alu instid0(VALU_DEP_1) | instskip(SKIP_1) | instid1(VALU_DEP_2)
	v_sub_nc_u32_e32 v48, 0x78, v13
	v_cmp_gt_u32_e32 vcc_lo, 0x79, v13
	v_dual_cndmask_b32 v48, 0, v48 :: v_dual_and_b32 v39, 0x7fffff, v38
	s_delay_alu instid0(VALU_DEP_1) | instskip(SKIP_2) | instid1(VALU_DEP_4)
	v_or_b32_e32 v49, 0x800000, v39
	v_cmp_eq_u32_e32 vcc_lo, 0, v13
	v_add_nc_u32_e32 v13, 0xffffff89, v13
	v_cndmask_b32_e64 v48, v48, 0x77, vcc_lo
	s_delay_alu instid0(VALU_DEP_2) | instskip(SKIP_1) | instid1(VALU_DEP_3)
	v_cndmask_b32_e64 v13, v13, 0xffffff8a, vcc_lo
	v_cndmask_b32_e32 v39, v49, v39, vcc_lo
	v_lshl_add_u32 v49, 0x100000, v48, -1
	v_lshlrev_b32_e64 v101, v48, 0x80000
	s_delay_alu instid0(VALU_DEP_3) | instskip(SKIP_1) | instid1(VALU_DEP_4)
	v_lshrrev_b32_e32 v50, v48, v39
	v_add_nc_u32_e32 v48, v48, v13
	v_and_b32_e32 v39, v49, v39
	s_delay_alu instid0(VALU_DEP_3) | instskip(NEXT) | instid1(VALU_DEP_2)
	v_bfe_u32 v51, v50, 20, 1
	v_cmp_eq_u32_e64 s14, v39, v101
	s_delay_alu instid0(VALU_DEP_2) | instskip(NEXT) | instid1(VALU_DEP_1)
	v_add_nc_u32_e32 v49, -1, v51
	v_cndmask_b32_e64 v39, 0, v49, s14
	v_lshrrev_b32_e32 v49, 23, v50
	s_mov_b32 s14, exec_lo
	s_delay_alu instid0(VALU_DEP_2) | instskip(NEXT) | instid1(VALU_DEP_2)
	v_add_nc_u32_e32 v39, v39, v50
	v_xor_b32_e32 v49, 1, v49
	s_delay_alu instid0(VALU_DEP_2) | instskip(NEXT) | instid1(VALU_DEP_1)
	v_and_b32_e32 v13, 0xfffff, v39
	v_add_nc_u32_e32 v39, v13, v50
                                        ; implicit-def: $vgpr13
	s_delay_alu instid0(VALU_DEP_3)
	v_cmpx_ne_u32_e64 v48, v49
	s_xor_b32 s14, exec_lo, s14
; %bb.8874:                             ;   in Loop: Header=BB6_8618 Depth=3
	s_delay_alu instid0(VALU_DEP_2) | instskip(SKIP_2) | instid1(VALU_DEP_2)
	v_cmp_lt_u32_e32 vcc_lo, 0xffffff, v39
	v_sub_nc_u32_e32 v13, v48, v49
	v_cndmask_b32_e64 v48, 0, 1, vcc_lo
	v_add_co_ci_u32_e32 v13, vcc_lo, 0, v13, vcc_lo
	s_delay_alu instid0(VALU_DEP_2)
	v_lshrrev_b32_e32 v39, v48, v39
; %bb.8875:                             ;   in Loop: Header=BB6_8618 Depth=3
	s_and_not1_saveexec_b32 s14, s14
; %bb.8876:                             ;   in Loop: Header=BB6_8618 Depth=3
	s_delay_alu instid0(VALU_DEP_1)
	v_bfe_u32 v13, v39, 23, 1
; %bb.8877:                             ;   in Loop: Header=BB6_8618 Depth=3
	s_or_b32 exec_lo, exec_lo, s14
	v_lshrrev_b32_e32 v39, 20, v39
	s_delay_alu instid0(VALU_DEP_2) | instskip(SKIP_2) | instid1(VALU_DEP_2)
	v_cmp_gt_i32_e32 vcc_lo, 16, v13
	v_lshrrev_b32_e32 v38, 24, v38
	v_min_i32_e32 v48, 15, v13
	v_dual_cndmask_b32 v39, 7, v39 :: v_dual_and_b32 v38, 0x80, v38
	s_delay_alu instid0(VALU_DEP_1) | instskip(SKIP_1) | instid1(VALU_DEP_2)
	v_or_b32_e32 v13, v13, v39
	v_and_b32_e32 v49, 7, v39
	v_cmp_ne_u32_e32 vcc_lo, 0, v13
	v_lshlrev_b32_e32 v48, 3, v48
	s_delay_alu instid0(VALU_DEP_1) | instskip(NEXT) | instid1(VALU_DEP_1)
	v_or3_b32 v38, v48, v38, v49
	v_cndmask_b32_e32 v13, 0, v38, vcc_lo
.LBB6_8878:                             ;   in Loop: Header=BB6_8618 Depth=3
	s_or_b32 exec_lo, exec_lo, s35
.LBB6_8879:                             ;   in Loop: Header=BB6_8618 Depth=3
	s_delay_alu instid0(SALU_CYCLE_1) | instskip(SKIP_3) | instid1(VALU_DEP_2)
	s_or_b32 exec_lo, exec_lo, s15
	v_lshrrev_b16 v39, 8, v14
	v_lshrrev_b16 v38, 8, v10
	s_and_b32 vcc_lo, exec_lo, s34
	v_cmp_lt_i16_e64 s14, 0x7f, v39
	s_cbranch_vccz .LBB6_8889
; %bb.8880:                             ;   in Loop: Header=BB6_8618 Depth=3
	s_mov_b32 s15, 0
                                        ; implicit-def: $sgpr35
	s_delay_alu instid0(VALU_DEP_1) | instskip(NEXT) | instid1(SALU_CYCLE_1)
	s_and_saveexec_b32 vcc_lo, s14
	s_xor_b32 s14, exec_lo, vcc_lo
	s_cbranch_execnz .LBB6_9229
; %bb.8881:                             ;   in Loop: Header=BB6_8618 Depth=3
	s_or_saveexec_b32 s14, s14
	v_mov_b32_e32 v48, s35
	s_xor_b32 exec_lo, exec_lo, s14
	s_cbranch_execnz .LBB6_9232
.LBB6_8882:                             ;   in Loop: Header=BB6_8618 Depth=3
	s_or_b32 exec_lo, exec_lo, s14
	s_and_saveexec_b32 s14, s15
	s_cbranch_execz .LBB6_8884
.LBB6_8883:                             ;   in Loop: Header=BB6_8618 Depth=3
	v_and_b32_e32 v48, 0xffff, v39
	v_lshlrev_b32_e32 v101, 16, v14
	s_delay_alu instid0(VALU_DEP_2) | instskip(NEXT) | instid1(VALU_DEP_1)
	v_and_b32_e32 v49, 7, v48
	v_clz_i32_u32_e32 v50, v49
	s_delay_alu instid0(VALU_DEP_1) | instskip(NEXT) | instid1(VALU_DEP_1)
	v_min_u32_e32 v50, 32, v50
	v_subrev_nc_u32_e32 v51, 28, v50
	v_sub_nc_u32_e32 v50, 29, v50
	s_delay_alu instid0(VALU_DEP_2) | instskip(SKIP_1) | instid1(VALU_DEP_2)
	v_lshlrev_b32_e32 v51, v51, v48
	v_bfe_u32 v48, v48, 3, 4
	v_and_b32_e32 v51, 7, v51
	s_delay_alu instid0(VALU_DEP_2) | instskip(NEXT) | instid1(VALU_DEP_2)
	v_cmp_eq_u32_e32 vcc_lo, 0, v48
	v_dual_cndmask_b32 v48, v48, v50 :: v_dual_cndmask_b32 v49, v49, v51
	v_and_b32_e32 v50, 0x80000000, v101
	s_delay_alu instid0(VALU_DEP_2) | instskip(NEXT) | instid1(VALU_DEP_3)
	v_lshl_add_u32 v48, v48, 23, 0x3b800000
	v_lshlrev_b32_e32 v49, 20, v49
	s_delay_alu instid0(VALU_DEP_1)
	v_or3_b32 v48, v50, v48, v49
.LBB6_8884:                             ;   in Loop: Header=BB6_8618 Depth=3
	s_or_b32 exec_lo, exec_lo, s14
	s_mov_b32 s14, 0
	s_mov_b32 s35, exec_lo
                                        ; implicit-def: $sgpr15
	v_cmpx_lt_i16_e32 0x7f, v38
	s_xor_b32 s35, exec_lo, s35
	s_cbranch_execnz .LBB6_9233
; %bb.8885:                             ;   in Loop: Header=BB6_8618 Depth=3
	s_or_saveexec_b32 s35, s35
	v_mov_b32_e32 v49, s15
	s_xor_b32 exec_lo, exec_lo, s35
	s_cbranch_execnz .LBB6_9236
.LBB6_8886:                             ;   in Loop: Header=BB6_8618 Depth=3
	s_or_b32 exec_lo, exec_lo, s35
	s_and_saveexec_b32 s15, s14
	s_cbranch_execz .LBB6_8888
.LBB6_8887:                             ;   in Loop: Header=BB6_8618 Depth=3
	v_and_b32_e32 v49, 0xffff, v38
	v_lshlrev_b32_e32 v102, 16, v10
	s_delay_alu instid0(VALU_DEP_2) | instskip(NEXT) | instid1(VALU_DEP_1)
	v_and_b32_e32 v50, 7, v49
	v_clz_i32_u32_e32 v51, v50
	s_delay_alu instid0(VALU_DEP_1) | instskip(NEXT) | instid1(VALU_DEP_1)
	v_min_u32_e32 v51, 32, v51
	v_subrev_nc_u32_e32 v101, 28, v51
	v_sub_nc_u32_e32 v51, 29, v51
	s_delay_alu instid0(VALU_DEP_2) | instskip(SKIP_1) | instid1(VALU_DEP_2)
	v_lshlrev_b32_e32 v101, v101, v49
	v_bfe_u32 v49, v49, 3, 4
	v_and_b32_e32 v101, 7, v101
	s_delay_alu instid0(VALU_DEP_2) | instskip(NEXT) | instid1(VALU_DEP_2)
	v_cmp_eq_u32_e32 vcc_lo, 0, v49
	v_dual_cndmask_b32 v49, v49, v51 :: v_dual_cndmask_b32 v50, v50, v101
	v_and_b32_e32 v51, 0x80000000, v102
	s_delay_alu instid0(VALU_DEP_2) | instskip(NEXT) | instid1(VALU_DEP_3)
	v_lshl_add_u32 v49, v49, 23, 0x3b800000
	v_lshlrev_b32_e32 v50, 20, v50
	s_delay_alu instid0(VALU_DEP_1)
	v_or3_b32 v49, v51, v49, v50
.LBB6_8888:                             ;   in Loop: Header=BB6_8618 Depth=3
	s_or_b32 exec_lo, exec_lo, s15
	s_delay_alu instid0(VALU_DEP_1) | instskip(SKIP_1) | instid1(VALU_DEP_1)
	v_dual_max_f32 v49, v49, v49 :: v_dual_max_f32 v48, v48, v48
	s_mov_b32 s14, 0
	v_max_f32_e32 v48, v48, v49
	s_branch .LBB6_8890
.LBB6_8889:                             ;   in Loop: Header=BB6_8618 Depth=3
	s_mov_b32 s14, -1
                                        ; implicit-def: $vgpr48
.LBB6_8890:                             ;   in Loop: Header=BB6_8618 Depth=3
	s_delay_alu instid0(SALU_CYCLE_1)
	s_and_b32 vcc_lo, exec_lo, s14
	s_cbranch_vccz .LBB6_8900
; %bb.8891:                             ;   in Loop: Header=BB6_8618 Depth=3
	s_mov_b32 s14, 0
	s_mov_b32 s35, exec_lo
                                        ; implicit-def: $sgpr15
	v_cmpx_lt_i16_e32 0x7f, v39
	s_xor_b32 s35, exec_lo, s35
	s_cbranch_execnz .LBB6_9237
; %bb.8892:                             ;   in Loop: Header=BB6_8618 Depth=3
	s_or_saveexec_b32 s35, s35
	v_mov_b32_e32 v48, s15
	s_xor_b32 exec_lo, exec_lo, s35
	s_cbranch_execnz .LBB6_9240
.LBB6_8893:                             ;   in Loop: Header=BB6_8618 Depth=3
	s_or_b32 exec_lo, exec_lo, s35
	s_and_saveexec_b32 s15, s14
	s_cbranch_execz .LBB6_8895
.LBB6_8894:                             ;   in Loop: Header=BB6_8618 Depth=3
	v_and_b32_e32 v39, 0xffff, v39
	v_lshlrev_b32_e32 v51, 16, v14
	s_delay_alu instid0(VALU_DEP_2) | instskip(NEXT) | instid1(VALU_DEP_1)
	v_and_b32_e32 v48, 7, v39
	v_clz_i32_u32_e32 v49, v48
	s_delay_alu instid0(VALU_DEP_1) | instskip(NEXT) | instid1(VALU_DEP_1)
	v_min_u32_e32 v49, 32, v49
	v_subrev_nc_u32_e32 v50, 28, v49
	v_sub_nc_u32_e32 v49, 29, v49
	s_delay_alu instid0(VALU_DEP_2) | instskip(SKIP_1) | instid1(VALU_DEP_2)
	v_lshlrev_b32_e32 v50, v50, v39
	v_bfe_u32 v39, v39, 3, 4
	v_and_b32_e32 v50, 7, v50
	s_delay_alu instid0(VALU_DEP_2) | instskip(NEXT) | instid1(VALU_DEP_2)
	v_cmp_eq_u32_e32 vcc_lo, 0, v39
	v_dual_cndmask_b32 v39, v39, v49 :: v_dual_cndmask_b32 v48, v48, v50
	v_and_b32_e32 v49, 0x80000000, v51
	s_delay_alu instid0(VALU_DEP_2) | instskip(NEXT) | instid1(VALU_DEP_3)
	v_lshl_add_u32 v39, v39, 23, 0x3b800000
	v_lshlrev_b32_e32 v48, 20, v48
	s_delay_alu instid0(VALU_DEP_1)
	v_or3_b32 v48, v49, v39, v48
.LBB6_8895:                             ;   in Loop: Header=BB6_8618 Depth=3
	s_or_b32 exec_lo, exec_lo, s15
	s_mov_b32 s14, 0
	s_mov_b32 s35, exec_lo
                                        ; implicit-def: $sgpr15
	v_cmpx_lt_i16_e32 0x7f, v38
	s_xor_b32 s35, exec_lo, s35
	s_cbranch_execnz .LBB6_9241
; %bb.8896:                             ;   in Loop: Header=BB6_8618 Depth=3
	s_or_saveexec_b32 s35, s35
	v_mov_b32_e32 v39, s15
	s_xor_b32 exec_lo, exec_lo, s35
	s_cbranch_execnz .LBB6_9244
.LBB6_8897:                             ;   in Loop: Header=BB6_8618 Depth=3
	s_or_b32 exec_lo, exec_lo, s35
	s_and_saveexec_b32 s15, s14
	s_cbranch_execz .LBB6_8899
.LBB6_8898:                             ;   in Loop: Header=BB6_8618 Depth=3
	v_and_b32_e32 v38, 0xffff, v38
	v_lshlrev_b32_e32 v51, 16, v10
	s_delay_alu instid0(VALU_DEP_2) | instskip(NEXT) | instid1(VALU_DEP_1)
	v_and_b32_e32 v39, 7, v38
	v_clz_i32_u32_e32 v49, v39
	s_delay_alu instid0(VALU_DEP_1) | instskip(NEXT) | instid1(VALU_DEP_1)
	v_min_u32_e32 v49, 32, v49
	v_subrev_nc_u32_e32 v50, 28, v49
	v_sub_nc_u32_e32 v49, 29, v49
	s_delay_alu instid0(VALU_DEP_2) | instskip(SKIP_1) | instid1(VALU_DEP_2)
	v_lshlrev_b32_e32 v50, v50, v38
	v_bfe_u32 v38, v38, 3, 4
	v_and_b32_e32 v50, 7, v50
	s_delay_alu instid0(VALU_DEP_2) | instskip(NEXT) | instid1(VALU_DEP_2)
	v_cmp_eq_u32_e32 vcc_lo, 0, v38
	v_dual_cndmask_b32 v38, v38, v49 :: v_dual_cndmask_b32 v39, v39, v50
	v_and_b32_e32 v49, 0x80000000, v51
	s_delay_alu instid0(VALU_DEP_2) | instskip(NEXT) | instid1(VALU_DEP_3)
	v_lshl_add_u32 v38, v38, 23, 0x3b800000
	v_lshlrev_b32_e32 v39, 20, v39
	s_delay_alu instid0(VALU_DEP_1)
	v_or3_b32 v39, v49, v38, v39
.LBB6_8899:                             ;   in Loop: Header=BB6_8618 Depth=3
	s_or_b32 exec_lo, exec_lo, s15
	s_delay_alu instid0(VALU_DEP_1) | instskip(NEXT) | instid1(VALU_DEP_1)
	v_dual_max_f32 v38, v39, v39 :: v_dual_max_f32 v39, v48, v48
	v_min_f32_e32 v48, v39, v38
.LBB6_8900:                             ;   in Loop: Header=BB6_8618 Depth=3
	s_delay_alu instid0(VALU_DEP_1) | instskip(NEXT) | instid1(VALU_DEP_1)
	v_and_b32_e32 v38, 0x7f800000, v48
	v_cmp_ne_u32_e32 vcc_lo, 0x7f800000, v38
	v_mov_b32_e32 v38, 0x80
	s_and_saveexec_b32 s15, vcc_lo
	s_cbranch_execz .LBB6_8908
; %bb.8901:                             ;   in Loop: Header=BB6_8618 Depth=3
	v_mov_b32_e32 v38, 0
	s_mov_b32 s35, exec_lo
	v_cmpx_ne_u32_e32 0, v48
	s_cbranch_execz .LBB6_8907
; %bb.8902:                             ;   in Loop: Header=BB6_8618 Depth=3
	v_bfe_u32 v38, v48, 23, 8
	v_and_b32_e32 v39, 0x7fffff, v48
	s_delay_alu instid0(VALU_DEP_2) | instskip(SKIP_1) | instid1(VALU_DEP_3)
	v_sub_nc_u32_e32 v49, 0x78, v38
	v_cmp_gt_u32_e32 vcc_lo, 0x79, v38
	v_or_b32_e32 v50, 0x800000, v39
	s_delay_alu instid0(VALU_DEP_3) | instskip(SKIP_2) | instid1(VALU_DEP_3)
	v_cndmask_b32_e32 v49, 0, v49, vcc_lo
	v_cmp_eq_u32_e32 vcc_lo, 0, v38
	v_add_nc_u32_e32 v38, 0xffffff89, v38
	v_cndmask_b32_e64 v49, v49, 0x77, vcc_lo
	v_cndmask_b32_e32 v39, v50, v39, vcc_lo
	s_delay_alu instid0(VALU_DEP_3) | instskip(NEXT) | instid1(VALU_DEP_3)
	v_cndmask_b32_e64 v38, v38, 0xffffff8a, vcc_lo
	v_lshl_add_u32 v50, 0x100000, v49, -1
	s_delay_alu instid0(VALU_DEP_3) | instskip(SKIP_1) | instid1(VALU_DEP_4)
	v_lshrrev_b32_e32 v51, v49, v39
	v_lshlrev_b32_e64 v102, v49, 0x80000
	v_add_nc_u32_e32 v49, v49, v38
	s_delay_alu instid0(VALU_DEP_4) | instskip(NEXT) | instid1(VALU_DEP_4)
	v_and_b32_e32 v39, v50, v39
	v_bfe_u32 v101, v51, 20, 1
	s_delay_alu instid0(VALU_DEP_2) | instskip(NEXT) | instid1(VALU_DEP_2)
	v_cmp_eq_u32_e64 s14, v39, v102
	v_add_nc_u32_e32 v50, -1, v101
	s_delay_alu instid0(VALU_DEP_1) | instskip(SKIP_2) | instid1(VALU_DEP_2)
	v_cndmask_b32_e64 v39, 0, v50, s14
	v_lshrrev_b32_e32 v50, 23, v51
	s_mov_b32 s14, exec_lo
	v_add_nc_u32_e32 v39, v39, v51
	s_delay_alu instid0(VALU_DEP_2) | instskip(NEXT) | instid1(VALU_DEP_2)
	v_xor_b32_e32 v50, 1, v50
	v_and_b32_e32 v38, 0xfffff, v39
	s_delay_alu instid0(VALU_DEP_1) | instskip(NEXT) | instid1(VALU_DEP_3)
	v_add_nc_u32_e32 v39, v38, v51
                                        ; implicit-def: $vgpr38
	v_cmpx_ne_u32_e64 v49, v50
	s_xor_b32 s14, exec_lo, s14
; %bb.8903:                             ;   in Loop: Header=BB6_8618 Depth=3
	s_delay_alu instid0(VALU_DEP_2) | instskip(SKIP_2) | instid1(VALU_DEP_2)
	v_cmp_lt_u32_e32 vcc_lo, 0xffffff, v39
	v_sub_nc_u32_e32 v38, v49, v50
	v_cndmask_b32_e64 v49, 0, 1, vcc_lo
	v_add_co_ci_u32_e32 v38, vcc_lo, 0, v38, vcc_lo
	s_delay_alu instid0(VALU_DEP_2)
	v_lshrrev_b32_e32 v39, v49, v39
; %bb.8904:                             ;   in Loop: Header=BB6_8618 Depth=3
	s_and_not1_saveexec_b32 s14, s14
; %bb.8905:                             ;   in Loop: Header=BB6_8618 Depth=3
	s_delay_alu instid0(VALU_DEP_1)
	v_bfe_u32 v38, v39, 23, 1
; %bb.8906:                             ;   in Loop: Header=BB6_8618 Depth=3
	s_or_b32 exec_lo, exec_lo, s14
	v_lshrrev_b32_e32 v39, 20, v39
	s_delay_alu instid0(VALU_DEP_2) | instskip(SKIP_2) | instid1(VALU_DEP_2)
	v_cmp_gt_i32_e32 vcc_lo, 16, v38
	v_lshrrev_b32_e32 v48, 24, v48
	v_min_i32_e32 v49, 15, v38
	v_dual_cndmask_b32 v39, 7, v39 :: v_dual_and_b32 v48, 0x80, v48
	s_delay_alu instid0(VALU_DEP_1) | instskip(SKIP_1) | instid1(VALU_DEP_2)
	v_or_b32_e32 v38, v38, v39
	v_and_b32_e32 v50, 7, v39
	v_cmp_ne_u32_e32 vcc_lo, 0, v38
	v_lshlrev_b32_e32 v49, 3, v49
	s_delay_alu instid0(VALU_DEP_1) | instskip(NEXT) | instid1(VALU_DEP_1)
	v_or3_b32 v39, v49, v48, v50
	v_cndmask_b32_e32 v38, 0, v39, vcc_lo
.LBB6_8907:                             ;   in Loop: Header=BB6_8618 Depth=3
	s_or_b32 exec_lo, exec_lo, s35
.LBB6_8908:                             ;   in Loop: Header=BB6_8618 Depth=3
	s_delay_alu instid0(SALU_CYCLE_1) | instskip(SKIP_3) | instid1(VALU_DEP_2)
	s_or_b32 exec_lo, exec_lo, s15
	v_lshrrev_b32_e32 v48, 16, v14
	v_lshrrev_b32_e32 v39, 16, v10
	s_and_b32 vcc_lo, exec_lo, s34
	v_and_b32_e32 v49, 0xff, v48
	s_delay_alu instid0(VALU_DEP_1)
	v_cmp_lt_i16_e64 s14, 0x7f, v49
	s_cbranch_vccz .LBB6_8918
; %bb.8909:                             ;   in Loop: Header=BB6_8618 Depth=3
	s_mov_b32 s15, 0
                                        ; implicit-def: $sgpr35
	s_delay_alu instid0(VALU_DEP_1) | instskip(NEXT) | instid1(SALU_CYCLE_1)
	s_and_saveexec_b32 vcc_lo, s14
	s_xor_b32 s14, exec_lo, vcc_lo
	s_cbranch_execnz .LBB6_9245
; %bb.8910:                             ;   in Loop: Header=BB6_8618 Depth=3
	s_or_saveexec_b32 s14, s14
	v_mov_b32_e32 v50, s35
	s_xor_b32 exec_lo, exec_lo, s14
	s_cbranch_execnz .LBB6_9248
.LBB6_8911:                             ;   in Loop: Header=BB6_8618 Depth=3
	s_or_b32 exec_lo, exec_lo, s14
	s_and_saveexec_b32 s14, s15
	s_cbranch_execz .LBB6_8913
.LBB6_8912:                             ;   in Loop: Header=BB6_8618 Depth=3
	v_bfe_u32 v50, v14, 16, 3
	v_bfe_u32 v102, v14, 19, 4
	s_delay_alu instid0(VALU_DEP_2) | instskip(NEXT) | instid1(VALU_DEP_2)
	v_clz_i32_u32_e32 v51, v50
	v_cmp_eq_u32_e32 vcc_lo, 0, v102
	s_delay_alu instid0(VALU_DEP_2) | instskip(NEXT) | instid1(VALU_DEP_1)
	v_min_u32_e32 v51, 32, v51
	v_subrev_nc_u32_e32 v101, 28, v51
	v_sub_nc_u32_e32 v51, 29, v51
	v_lshlrev_b32_e32 v112, 24, v48
	s_delay_alu instid0(VALU_DEP_3) | instskip(NEXT) | instid1(VALU_DEP_3)
	v_lshlrev_b32_e32 v101, v101, v48
	v_cndmask_b32_e32 v51, v102, v51, vcc_lo
	s_delay_alu instid0(VALU_DEP_2) | instskip(NEXT) | instid1(VALU_DEP_2)
	v_and_b32_e32 v101, 7, v101
	v_lshl_add_u32 v51, v51, 23, 0x3b800000
	s_delay_alu instid0(VALU_DEP_2) | instskip(NEXT) | instid1(VALU_DEP_1)
	v_dual_cndmask_b32 v50, v50, v101 :: v_dual_and_b32 v101, 0x80000000, v112
	v_lshlrev_b32_e32 v50, 20, v50
	s_delay_alu instid0(VALU_DEP_1)
	v_or3_b32 v50, v101, v51, v50
.LBB6_8913:                             ;   in Loop: Header=BB6_8618 Depth=3
	s_or_b32 exec_lo, exec_lo, s14
	v_and_b32_e32 v101, 0xff, v39
	s_mov_b32 s14, 0
	s_mov_b32 s35, exec_lo
                                        ; implicit-def: $sgpr15
	s_delay_alu instid0(VALU_DEP_1)
	v_cmpx_lt_i16_e32 0x7f, v101
	s_xor_b32 s35, exec_lo, s35
	s_cbranch_execnz .LBB6_9249
; %bb.8914:                             ;   in Loop: Header=BB6_8618 Depth=3
	s_or_saveexec_b32 s35, s35
	v_mov_b32_e32 v51, s15
	s_xor_b32 exec_lo, exec_lo, s35
	s_cbranch_execnz .LBB6_9252
.LBB6_8915:                             ;   in Loop: Header=BB6_8618 Depth=3
	s_or_b32 exec_lo, exec_lo, s35
	s_and_saveexec_b32 s15, s14
	s_cbranch_execz .LBB6_8917
.LBB6_8916:                             ;   in Loop: Header=BB6_8618 Depth=3
	v_bfe_u32 v51, v10, 16, 3
	v_bfe_u32 v112, v10, 19, 4
	v_lshlrev_b32_e32 v113, 24, v39
	s_delay_alu instid0(VALU_DEP_3) | instskip(NEXT) | instid1(VALU_DEP_3)
	v_clz_i32_u32_e32 v101, v51
	v_cmp_eq_u32_e32 vcc_lo, 0, v112
	s_delay_alu instid0(VALU_DEP_2) | instskip(NEXT) | instid1(VALU_DEP_1)
	v_min_u32_e32 v101, 32, v101
	v_subrev_nc_u32_e32 v102, 28, v101
	v_sub_nc_u32_e32 v101, 29, v101
	s_delay_alu instid0(VALU_DEP_1) | instskip(NEXT) | instid1(VALU_DEP_1)
	v_dual_cndmask_b32 v101, v112, v101 :: v_dual_lshlrev_b32 v102, v102, v39
	v_and_b32_e32 v102, 7, v102
	s_delay_alu instid0(VALU_DEP_2) | instskip(NEXT) | instid1(VALU_DEP_2)
	v_lshl_add_u32 v101, v101, 23, 0x3b800000
	v_dual_cndmask_b32 v51, v51, v102 :: v_dual_and_b32 v102, 0x80000000, v113
	s_delay_alu instid0(VALU_DEP_1) | instskip(NEXT) | instid1(VALU_DEP_1)
	v_lshlrev_b32_e32 v51, 20, v51
	v_or3_b32 v51, v102, v101, v51
.LBB6_8917:                             ;   in Loop: Header=BB6_8618 Depth=3
	s_or_b32 exec_lo, exec_lo, s15
	s_delay_alu instid0(VALU_DEP_1) | instskip(SKIP_1) | instid1(VALU_DEP_1)
	v_dual_max_f32 v51, v51, v51 :: v_dual_max_f32 v50, v50, v50
	s_mov_b32 s14, 0
	v_max_f32_e32 v50, v50, v51
	s_branch .LBB6_8919
.LBB6_8918:                             ;   in Loop: Header=BB6_8618 Depth=3
	s_mov_b32 s14, -1
                                        ; implicit-def: $vgpr50
.LBB6_8919:                             ;   in Loop: Header=BB6_8618 Depth=3
	s_delay_alu instid0(SALU_CYCLE_1)
	s_and_b32 vcc_lo, exec_lo, s14
	s_cbranch_vccz .LBB6_8929
; %bb.8920:                             ;   in Loop: Header=BB6_8618 Depth=3
	s_mov_b32 s14, 0
	s_mov_b32 s35, exec_lo
                                        ; implicit-def: $sgpr15
	v_cmpx_lt_i16_e32 0x7f, v49
	s_xor_b32 s35, exec_lo, s35
	s_cbranch_execnz .LBB6_9253
; %bb.8921:                             ;   in Loop: Header=BB6_8618 Depth=3
	s_or_saveexec_b32 s35, s35
	v_mov_b32_e32 v50, s15
	s_xor_b32 exec_lo, exec_lo, s35
	s_cbranch_execnz .LBB6_9256
.LBB6_8922:                             ;   in Loop: Header=BB6_8618 Depth=3
	s_or_b32 exec_lo, exec_lo, s35
	s_and_saveexec_b32 s15, s14
	s_cbranch_execz .LBB6_8924
.LBB6_8923:                             ;   in Loop: Header=BB6_8618 Depth=3
	v_bfe_u32 v49, v14, 16, 3
	v_bfe_u32 v101, v14, 19, 4
	s_delay_alu instid0(VALU_DEP_2) | instskip(NEXT) | instid1(VALU_DEP_2)
	v_clz_i32_u32_e32 v50, v49
	v_cmp_eq_u32_e32 vcc_lo, 0, v101
	s_delay_alu instid0(VALU_DEP_2) | instskip(NEXT) | instid1(VALU_DEP_1)
	v_min_u32_e32 v50, 32, v50
	v_subrev_nc_u32_e32 v51, 28, v50
	v_sub_nc_u32_e32 v50, 29, v50
	s_delay_alu instid0(VALU_DEP_1) | instskip(NEXT) | instid1(VALU_DEP_1)
	v_dual_cndmask_b32 v50, v101, v50 :: v_dual_lshlrev_b32 v51, v51, v48
	v_and_b32_e32 v51, 7, v51
	v_lshlrev_b32_e32 v48, 24, v48
	s_delay_alu instid0(VALU_DEP_3) | instskip(NEXT) | instid1(VALU_DEP_2)
	v_lshl_add_u32 v50, v50, 23, 0x3b800000
	v_dual_cndmask_b32 v49, v49, v51 :: v_dual_and_b32 v48, 0x80000000, v48
	s_delay_alu instid0(VALU_DEP_1) | instskip(NEXT) | instid1(VALU_DEP_1)
	v_lshlrev_b32_e32 v49, 20, v49
	v_or3_b32 v50, v48, v50, v49
.LBB6_8924:                             ;   in Loop: Header=BB6_8618 Depth=3
	s_or_b32 exec_lo, exec_lo, s15
	v_and_b32_e32 v49, 0xff, v39
	s_mov_b32 s14, 0
	s_mov_b32 s35, exec_lo
                                        ; implicit-def: $sgpr15
	s_delay_alu instid0(VALU_DEP_1)
	v_cmpx_lt_i16_e32 0x7f, v49
	s_xor_b32 s35, exec_lo, s35
	s_cbranch_execnz .LBB6_9257
; %bb.8925:                             ;   in Loop: Header=BB6_8618 Depth=3
	s_or_saveexec_b32 s35, s35
	v_mov_b32_e32 v48, s15
	s_xor_b32 exec_lo, exec_lo, s35
	s_cbranch_execnz .LBB6_9260
.LBB6_8926:                             ;   in Loop: Header=BB6_8618 Depth=3
	s_or_b32 exec_lo, exec_lo, s35
	s_and_saveexec_b32 s15, s14
	s_cbranch_execz .LBB6_8928
.LBB6_8927:                             ;   in Loop: Header=BB6_8618 Depth=3
	v_bfe_u32 v48, v10, 16, 3
	v_bfe_u32 v101, v10, 19, 4
	s_delay_alu instid0(VALU_DEP_2) | instskip(NEXT) | instid1(VALU_DEP_2)
	v_clz_i32_u32_e32 v49, v48
	v_cmp_eq_u32_e32 vcc_lo, 0, v101
	s_delay_alu instid0(VALU_DEP_2) | instskip(NEXT) | instid1(VALU_DEP_1)
	v_min_u32_e32 v49, 32, v49
	v_subrev_nc_u32_e32 v51, 28, v49
	v_sub_nc_u32_e32 v49, 29, v49
	s_delay_alu instid0(VALU_DEP_2) | instskip(SKIP_1) | instid1(VALU_DEP_2)
	v_lshlrev_b32_e32 v51, v51, v39
	v_lshlrev_b32_e32 v39, 24, v39
	v_and_b32_e32 v51, 7, v51
	s_delay_alu instid0(VALU_DEP_4) | instskip(NEXT) | instid1(VALU_DEP_3)
	v_cndmask_b32_e32 v49, v101, v49, vcc_lo
	v_and_b32_e32 v39, 0x80000000, v39
	s_delay_alu instid0(VALU_DEP_3) | instskip(NEXT) | instid1(VALU_DEP_3)
	v_cndmask_b32_e32 v48, v48, v51, vcc_lo
	v_lshl_add_u32 v49, v49, 23, 0x3b800000
	s_delay_alu instid0(VALU_DEP_2) | instskip(NEXT) | instid1(VALU_DEP_1)
	v_lshlrev_b32_e32 v48, 20, v48
	v_or3_b32 v48, v39, v49, v48
.LBB6_8928:                             ;   in Loop: Header=BB6_8618 Depth=3
	s_or_b32 exec_lo, exec_lo, s15
	s_delay_alu instid0(VALU_DEP_1) | instskip(NEXT) | instid1(VALU_DEP_1)
	v_dual_max_f32 v39, v48, v48 :: v_dual_max_f32 v48, v50, v50
	v_min_f32_e32 v50, v48, v39
.LBB6_8929:                             ;   in Loop: Header=BB6_8618 Depth=3
	s_delay_alu instid0(VALU_DEP_1) | instskip(NEXT) | instid1(VALU_DEP_1)
	v_and_b32_e32 v39, 0x7f800000, v50
	v_cmp_ne_u32_e32 vcc_lo, 0x7f800000, v39
	v_mov_b32_e32 v39, 0x80
	s_and_saveexec_b32 s15, vcc_lo
	s_cbranch_execz .LBB6_8937
; %bb.8930:                             ;   in Loop: Header=BB6_8618 Depth=3
	v_mov_b32_e32 v39, 0
	s_mov_b32 s35, exec_lo
	v_cmpx_ne_u32_e32 0, v50
	s_cbranch_execz .LBB6_8936
; %bb.8931:                             ;   in Loop: Header=BB6_8618 Depth=3
	v_bfe_u32 v39, v50, 23, 8
	s_delay_alu instid0(VALU_DEP_1) | instskip(SKIP_1) | instid1(VALU_DEP_2)
	v_sub_nc_u32_e32 v49, 0x78, v39
	v_cmp_gt_u32_e32 vcc_lo, 0x79, v39
	v_dual_cndmask_b32 v49, 0, v49 :: v_dual_and_b32 v48, 0x7fffff, v50
	s_delay_alu instid0(VALU_DEP_1) | instskip(SKIP_2) | instid1(VALU_DEP_4)
	v_or_b32_e32 v51, 0x800000, v48
	v_cmp_eq_u32_e32 vcc_lo, 0, v39
	v_add_nc_u32_e32 v39, 0xffffff89, v39
	v_cndmask_b32_e64 v49, v49, 0x77, vcc_lo
	s_delay_alu instid0(VALU_DEP_4) | instskip(NEXT) | instid1(VALU_DEP_3)
	v_cndmask_b32_e32 v48, v51, v48, vcc_lo
	v_cndmask_b32_e64 v39, v39, 0xffffff8a, vcc_lo
	s_delay_alu instid0(VALU_DEP_3) | instskip(NEXT) | instid1(VALU_DEP_3)
	v_lshl_add_u32 v51, 0x100000, v49, -1
	v_lshrrev_b32_e32 v101, v49, v48
	v_lshlrev_b32_e64 v112, v49, 0x80000
	s_delay_alu instid0(VALU_DEP_4) | instskip(NEXT) | instid1(VALU_DEP_4)
	v_add_nc_u32_e32 v49, v49, v39
	v_and_b32_e32 v48, v51, v48
	s_delay_alu instid0(VALU_DEP_4) | instskip(NEXT) | instid1(VALU_DEP_2)
	v_bfe_u32 v102, v101, 20, 1
	v_cmp_eq_u32_e64 s14, v48, v112
	s_delay_alu instid0(VALU_DEP_2) | instskip(NEXT) | instid1(VALU_DEP_1)
	v_add_nc_u32_e32 v51, -1, v102
	v_cndmask_b32_e64 v48, 0, v51, s14
	v_lshrrev_b32_e32 v51, 23, v101
	s_mov_b32 s14, exec_lo
	s_delay_alu instid0(VALU_DEP_2) | instskip(NEXT) | instid1(VALU_DEP_2)
	v_add_nc_u32_e32 v48, v48, v101
	v_xor_b32_e32 v51, 1, v51
	s_delay_alu instid0(VALU_DEP_2) | instskip(NEXT) | instid1(VALU_DEP_1)
	v_and_b32_e32 v39, 0xfffff, v48
	v_add_nc_u32_e32 v48, v39, v101
                                        ; implicit-def: $vgpr39
	s_delay_alu instid0(VALU_DEP_3)
	v_cmpx_ne_u32_e64 v49, v51
	s_xor_b32 s14, exec_lo, s14
; %bb.8932:                             ;   in Loop: Header=BB6_8618 Depth=3
	s_delay_alu instid0(VALU_DEP_2) | instskip(SKIP_2) | instid1(VALU_DEP_2)
	v_cmp_lt_u32_e32 vcc_lo, 0xffffff, v48
	v_sub_nc_u32_e32 v39, v49, v51
	v_cndmask_b32_e64 v49, 0, 1, vcc_lo
	v_add_co_ci_u32_e32 v39, vcc_lo, 0, v39, vcc_lo
	s_delay_alu instid0(VALU_DEP_2)
	v_lshrrev_b32_e32 v48, v49, v48
; %bb.8933:                             ;   in Loop: Header=BB6_8618 Depth=3
	s_and_not1_saveexec_b32 s14, s14
; %bb.8934:                             ;   in Loop: Header=BB6_8618 Depth=3
	s_delay_alu instid0(VALU_DEP_1)
	v_bfe_u32 v39, v48, 23, 1
; %bb.8935:                             ;   in Loop: Header=BB6_8618 Depth=3
	s_or_b32 exec_lo, exec_lo, s14
	v_lshrrev_b32_e32 v48, 20, v48
	s_delay_alu instid0(VALU_DEP_2) | instskip(SKIP_2) | instid1(VALU_DEP_2)
	v_cmp_gt_i32_e32 vcc_lo, 16, v39
	v_lshrrev_b32_e32 v49, 24, v50
	v_min_i32_e32 v50, 15, v39
	v_dual_cndmask_b32 v48, 7, v48 :: v_dual_and_b32 v49, 0x80, v49
	s_delay_alu instid0(VALU_DEP_1) | instskip(SKIP_1) | instid1(VALU_DEP_2)
	v_or_b32_e32 v39, v39, v48
	v_and_b32_e32 v51, 7, v48
	v_cmp_ne_u32_e32 vcc_lo, 0, v39
	v_lshlrev_b32_e32 v50, 3, v50
	s_delay_alu instid0(VALU_DEP_1) | instskip(NEXT) | instid1(VALU_DEP_1)
	v_or3_b32 v48, v50, v49, v51
	v_cndmask_b32_e32 v39, 0, v48, vcc_lo
.LBB6_8936:                             ;   in Loop: Header=BB6_8618 Depth=3
	s_or_b32 exec_lo, exec_lo, s35
.LBB6_8937:                             ;   in Loop: Header=BB6_8618 Depth=3
	s_delay_alu instid0(SALU_CYCLE_1) | instskip(SKIP_3) | instid1(VALU_DEP_2)
	s_or_b32 exec_lo, exec_lo, s15
	v_lshrrev_b32_e32 v49, 24, v14
	v_lshrrev_b32_e32 v48, 24, v10
	s_and_b32 vcc_lo, exec_lo, s34
	v_cmp_lt_i16_e64 s14, 0x7f, v49
	s_cbranch_vccz .LBB6_8947
; %bb.8938:                             ;   in Loop: Header=BB6_8618 Depth=3
	s_mov_b32 s15, 0
                                        ; implicit-def: $sgpr35
	s_delay_alu instid0(VALU_DEP_1) | instskip(NEXT) | instid1(SALU_CYCLE_1)
	s_and_saveexec_b32 vcc_lo, s14
	s_xor_b32 s14, exec_lo, vcc_lo
	s_cbranch_execnz .LBB6_9261
; %bb.8939:                             ;   in Loop: Header=BB6_8618 Depth=3
	s_or_saveexec_b32 s14, s14
	v_mov_b32_e32 v50, s35
	s_xor_b32 exec_lo, exec_lo, s14
	s_cbranch_execnz .LBB6_9264
.LBB6_8940:                             ;   in Loop: Header=BB6_8618 Depth=3
	s_or_b32 exec_lo, exec_lo, s14
	s_and_saveexec_b32 s14, s15
	s_cbranch_execz .LBB6_8942
.LBB6_8941:                             ;   in Loop: Header=BB6_8618 Depth=3
	v_bfe_u32 v50, v14, 24, 3
	v_bfe_u32 v102, v14, 27, 4
	s_delay_alu instid0(VALU_DEP_2) | instskip(NEXT) | instid1(VALU_DEP_2)
	v_clz_i32_u32_e32 v51, v50
	v_cmp_eq_u32_e32 vcc_lo, 0, v102
	s_delay_alu instid0(VALU_DEP_2) | instskip(NEXT) | instid1(VALU_DEP_1)
	v_min_u32_e32 v51, 32, v51
	v_subrev_nc_u32_e32 v101, 28, v51
	v_sub_nc_u32_e32 v51, 29, v51
	s_delay_alu instid0(VALU_DEP_2) | instskip(NEXT) | instid1(VALU_DEP_1)
	v_lshlrev_b32_e32 v101, v101, v49
	v_and_b32_e32 v101, 7, v101
	s_delay_alu instid0(VALU_DEP_1) | instskip(NEXT) | instid1(VALU_DEP_1)
	v_dual_cndmask_b32 v50, v50, v101 :: v_dual_and_b32 v101, 0x80000000, v14
	v_dual_cndmask_b32 v51, v102, v51 :: v_dual_lshlrev_b32 v50, 20, v50
	s_delay_alu instid0(VALU_DEP_1) | instskip(NEXT) | instid1(VALU_DEP_1)
	v_lshl_add_u32 v51, v51, 23, 0x3b800000
	v_or3_b32 v50, v101, v51, v50
.LBB6_8942:                             ;   in Loop: Header=BB6_8618 Depth=3
	s_or_b32 exec_lo, exec_lo, s14
	s_mov_b32 s14, 0
	s_mov_b32 s35, exec_lo
                                        ; implicit-def: $sgpr15
	v_cmpx_lt_i16_e32 0x7f, v48
	s_xor_b32 s35, exec_lo, s35
	s_cbranch_execnz .LBB6_9265
; %bb.8943:                             ;   in Loop: Header=BB6_8618 Depth=3
	s_or_saveexec_b32 s35, s35
	v_mov_b32_e32 v51, s15
	s_xor_b32 exec_lo, exec_lo, s35
	s_cbranch_execnz .LBB6_9268
.LBB6_8944:                             ;   in Loop: Header=BB6_8618 Depth=3
	s_or_b32 exec_lo, exec_lo, s35
	s_and_saveexec_b32 s15, s14
	s_cbranch_execz .LBB6_8946
.LBB6_8945:                             ;   in Loop: Header=BB6_8618 Depth=3
	v_bfe_u32 v51, v10, 24, 3
	v_bfe_u32 v112, v10, 27, 4
	s_delay_alu instid0(VALU_DEP_2) | instskip(NEXT) | instid1(VALU_DEP_2)
	v_clz_i32_u32_e32 v101, v51
	v_cmp_eq_u32_e32 vcc_lo, 0, v112
	s_delay_alu instid0(VALU_DEP_2) | instskip(NEXT) | instid1(VALU_DEP_1)
	v_min_u32_e32 v101, 32, v101
	v_subrev_nc_u32_e32 v102, 28, v101
	v_sub_nc_u32_e32 v101, 29, v101
	s_delay_alu instid0(VALU_DEP_1) | instskip(NEXT) | instid1(VALU_DEP_1)
	v_dual_cndmask_b32 v101, v112, v101 :: v_dual_lshlrev_b32 v102, v102, v48
	v_and_b32_e32 v102, 7, v102
	s_delay_alu instid0(VALU_DEP_2) | instskip(NEXT) | instid1(VALU_DEP_2)
	v_lshl_add_u32 v101, v101, 23, 0x3b800000
	v_cndmask_b32_e32 v51, v51, v102, vcc_lo
	v_and_b32_e32 v102, 0x80000000, v10
	s_delay_alu instid0(VALU_DEP_2) | instskip(NEXT) | instid1(VALU_DEP_1)
	v_lshlrev_b32_e32 v51, 20, v51
	v_or3_b32 v51, v102, v101, v51
.LBB6_8946:                             ;   in Loop: Header=BB6_8618 Depth=3
	s_or_b32 exec_lo, exec_lo, s15
	s_delay_alu instid0(VALU_DEP_1) | instskip(SKIP_1) | instid1(VALU_DEP_1)
	v_dual_max_f32 v51, v51, v51 :: v_dual_max_f32 v50, v50, v50
	s_mov_b32 s14, 0
	v_max_f32_e32 v50, v50, v51
	s_branch .LBB6_8948
.LBB6_8947:                             ;   in Loop: Header=BB6_8618 Depth=3
	s_mov_b32 s14, -1
                                        ; implicit-def: $vgpr50
.LBB6_8948:                             ;   in Loop: Header=BB6_8618 Depth=3
	s_delay_alu instid0(SALU_CYCLE_1)
	s_and_b32 vcc_lo, exec_lo, s14
	s_cbranch_vccz .LBB6_8958
; %bb.8949:                             ;   in Loop: Header=BB6_8618 Depth=3
	s_mov_b32 s14, 0
	s_mov_b32 s35, exec_lo
                                        ; implicit-def: $sgpr15
	v_cmpx_lt_i16_e32 0x7f, v49
	s_xor_b32 s35, exec_lo, s35
	s_cbranch_execnz .LBB6_9269
; %bb.8950:                             ;   in Loop: Header=BB6_8618 Depth=3
	s_or_saveexec_b32 s35, s35
	v_mov_b32_e32 v50, s15
	s_xor_b32 exec_lo, exec_lo, s35
	s_cbranch_execnz .LBB6_9272
.LBB6_8951:                             ;   in Loop: Header=BB6_8618 Depth=3
	s_or_b32 exec_lo, exec_lo, s35
	s_and_saveexec_b32 s15, s14
	s_cbranch_execz .LBB6_8953
.LBB6_8952:                             ;   in Loop: Header=BB6_8618 Depth=3
	v_bfe_u32 v50, v14, 24, 3
	s_delay_alu instid0(VALU_DEP_1) | instskip(NEXT) | instid1(VALU_DEP_1)
	v_clz_i32_u32_e32 v51, v50
	v_min_u32_e32 v51, 32, v51
	s_delay_alu instid0(VALU_DEP_1) | instskip(SKIP_1) | instid1(VALU_DEP_2)
	v_subrev_nc_u32_e32 v101, 28, v51
	v_sub_nc_u32_e32 v51, 29, v51
	v_lshlrev_b32_e32 v49, v101, v49
	v_bfe_u32 v101, v14, 27, 4
	v_and_b32_e32 v14, 0x80000000, v14
	s_delay_alu instid0(VALU_DEP_3) | instskip(NEXT) | instid1(VALU_DEP_3)
	v_and_b32_e32 v49, 7, v49
	v_cmp_eq_u32_e32 vcc_lo, 0, v101
	v_cndmask_b32_e32 v51, v101, v51, vcc_lo
	s_delay_alu instid0(VALU_DEP_3) | instskip(NEXT) | instid1(VALU_DEP_2)
	v_cndmask_b32_e32 v49, v50, v49, vcc_lo
	v_lshl_add_u32 v50, v51, 23, 0x3b800000
	s_delay_alu instid0(VALU_DEP_2) | instskip(NEXT) | instid1(VALU_DEP_1)
	v_lshlrev_b32_e32 v49, 20, v49
	v_or3_b32 v50, v14, v50, v49
.LBB6_8953:                             ;   in Loop: Header=BB6_8618 Depth=3
	s_or_b32 exec_lo, exec_lo, s15
	s_mov_b32 s14, 0
	s_mov_b32 s35, exec_lo
                                        ; implicit-def: $sgpr15
	v_cmpx_lt_i16_e32 0x7f, v48
	s_xor_b32 s35, exec_lo, s35
	s_cbranch_execnz .LBB6_9273
; %bb.8954:                             ;   in Loop: Header=BB6_8618 Depth=3
	s_or_saveexec_b32 s35, s35
	v_mov_b32_e32 v14, s15
	s_xor_b32 exec_lo, exec_lo, s35
	s_cbranch_execnz .LBB6_9276
.LBB6_8955:                             ;   in Loop: Header=BB6_8618 Depth=3
	s_or_b32 exec_lo, exec_lo, s35
	s_and_saveexec_b32 s15, s14
	s_cbranch_execz .LBB6_8957
.LBB6_8956:                             ;   in Loop: Header=BB6_8618 Depth=3
	v_bfe_u32 v14, v10, 24, 3
	s_delay_alu instid0(VALU_DEP_1) | instskip(NEXT) | instid1(VALU_DEP_1)
	v_clz_i32_u32_e32 v49, v14
	v_min_u32_e32 v49, 32, v49
	s_delay_alu instid0(VALU_DEP_1) | instskip(SKIP_1) | instid1(VALU_DEP_2)
	v_subrev_nc_u32_e32 v51, 28, v49
	v_sub_nc_u32_e32 v49, 29, v49
	v_lshlrev_b32_e32 v48, v51, v48
	v_bfe_u32 v51, v10, 27, 4
	v_and_b32_e32 v10, 0x80000000, v10
	s_delay_alu instid0(VALU_DEP_2) | instskip(NEXT) | instid1(VALU_DEP_4)
	v_cmp_eq_u32_e32 vcc_lo, 0, v51
	v_dual_cndmask_b32 v49, v51, v49 :: v_dual_and_b32 v48, 7, v48
	s_delay_alu instid0(VALU_DEP_1) | instskip(NEXT) | instid1(VALU_DEP_2)
	v_cndmask_b32_e32 v14, v14, v48, vcc_lo
	v_lshl_add_u32 v48, v49, 23, 0x3b800000
	s_delay_alu instid0(VALU_DEP_2) | instskip(NEXT) | instid1(VALU_DEP_1)
	v_lshlrev_b32_e32 v14, 20, v14
	v_or3_b32 v14, v10, v48, v14
.LBB6_8957:                             ;   in Loop: Header=BB6_8618 Depth=3
	s_or_b32 exec_lo, exec_lo, s15
	s_delay_alu instid0(VALU_DEP_1) | instskip(SKIP_1) | instid1(VALU_DEP_1)
	v_max_f32_e32 v10, v14, v14
	v_max_f32_e32 v14, v50, v50
	v_min_f32_e32 v50, v14, v10
.LBB6_8958:                             ;   in Loop: Header=BB6_8618 Depth=3
	s_delay_alu instid0(VALU_DEP_1) | instskip(NEXT) | instid1(VALU_DEP_1)
	v_and_b32_e32 v10, 0x7f800000, v50
	v_cmp_ne_u32_e32 vcc_lo, 0x7f800000, v10
	v_mov_b32_e32 v10, 0x80
	s_and_saveexec_b32 s15, vcc_lo
	s_cbranch_execz .LBB6_8966
; %bb.8959:                             ;   in Loop: Header=BB6_8618 Depth=3
	v_mov_b32_e32 v10, 0
	s_mov_b32 s35, exec_lo
	v_cmpx_ne_u32_e32 0, v50
	s_cbranch_execz .LBB6_8965
; %bb.8960:                             ;   in Loop: Header=BB6_8618 Depth=3
	v_bfe_u32 v10, v50, 23, 8
	v_and_b32_e32 v14, 0x7fffff, v50
	s_delay_alu instid0(VALU_DEP_2) | instskip(SKIP_1) | instid1(VALU_DEP_3)
	v_sub_nc_u32_e32 v48, 0x78, v10
	v_cmp_gt_u32_e32 vcc_lo, 0x79, v10
	v_or_b32_e32 v49, 0x800000, v14
	s_delay_alu instid0(VALU_DEP_3) | instskip(SKIP_2) | instid1(VALU_DEP_3)
	v_cndmask_b32_e32 v48, 0, v48, vcc_lo
	v_cmp_eq_u32_e32 vcc_lo, 0, v10
	v_add_nc_u32_e32 v10, 0xffffff89, v10
	v_cndmask_b32_e64 v48, v48, 0x77, vcc_lo
	v_cndmask_b32_e32 v14, v49, v14, vcc_lo
	s_delay_alu instid0(VALU_DEP_3) | instskip(NEXT) | instid1(VALU_DEP_3)
	v_cndmask_b32_e64 v10, v10, 0xffffff8a, vcc_lo
	v_lshl_add_u32 v49, 0x100000, v48, -1
	s_delay_alu instid0(VALU_DEP_3) | instskip(SKIP_1) | instid1(VALU_DEP_4)
	v_lshrrev_b32_e32 v51, v48, v14
	v_lshlrev_b32_e64 v102, v48, 0x80000
	v_add_nc_u32_e32 v48, v48, v10
	s_delay_alu instid0(VALU_DEP_4) | instskip(NEXT) | instid1(VALU_DEP_4)
	v_and_b32_e32 v14, v49, v14
	v_bfe_u32 v101, v51, 20, 1
	s_delay_alu instid0(VALU_DEP_2) | instskip(NEXT) | instid1(VALU_DEP_2)
	v_cmp_eq_u32_e64 s14, v14, v102
	v_add_nc_u32_e32 v49, -1, v101
	s_delay_alu instid0(VALU_DEP_1) | instskip(SKIP_2) | instid1(VALU_DEP_2)
	v_cndmask_b32_e64 v14, 0, v49, s14
	v_lshrrev_b32_e32 v49, 23, v51
	s_mov_b32 s14, exec_lo
	v_add_nc_u32_e32 v14, v14, v51
	s_delay_alu instid0(VALU_DEP_2) | instskip(NEXT) | instid1(VALU_DEP_2)
	v_xor_b32_e32 v49, 1, v49
	v_and_b32_e32 v10, 0xfffff, v14
	s_delay_alu instid0(VALU_DEP_1) | instskip(NEXT) | instid1(VALU_DEP_3)
	v_add_nc_u32_e32 v14, v10, v51
                                        ; implicit-def: $vgpr10
	v_cmpx_ne_u32_e64 v48, v49
	s_xor_b32 s14, exec_lo, s14
; %bb.8961:                             ;   in Loop: Header=BB6_8618 Depth=3
	s_delay_alu instid0(VALU_DEP_2) | instskip(SKIP_2) | instid1(VALU_DEP_2)
	v_cmp_lt_u32_e32 vcc_lo, 0xffffff, v14
	v_sub_nc_u32_e32 v10, v48, v49
	v_cndmask_b32_e64 v48, 0, 1, vcc_lo
	v_add_co_ci_u32_e32 v10, vcc_lo, 0, v10, vcc_lo
	s_delay_alu instid0(VALU_DEP_2)
	v_lshrrev_b32_e32 v14, v48, v14
; %bb.8962:                             ;   in Loop: Header=BB6_8618 Depth=3
	s_and_not1_saveexec_b32 s14, s14
; %bb.8963:                             ;   in Loop: Header=BB6_8618 Depth=3
	s_delay_alu instid0(VALU_DEP_1)
	v_bfe_u32 v10, v14, 23, 1
; %bb.8964:                             ;   in Loop: Header=BB6_8618 Depth=3
	s_or_b32 exec_lo, exec_lo, s14
	v_lshrrev_b32_e32 v14, 20, v14
	s_delay_alu instid0(VALU_DEP_2) | instskip(SKIP_2) | instid1(VALU_DEP_4)
	v_cmp_gt_i32_e32 vcc_lo, 16, v10
	v_lshrrev_b32_e32 v48, 24, v50
	v_min_i32_e32 v49, 15, v10
	v_cndmask_b32_e32 v14, 7, v14, vcc_lo
	s_delay_alu instid0(VALU_DEP_3) | instskip(NEXT) | instid1(VALU_DEP_3)
	v_and_b32_e32 v48, 0x80, v48
	v_lshlrev_b32_e32 v49, 3, v49
	s_delay_alu instid0(VALU_DEP_3) | instskip(SKIP_1) | instid1(VALU_DEP_2)
	v_and_b32_e32 v50, 7, v14
	v_or_b32_e32 v10, v10, v14
	v_or3_b32 v14, v49, v48, v50
	s_delay_alu instid0(VALU_DEP_2) | instskip(NEXT) | instid1(VALU_DEP_2)
	v_cmp_ne_u32_e32 vcc_lo, 0, v10
	v_cndmask_b32_e32 v10, 0, v14, vcc_lo
.LBB6_8965:                             ;   in Loop: Header=BB6_8618 Depth=3
	s_or_b32 exec_lo, exec_lo, s35
.LBB6_8966:                             ;   in Loop: Header=BB6_8618 Depth=3
	s_delay_alu instid0(SALU_CYCLE_1) | instskip(SKIP_2) | instid1(VALU_DEP_1)
	s_or_b32 exec_lo, exec_lo, s15
	v_and_b32_e32 v14, 0xff, v15
	s_and_b32 vcc_lo, exec_lo, s34
	v_cmp_lt_i16_e64 s14, 0x7f, v14
	s_cbranch_vccz .LBB6_8976
; %bb.8967:                             ;   in Loop: Header=BB6_8618 Depth=3
	s_mov_b32 s15, 0
                                        ; implicit-def: $sgpr35
	s_delay_alu instid0(VALU_DEP_1) | instskip(NEXT) | instid1(SALU_CYCLE_1)
	s_and_saveexec_b32 vcc_lo, s14
	s_xor_b32 s14, exec_lo, vcc_lo
	s_cbranch_execnz .LBB6_9277
; %bb.8968:                             ;   in Loop: Header=BB6_8618 Depth=3
	s_or_saveexec_b32 s14, s14
	v_mov_b32_e32 v48, s35
	s_xor_b32 exec_lo, exec_lo, s14
	s_cbranch_execnz .LBB6_9280
.LBB6_8969:                             ;   in Loop: Header=BB6_8618 Depth=3
	s_or_b32 exec_lo, exec_lo, s14
	s_and_saveexec_b32 s14, s15
	s_cbranch_execz .LBB6_8971
.LBB6_8970:                             ;   in Loop: Header=BB6_8618 Depth=3
	v_bfe_u32 v51, v15, 3, 4
	s_delay_alu instid0(VALU_DEP_1) | instskip(SKIP_1) | instid1(VALU_DEP_1)
	v_cmp_eq_u32_e32 vcc_lo, 0, v51
	v_and_b32_e32 v48, 7, v15
	v_clz_i32_u32_e32 v49, v48
	s_delay_alu instid0(VALU_DEP_1) | instskip(NEXT) | instid1(VALU_DEP_1)
	v_min_u32_e32 v49, 32, v49
	v_subrev_nc_u32_e32 v50, 28, v49
	v_sub_nc_u32_e32 v49, 29, v49
	s_delay_alu instid0(VALU_DEP_1) | instskip(NEXT) | instid1(VALU_DEP_1)
	v_dual_cndmask_b32 v49, v51, v49 :: v_dual_lshlrev_b32 v50, v50, v15
	v_and_b32_e32 v50, 7, v50
	v_lshlrev_b32_e32 v101, 24, v15
	s_delay_alu instid0(VALU_DEP_3) | instskip(NEXT) | instid1(VALU_DEP_3)
	v_lshl_add_u32 v49, v49, 23, 0x3b800000
	v_cndmask_b32_e32 v48, v48, v50, vcc_lo
	s_delay_alu instid0(VALU_DEP_3) | instskip(NEXT) | instid1(VALU_DEP_2)
	v_and_b32_e32 v50, 0x80000000, v101
	v_lshlrev_b32_e32 v48, 20, v48
	s_delay_alu instid0(VALU_DEP_1)
	v_or3_b32 v48, v50, v49, v48
.LBB6_8971:                             ;   in Loop: Header=BB6_8618 Depth=3
	s_or_b32 exec_lo, exec_lo, s14
	v_and_b32_e32 v50, 0xff, v11
	s_mov_b32 s14, 0
	s_mov_b32 s35, exec_lo
                                        ; implicit-def: $sgpr15
	s_delay_alu instid0(VALU_DEP_1)
	v_cmpx_lt_i16_e32 0x7f, v50
	s_xor_b32 s35, exec_lo, s35
	s_cbranch_execnz .LBB6_9281
; %bb.8972:                             ;   in Loop: Header=BB6_8618 Depth=3
	s_or_saveexec_b32 s35, s35
	v_mov_b32_e32 v49, s15
	s_xor_b32 exec_lo, exec_lo, s35
	s_cbranch_execnz .LBB6_9284
.LBB6_8973:                             ;   in Loop: Header=BB6_8618 Depth=3
	s_or_b32 exec_lo, exec_lo, s35
	s_and_saveexec_b32 s15, s14
	s_cbranch_execz .LBB6_8975
.LBB6_8974:                             ;   in Loop: Header=BB6_8618 Depth=3
	v_bfe_u32 v101, v11, 3, 4
	v_lshlrev_b32_e32 v102, 24, v11
	s_delay_alu instid0(VALU_DEP_2) | instskip(SKIP_1) | instid1(VALU_DEP_1)
	v_cmp_eq_u32_e32 vcc_lo, 0, v101
	v_and_b32_e32 v49, 7, v11
	v_clz_i32_u32_e32 v50, v49
	s_delay_alu instid0(VALU_DEP_1) | instskip(NEXT) | instid1(VALU_DEP_1)
	v_min_u32_e32 v50, 32, v50
	v_subrev_nc_u32_e32 v51, 28, v50
	v_sub_nc_u32_e32 v50, 29, v50
	s_delay_alu instid0(VALU_DEP_1) | instskip(NEXT) | instid1(VALU_DEP_1)
	v_dual_cndmask_b32 v50, v101, v50 :: v_dual_lshlrev_b32 v51, v51, v11
	v_and_b32_e32 v51, 7, v51
	s_delay_alu instid0(VALU_DEP_2) | instskip(NEXT) | instid1(VALU_DEP_2)
	v_lshl_add_u32 v50, v50, 23, 0x3b800000
	v_cndmask_b32_e32 v49, v49, v51, vcc_lo
	v_and_b32_e32 v51, 0x80000000, v102
	s_delay_alu instid0(VALU_DEP_2) | instskip(NEXT) | instid1(VALU_DEP_1)
	v_lshlrev_b32_e32 v49, 20, v49
	v_or3_b32 v49, v51, v50, v49
.LBB6_8975:                             ;   in Loop: Header=BB6_8618 Depth=3
	s_or_b32 exec_lo, exec_lo, s15
	s_delay_alu instid0(VALU_DEP_1) | instskip(SKIP_1) | instid1(VALU_DEP_1)
	v_dual_max_f32 v49, v49, v49 :: v_dual_max_f32 v48, v48, v48
	s_mov_b32 s14, 0
	v_max_f32_e32 v48, v48, v49
	s_branch .LBB6_8977
.LBB6_8976:                             ;   in Loop: Header=BB6_8618 Depth=3
	s_mov_b32 s14, -1
                                        ; implicit-def: $vgpr48
.LBB6_8977:                             ;   in Loop: Header=BB6_8618 Depth=3
	s_delay_alu instid0(SALU_CYCLE_1)
	s_and_b32 vcc_lo, exec_lo, s14
	s_cbranch_vccz .LBB6_8987
; %bb.8978:                             ;   in Loop: Header=BB6_8618 Depth=3
	s_mov_b32 s14, 0
	s_mov_b32 s35, exec_lo
                                        ; implicit-def: $sgpr15
	v_cmpx_lt_i16_e32 0x7f, v14
	s_xor_b32 s35, exec_lo, s35
	s_cbranch_execnz .LBB6_9285
; %bb.8979:                             ;   in Loop: Header=BB6_8618 Depth=3
	s_or_saveexec_b32 s35, s35
	v_mov_b32_e32 v48, s15
	s_xor_b32 exec_lo, exec_lo, s35
	s_cbranch_execnz .LBB6_9288
.LBB6_8980:                             ;   in Loop: Header=BB6_8618 Depth=3
	s_or_b32 exec_lo, exec_lo, s35
	s_and_saveexec_b32 s15, s14
	s_cbranch_execz .LBB6_8982
.LBB6_8981:                             ;   in Loop: Header=BB6_8618 Depth=3
	v_and_b32_e32 v14, 7, v15
	v_bfe_u32 v50, v15, 3, 4
	s_delay_alu instid0(VALU_DEP_2) | instskip(NEXT) | instid1(VALU_DEP_2)
	v_clz_i32_u32_e32 v48, v14
	v_cmp_eq_u32_e32 vcc_lo, 0, v50
	s_delay_alu instid0(VALU_DEP_2) | instskip(NEXT) | instid1(VALU_DEP_1)
	v_min_u32_e32 v48, 32, v48
	v_subrev_nc_u32_e32 v49, 28, v48
	v_sub_nc_u32_e32 v48, 29, v48
	s_delay_alu instid0(VALU_DEP_1) | instskip(NEXT) | instid1(VALU_DEP_1)
	v_dual_cndmask_b32 v48, v50, v48 :: v_dual_lshlrev_b32 v49, v49, v15
	v_and_b32_e32 v49, 7, v49
	v_lshlrev_b32_e32 v51, 24, v15
	s_delay_alu instid0(VALU_DEP_3) | instskip(NEXT) | instid1(VALU_DEP_2)
	v_lshl_add_u32 v48, v48, 23, 0x3b800000
	v_dual_cndmask_b32 v14, v14, v49 :: v_dual_and_b32 v49, 0x80000000, v51
	s_delay_alu instid0(VALU_DEP_1) | instskip(NEXT) | instid1(VALU_DEP_1)
	v_lshlrev_b32_e32 v14, 20, v14
	v_or3_b32 v48, v49, v48, v14
.LBB6_8982:                             ;   in Loop: Header=BB6_8618 Depth=3
	s_or_b32 exec_lo, exec_lo, s15
	v_and_b32_e32 v49, 0xff, v11
	s_mov_b32 s14, 0
	s_mov_b32 s35, exec_lo
                                        ; implicit-def: $sgpr15
	s_delay_alu instid0(VALU_DEP_1)
	v_cmpx_lt_i16_e32 0x7f, v49
	s_xor_b32 s35, exec_lo, s35
	s_cbranch_execnz .LBB6_9289
; %bb.8983:                             ;   in Loop: Header=BB6_8618 Depth=3
	s_or_saveexec_b32 s35, s35
	v_mov_b32_e32 v14, s15
	s_xor_b32 exec_lo, exec_lo, s35
	s_cbranch_execnz .LBB6_9292
.LBB6_8984:                             ;   in Loop: Header=BB6_8618 Depth=3
	s_or_b32 exec_lo, exec_lo, s35
	s_and_saveexec_b32 s15, s14
	s_cbranch_execz .LBB6_8986
.LBB6_8985:                             ;   in Loop: Header=BB6_8618 Depth=3
	v_bfe_u32 v51, v11, 3, 4
	s_delay_alu instid0(VALU_DEP_1) | instskip(SKIP_1) | instid1(VALU_DEP_1)
	v_cmp_eq_u32_e32 vcc_lo, 0, v51
	v_and_b32_e32 v14, 7, v11
	v_clz_i32_u32_e32 v49, v14
	s_delay_alu instid0(VALU_DEP_1) | instskip(NEXT) | instid1(VALU_DEP_1)
	v_min_u32_e32 v49, 32, v49
	v_subrev_nc_u32_e32 v50, 28, v49
	v_sub_nc_u32_e32 v49, 29, v49
	s_delay_alu instid0(VALU_DEP_1) | instskip(NEXT) | instid1(VALU_DEP_1)
	v_dual_cndmask_b32 v49, v51, v49 :: v_dual_lshlrev_b32 v50, v50, v11
	v_and_b32_e32 v50, 7, v50
	v_lshlrev_b32_e32 v101, 24, v11
	s_delay_alu instid0(VALU_DEP_3) | instskip(NEXT) | instid1(VALU_DEP_3)
	v_lshl_add_u32 v49, v49, 23, 0x3b800000
	v_cndmask_b32_e32 v14, v14, v50, vcc_lo
	s_delay_alu instid0(VALU_DEP_3) | instskip(NEXT) | instid1(VALU_DEP_2)
	v_and_b32_e32 v50, 0x80000000, v101
	v_lshlrev_b32_e32 v14, 20, v14
	s_delay_alu instid0(VALU_DEP_1)
	v_or3_b32 v14, v50, v49, v14
.LBB6_8986:                             ;   in Loop: Header=BB6_8618 Depth=3
	s_or_b32 exec_lo, exec_lo, s15
	s_delay_alu instid0(VALU_DEP_1) | instskip(SKIP_1) | instid1(VALU_DEP_1)
	v_max_f32_e32 v14, v14, v14
	v_max_f32_e32 v48, v48, v48
	v_min_f32_e32 v48, v48, v14
.LBB6_8987:                             ;   in Loop: Header=BB6_8618 Depth=3
	s_delay_alu instid0(VALU_DEP_1) | instskip(NEXT) | instid1(VALU_DEP_1)
	v_and_b32_e32 v14, 0x7f800000, v48
	v_cmp_ne_u32_e32 vcc_lo, 0x7f800000, v14
	v_mov_b32_e32 v14, 0x80
	s_and_saveexec_b32 s15, vcc_lo
	s_cbranch_execz .LBB6_8995
; %bb.8988:                             ;   in Loop: Header=BB6_8618 Depth=3
	v_mov_b32_e32 v14, 0
	s_mov_b32 s35, exec_lo
	v_cmpx_ne_u32_e32 0, v48
	s_cbranch_execz .LBB6_8994
; %bb.8989:                             ;   in Loop: Header=BB6_8618 Depth=3
	v_bfe_u32 v14, v48, 23, 8
	s_delay_alu instid0(VALU_DEP_1) | instskip(SKIP_1) | instid1(VALU_DEP_2)
	v_sub_nc_u32_e32 v50, 0x78, v14
	v_cmp_gt_u32_e32 vcc_lo, 0x79, v14
	v_dual_cndmask_b32 v50, 0, v50 :: v_dual_and_b32 v49, 0x7fffff, v48
	s_delay_alu instid0(VALU_DEP_1) | instskip(SKIP_2) | instid1(VALU_DEP_4)
	v_or_b32_e32 v51, 0x800000, v49
	v_cmp_eq_u32_e32 vcc_lo, 0, v14
	v_add_nc_u32_e32 v14, 0xffffff89, v14
	v_cndmask_b32_e64 v50, v50, 0x77, vcc_lo
	s_delay_alu instid0(VALU_DEP_4) | instskip(NEXT) | instid1(VALU_DEP_3)
	v_cndmask_b32_e32 v49, v51, v49, vcc_lo
	v_cndmask_b32_e64 v14, v14, 0xffffff8a, vcc_lo
	s_delay_alu instid0(VALU_DEP_3) | instskip(NEXT) | instid1(VALU_DEP_3)
	v_lshl_add_u32 v51, 0x100000, v50, -1
	v_lshrrev_b32_e32 v101, v50, v49
	v_lshlrev_b32_e64 v112, v50, 0x80000
	s_delay_alu instid0(VALU_DEP_4) | instskip(NEXT) | instid1(VALU_DEP_4)
	v_add_nc_u32_e32 v50, v50, v14
	v_and_b32_e32 v49, v51, v49
	s_delay_alu instid0(VALU_DEP_4) | instskip(NEXT) | instid1(VALU_DEP_2)
	v_bfe_u32 v102, v101, 20, 1
	v_cmp_eq_u32_e64 s14, v49, v112
	s_delay_alu instid0(VALU_DEP_2) | instskip(NEXT) | instid1(VALU_DEP_1)
	v_add_nc_u32_e32 v51, -1, v102
	v_cndmask_b32_e64 v49, 0, v51, s14
	v_lshrrev_b32_e32 v51, 23, v101
	s_mov_b32 s14, exec_lo
	s_delay_alu instid0(VALU_DEP_2) | instskip(NEXT) | instid1(VALU_DEP_2)
	v_add_nc_u32_e32 v49, v49, v101
	v_xor_b32_e32 v51, 1, v51
	s_delay_alu instid0(VALU_DEP_2) | instskip(NEXT) | instid1(VALU_DEP_1)
	v_and_b32_e32 v14, 0xfffff, v49
	v_add_nc_u32_e32 v49, v14, v101
                                        ; implicit-def: $vgpr14
	s_delay_alu instid0(VALU_DEP_3)
	v_cmpx_ne_u32_e64 v50, v51
	s_xor_b32 s14, exec_lo, s14
; %bb.8990:                             ;   in Loop: Header=BB6_8618 Depth=3
	s_delay_alu instid0(VALU_DEP_2) | instskip(SKIP_2) | instid1(VALU_DEP_2)
	v_cmp_lt_u32_e32 vcc_lo, 0xffffff, v49
	v_sub_nc_u32_e32 v14, v50, v51
	v_cndmask_b32_e64 v50, 0, 1, vcc_lo
	v_add_co_ci_u32_e32 v14, vcc_lo, 0, v14, vcc_lo
	s_delay_alu instid0(VALU_DEP_2)
	v_lshrrev_b32_e32 v49, v50, v49
; %bb.8991:                             ;   in Loop: Header=BB6_8618 Depth=3
	s_and_not1_saveexec_b32 s14, s14
; %bb.8992:                             ;   in Loop: Header=BB6_8618 Depth=3
	s_delay_alu instid0(VALU_DEP_1)
	v_bfe_u32 v14, v49, 23, 1
; %bb.8993:                             ;   in Loop: Header=BB6_8618 Depth=3
	s_or_b32 exec_lo, exec_lo, s14
	v_lshrrev_b32_e32 v49, 20, v49
	s_delay_alu instid0(VALU_DEP_2) | instskip(SKIP_2) | instid1(VALU_DEP_2)
	v_cmp_gt_i32_e32 vcc_lo, 16, v14
	v_lshrrev_b32_e32 v48, 24, v48
	v_min_i32_e32 v50, 15, v14
	v_dual_cndmask_b32 v49, 7, v49 :: v_dual_and_b32 v48, 0x80, v48
	s_delay_alu instid0(VALU_DEP_2) | instskip(NEXT) | instid1(VALU_DEP_2)
	v_lshlrev_b32_e32 v50, 3, v50
	v_or_b32_e32 v14, v14, v49
	s_delay_alu instid0(VALU_DEP_1) | instskip(SKIP_1) | instid1(VALU_DEP_1)
	v_cmp_ne_u32_e32 vcc_lo, 0, v14
	v_and_b32_e32 v51, 7, v49
	v_or3_b32 v48, v50, v48, v51
	s_delay_alu instid0(VALU_DEP_1)
	v_cndmask_b32_e32 v14, 0, v48, vcc_lo
.LBB6_8994:                             ;   in Loop: Header=BB6_8618 Depth=3
	s_or_b32 exec_lo, exec_lo, s35
.LBB6_8995:                             ;   in Loop: Header=BB6_8618 Depth=3
	s_delay_alu instid0(SALU_CYCLE_1) | instskip(SKIP_3) | instid1(VALU_DEP_2)
	s_or_b32 exec_lo, exec_lo, s15
	v_lshrrev_b16 v49, 8, v15
	v_lshrrev_b16 v48, 8, v11
	s_and_b32 vcc_lo, exec_lo, s34
	v_cmp_lt_i16_e64 s14, 0x7f, v49
	s_cbranch_vccz .LBB6_9005
; %bb.8996:                             ;   in Loop: Header=BB6_8618 Depth=3
	s_mov_b32 s15, 0
                                        ; implicit-def: $sgpr35
	s_delay_alu instid0(VALU_DEP_1) | instskip(NEXT) | instid1(SALU_CYCLE_1)
	s_and_saveexec_b32 vcc_lo, s14
	s_xor_b32 s14, exec_lo, vcc_lo
	s_cbranch_execnz .LBB6_9293
; %bb.8997:                             ;   in Loop: Header=BB6_8618 Depth=3
	s_or_saveexec_b32 s14, s14
	v_mov_b32_e32 v50, s35
	s_xor_b32 exec_lo, exec_lo, s14
	s_cbranch_execnz .LBB6_9296
.LBB6_8998:                             ;   in Loop: Header=BB6_8618 Depth=3
	s_or_b32 exec_lo, exec_lo, s14
	s_and_saveexec_b32 s14, s15
	s_cbranch_execz .LBB6_9000
.LBB6_8999:                             ;   in Loop: Header=BB6_8618 Depth=3
	v_and_b32_e32 v50, 0xffff, v49
	v_lshlrev_b32_e32 v112, 16, v15
	s_delay_alu instid0(VALU_DEP_2) | instskip(NEXT) | instid1(VALU_DEP_1)
	v_and_b32_e32 v51, 7, v50
	v_clz_i32_u32_e32 v101, v51
	s_delay_alu instid0(VALU_DEP_1) | instskip(NEXT) | instid1(VALU_DEP_1)
	v_min_u32_e32 v101, 32, v101
	v_subrev_nc_u32_e32 v102, 28, v101
	v_sub_nc_u32_e32 v101, 29, v101
	s_delay_alu instid0(VALU_DEP_2) | instskip(SKIP_1) | instid1(VALU_DEP_2)
	v_lshlrev_b32_e32 v102, v102, v50
	v_bfe_u32 v50, v50, 3, 4
	v_and_b32_e32 v102, 7, v102
	s_delay_alu instid0(VALU_DEP_2) | instskip(NEXT) | instid1(VALU_DEP_2)
	v_cmp_eq_u32_e32 vcc_lo, 0, v50
	v_dual_cndmask_b32 v50, v50, v101 :: v_dual_cndmask_b32 v51, v51, v102
	v_and_b32_e32 v101, 0x80000000, v112
	s_delay_alu instid0(VALU_DEP_2) | instskip(NEXT) | instid1(VALU_DEP_3)
	v_lshl_add_u32 v50, v50, 23, 0x3b800000
	v_lshlrev_b32_e32 v51, 20, v51
	s_delay_alu instid0(VALU_DEP_1)
	v_or3_b32 v50, v101, v50, v51
.LBB6_9000:                             ;   in Loop: Header=BB6_8618 Depth=3
	s_or_b32 exec_lo, exec_lo, s14
	s_mov_b32 s14, 0
	s_mov_b32 s35, exec_lo
                                        ; implicit-def: $sgpr15
	v_cmpx_lt_i16_e32 0x7f, v48
	s_xor_b32 s35, exec_lo, s35
	s_cbranch_execnz .LBB6_9297
; %bb.9001:                             ;   in Loop: Header=BB6_8618 Depth=3
	s_or_saveexec_b32 s35, s35
	v_mov_b32_e32 v51, s15
	s_xor_b32 exec_lo, exec_lo, s35
	s_cbranch_execnz .LBB6_9300
.LBB6_9002:                             ;   in Loop: Header=BB6_8618 Depth=3
	s_or_b32 exec_lo, exec_lo, s35
	s_and_saveexec_b32 s15, s14
	s_cbranch_execz .LBB6_9004
.LBB6_9003:                             ;   in Loop: Header=BB6_8618 Depth=3
	v_and_b32_e32 v51, 0xffff, v48
	v_lshlrev_b32_e32 v113, 16, v11
	s_delay_alu instid0(VALU_DEP_2) | instskip(NEXT) | instid1(VALU_DEP_1)
	v_and_b32_e32 v101, 7, v51
	v_clz_i32_u32_e32 v102, v101
	s_delay_alu instid0(VALU_DEP_1) | instskip(NEXT) | instid1(VALU_DEP_1)
	v_min_u32_e32 v102, 32, v102
	v_subrev_nc_u32_e32 v112, 28, v102
	v_sub_nc_u32_e32 v102, 29, v102
	s_delay_alu instid0(VALU_DEP_2) | instskip(SKIP_1) | instid1(VALU_DEP_1)
	v_lshlrev_b32_e32 v112, v112, v51
	v_bfe_u32 v51, v51, 3, 4
	v_cmp_eq_u32_e32 vcc_lo, 0, v51
	s_delay_alu instid0(VALU_DEP_3) | instskip(SKIP_1) | instid1(VALU_DEP_2)
	v_dual_cndmask_b32 v51, v51, v102 :: v_dual_and_b32 v112, 7, v112
	v_and_b32_e32 v102, 0x80000000, v113
	v_lshl_add_u32 v51, v51, 23, 0x3b800000
	s_delay_alu instid0(VALU_DEP_3) | instskip(NEXT) | instid1(VALU_DEP_1)
	v_cndmask_b32_e32 v101, v101, v112, vcc_lo
	v_lshlrev_b32_e32 v101, 20, v101
	s_delay_alu instid0(VALU_DEP_1)
	v_or3_b32 v51, v102, v51, v101
.LBB6_9004:                             ;   in Loop: Header=BB6_8618 Depth=3
	s_or_b32 exec_lo, exec_lo, s15
	s_delay_alu instid0(VALU_DEP_1) | instskip(SKIP_1) | instid1(VALU_DEP_1)
	v_dual_max_f32 v51, v51, v51 :: v_dual_max_f32 v50, v50, v50
	s_mov_b32 s14, 0
	v_max_f32_e32 v50, v50, v51
	s_branch .LBB6_9006
.LBB6_9005:                             ;   in Loop: Header=BB6_8618 Depth=3
	s_mov_b32 s14, -1
                                        ; implicit-def: $vgpr50
.LBB6_9006:                             ;   in Loop: Header=BB6_8618 Depth=3
	s_delay_alu instid0(SALU_CYCLE_1)
	s_and_b32 vcc_lo, exec_lo, s14
	s_cbranch_vccz .LBB6_9016
; %bb.9007:                             ;   in Loop: Header=BB6_8618 Depth=3
	s_mov_b32 s14, 0
	s_mov_b32 s35, exec_lo
                                        ; implicit-def: $sgpr15
	v_cmpx_lt_i16_e32 0x7f, v49
	s_xor_b32 s35, exec_lo, s35
	s_cbranch_execnz .LBB6_9301
; %bb.9008:                             ;   in Loop: Header=BB6_8618 Depth=3
	s_or_saveexec_b32 s35, s35
	v_mov_b32_e32 v50, s15
	s_xor_b32 exec_lo, exec_lo, s35
	s_cbranch_execnz .LBB6_9304
.LBB6_9009:                             ;   in Loop: Header=BB6_8618 Depth=3
	s_or_b32 exec_lo, exec_lo, s35
	s_and_saveexec_b32 s15, s14
	s_cbranch_execz .LBB6_9011
.LBB6_9010:                             ;   in Loop: Header=BB6_8618 Depth=3
	v_and_b32_e32 v49, 0xffff, v49
	v_lshlrev_b32_e32 v102, 16, v15
	s_delay_alu instid0(VALU_DEP_2) | instskip(NEXT) | instid1(VALU_DEP_1)
	v_and_b32_e32 v50, 7, v49
	v_clz_i32_u32_e32 v51, v50
	s_delay_alu instid0(VALU_DEP_1) | instskip(NEXT) | instid1(VALU_DEP_1)
	v_min_u32_e32 v51, 32, v51
	v_subrev_nc_u32_e32 v101, 28, v51
	v_sub_nc_u32_e32 v51, 29, v51
	s_delay_alu instid0(VALU_DEP_2) | instskip(SKIP_1) | instid1(VALU_DEP_2)
	v_lshlrev_b32_e32 v101, v101, v49
	v_bfe_u32 v49, v49, 3, 4
	v_and_b32_e32 v101, 7, v101
	s_delay_alu instid0(VALU_DEP_2) | instskip(NEXT) | instid1(VALU_DEP_2)
	v_cmp_eq_u32_e32 vcc_lo, 0, v49
	v_dual_cndmask_b32 v49, v49, v51 :: v_dual_cndmask_b32 v50, v50, v101
	v_and_b32_e32 v51, 0x80000000, v102
	s_delay_alu instid0(VALU_DEP_2) | instskip(NEXT) | instid1(VALU_DEP_3)
	v_lshl_add_u32 v49, v49, 23, 0x3b800000
	v_lshlrev_b32_e32 v50, 20, v50
	s_delay_alu instid0(VALU_DEP_1)
	v_or3_b32 v50, v51, v49, v50
.LBB6_9011:                             ;   in Loop: Header=BB6_8618 Depth=3
	s_or_b32 exec_lo, exec_lo, s15
	s_mov_b32 s14, 0
	s_mov_b32 s35, exec_lo
                                        ; implicit-def: $sgpr15
	v_cmpx_lt_i16_e32 0x7f, v48
	s_xor_b32 s35, exec_lo, s35
	s_cbranch_execnz .LBB6_9305
; %bb.9012:                             ;   in Loop: Header=BB6_8618 Depth=3
	s_or_saveexec_b32 s35, s35
	v_mov_b32_e32 v49, s15
	s_xor_b32 exec_lo, exec_lo, s35
	s_cbranch_execnz .LBB6_9308
.LBB6_9013:                             ;   in Loop: Header=BB6_8618 Depth=3
	s_or_b32 exec_lo, exec_lo, s35
	s_and_saveexec_b32 s15, s14
	s_cbranch_execz .LBB6_9015
.LBB6_9014:                             ;   in Loop: Header=BB6_8618 Depth=3
	v_and_b32_e32 v48, 0xffff, v48
	v_lshlrev_b32_e32 v102, 16, v11
	s_delay_alu instid0(VALU_DEP_2) | instskip(NEXT) | instid1(VALU_DEP_1)
	v_and_b32_e32 v49, 7, v48
	v_clz_i32_u32_e32 v51, v49
	s_delay_alu instid0(VALU_DEP_1) | instskip(NEXT) | instid1(VALU_DEP_1)
	v_min_u32_e32 v51, 32, v51
	v_subrev_nc_u32_e32 v101, 28, v51
	v_sub_nc_u32_e32 v51, 29, v51
	s_delay_alu instid0(VALU_DEP_2) | instskip(SKIP_1) | instid1(VALU_DEP_2)
	v_lshlrev_b32_e32 v101, v101, v48
	v_bfe_u32 v48, v48, 3, 4
	v_and_b32_e32 v101, 7, v101
	s_delay_alu instid0(VALU_DEP_2) | instskip(NEXT) | instid1(VALU_DEP_2)
	v_cmp_eq_u32_e32 vcc_lo, 0, v48
	v_dual_cndmask_b32 v48, v48, v51 :: v_dual_cndmask_b32 v49, v49, v101
	v_and_b32_e32 v51, 0x80000000, v102
	s_delay_alu instid0(VALU_DEP_2) | instskip(NEXT) | instid1(VALU_DEP_3)
	v_lshl_add_u32 v48, v48, 23, 0x3b800000
	v_lshlrev_b32_e32 v49, 20, v49
	s_delay_alu instid0(VALU_DEP_1)
	v_or3_b32 v49, v51, v48, v49
.LBB6_9015:                             ;   in Loop: Header=BB6_8618 Depth=3
	s_or_b32 exec_lo, exec_lo, s15
	s_delay_alu instid0(VALU_DEP_1) | instskip(NEXT) | instid1(VALU_DEP_1)
	v_dual_max_f32 v48, v49, v49 :: v_dual_max_f32 v49, v50, v50
	v_min_f32_e32 v50, v49, v48
.LBB6_9016:                             ;   in Loop: Header=BB6_8618 Depth=3
	s_delay_alu instid0(VALU_DEP_1) | instskip(NEXT) | instid1(VALU_DEP_1)
	v_and_b32_e32 v48, 0x7f800000, v50
	v_cmp_ne_u32_e32 vcc_lo, 0x7f800000, v48
	v_mov_b32_e32 v48, 0x80
	s_and_saveexec_b32 s15, vcc_lo
	s_cbranch_execz .LBB6_9024
; %bb.9017:                             ;   in Loop: Header=BB6_8618 Depth=3
	v_mov_b32_e32 v48, 0
	s_mov_b32 s35, exec_lo
	v_cmpx_ne_u32_e32 0, v50
	s_cbranch_execz .LBB6_9023
; %bb.9018:                             ;   in Loop: Header=BB6_8618 Depth=3
	v_bfe_u32 v48, v50, 23, 8
	v_and_b32_e32 v49, 0x7fffff, v50
	s_delay_alu instid0(VALU_DEP_2) | instskip(SKIP_1) | instid1(VALU_DEP_3)
	v_sub_nc_u32_e32 v51, 0x78, v48
	v_cmp_gt_u32_e32 vcc_lo, 0x79, v48
	v_or_b32_e32 v101, 0x800000, v49
	s_delay_alu instid0(VALU_DEP_3) | instskip(SKIP_2) | instid1(VALU_DEP_3)
	v_cndmask_b32_e32 v51, 0, v51, vcc_lo
	v_cmp_eq_u32_e32 vcc_lo, 0, v48
	v_add_nc_u32_e32 v48, 0xffffff89, v48
	v_cndmask_b32_e64 v51, v51, 0x77, vcc_lo
	v_cndmask_b32_e32 v49, v101, v49, vcc_lo
	s_delay_alu instid0(VALU_DEP_3) | instskip(NEXT) | instid1(VALU_DEP_3)
	v_cndmask_b32_e64 v48, v48, 0xffffff8a, vcc_lo
	v_lshl_add_u32 v101, 0x100000, v51, -1
	s_delay_alu instid0(VALU_DEP_3) | instskip(SKIP_1) | instid1(VALU_DEP_4)
	v_lshrrev_b32_e32 v102, v51, v49
	v_lshlrev_b32_e64 v113, v51, 0x80000
	v_add_nc_u32_e32 v51, v51, v48
	s_delay_alu instid0(VALU_DEP_4) | instskip(NEXT) | instid1(VALU_DEP_4)
	v_and_b32_e32 v49, v101, v49
	v_bfe_u32 v112, v102, 20, 1
	s_delay_alu instid0(VALU_DEP_2) | instskip(NEXT) | instid1(VALU_DEP_2)
	v_cmp_eq_u32_e64 s14, v49, v113
	v_add_nc_u32_e32 v101, -1, v112
	s_delay_alu instid0(VALU_DEP_1) | instskip(SKIP_2) | instid1(VALU_DEP_2)
	v_cndmask_b32_e64 v49, 0, v101, s14
	v_lshrrev_b32_e32 v101, 23, v102
	s_mov_b32 s14, exec_lo
	v_add_nc_u32_e32 v49, v49, v102
	s_delay_alu instid0(VALU_DEP_2) | instskip(NEXT) | instid1(VALU_DEP_2)
	v_xor_b32_e32 v101, 1, v101
	v_and_b32_e32 v48, 0xfffff, v49
	s_delay_alu instid0(VALU_DEP_1) | instskip(NEXT) | instid1(VALU_DEP_3)
	v_add_nc_u32_e32 v49, v48, v102
                                        ; implicit-def: $vgpr48
	v_cmpx_ne_u32_e64 v51, v101
	s_xor_b32 s14, exec_lo, s14
; %bb.9019:                             ;   in Loop: Header=BB6_8618 Depth=3
	s_delay_alu instid0(VALU_DEP_2) | instskip(SKIP_2) | instid1(VALU_DEP_2)
	v_cmp_lt_u32_e32 vcc_lo, 0xffffff, v49
	v_sub_nc_u32_e32 v48, v51, v101
	v_cndmask_b32_e64 v51, 0, 1, vcc_lo
	v_add_co_ci_u32_e32 v48, vcc_lo, 0, v48, vcc_lo
	s_delay_alu instid0(VALU_DEP_2)
	v_lshrrev_b32_e32 v49, v51, v49
; %bb.9020:                             ;   in Loop: Header=BB6_8618 Depth=3
	s_and_not1_saveexec_b32 s14, s14
; %bb.9021:                             ;   in Loop: Header=BB6_8618 Depth=3
	s_delay_alu instid0(VALU_DEP_1)
	v_bfe_u32 v48, v49, 23, 1
; %bb.9022:                             ;   in Loop: Header=BB6_8618 Depth=3
	s_or_b32 exec_lo, exec_lo, s14
	v_lshrrev_b32_e32 v49, 20, v49
	s_delay_alu instid0(VALU_DEP_2) | instskip(SKIP_2) | instid1(VALU_DEP_2)
	v_cmp_gt_i32_e32 vcc_lo, 16, v48
	v_lshrrev_b32_e32 v50, 24, v50
	v_min_i32_e32 v51, 15, v48
	v_dual_cndmask_b32 v49, 7, v49 :: v_dual_and_b32 v50, 0x80, v50
	s_delay_alu instid0(VALU_DEP_1) | instskip(SKIP_1) | instid1(VALU_DEP_2)
	v_or_b32_e32 v48, v48, v49
	v_and_b32_e32 v101, 7, v49
	v_cmp_ne_u32_e32 vcc_lo, 0, v48
	v_lshlrev_b32_e32 v51, 3, v51
	s_delay_alu instid0(VALU_DEP_1) | instskip(NEXT) | instid1(VALU_DEP_1)
	v_or3_b32 v49, v51, v50, v101
	v_cndmask_b32_e32 v48, 0, v49, vcc_lo
.LBB6_9023:                             ;   in Loop: Header=BB6_8618 Depth=3
	s_or_b32 exec_lo, exec_lo, s35
.LBB6_9024:                             ;   in Loop: Header=BB6_8618 Depth=3
	s_delay_alu instid0(SALU_CYCLE_1) | instskip(SKIP_3) | instid1(VALU_DEP_2)
	s_or_b32 exec_lo, exec_lo, s15
	v_lshrrev_b32_e32 v50, 16, v15
	v_lshrrev_b32_e32 v49, 16, v11
	s_and_b32 vcc_lo, exec_lo, s34
	v_and_b32_e32 v51, 0xff, v50
	s_delay_alu instid0(VALU_DEP_1)
	v_cmp_lt_i16_e64 s14, 0x7f, v51
	s_cbranch_vccz .LBB6_9034
; %bb.9025:                             ;   in Loop: Header=BB6_8618 Depth=3
	s_mov_b32 s15, 0
                                        ; implicit-def: $sgpr35
	s_delay_alu instid0(VALU_DEP_1) | instskip(NEXT) | instid1(SALU_CYCLE_1)
	s_and_saveexec_b32 vcc_lo, s14
	s_xor_b32 s14, exec_lo, vcc_lo
	s_cbranch_execnz .LBB6_9309
; %bb.9026:                             ;   in Loop: Header=BB6_8618 Depth=3
	s_or_saveexec_b32 s14, s14
	v_mov_b32_e32 v101, s35
	s_xor_b32 exec_lo, exec_lo, s14
	s_cbranch_execnz .LBB6_9312
.LBB6_9027:                             ;   in Loop: Header=BB6_8618 Depth=3
	s_or_b32 exec_lo, exec_lo, s14
	s_and_saveexec_b32 s14, s15
	s_cbranch_execz .LBB6_9029
.LBB6_9028:                             ;   in Loop: Header=BB6_8618 Depth=3
	v_bfe_u32 v101, v15, 16, 3
	v_bfe_u32 v113, v15, 19, 4
	s_delay_alu instid0(VALU_DEP_2) | instskip(NEXT) | instid1(VALU_DEP_2)
	v_clz_i32_u32_e32 v102, v101
	v_cmp_eq_u32_e32 vcc_lo, 0, v113
	s_delay_alu instid0(VALU_DEP_2) | instskip(NEXT) | instid1(VALU_DEP_1)
	v_min_u32_e32 v102, 32, v102
	v_subrev_nc_u32_e32 v112, 28, v102
	v_sub_nc_u32_e32 v102, 29, v102
	s_delay_alu instid0(VALU_DEP_2) | instskip(NEXT) | instid1(VALU_DEP_1)
	v_lshlrev_b32_e32 v112, v112, v50
	v_and_b32_e32 v112, 7, v112
	s_delay_alu instid0(VALU_DEP_1) | instskip(NEXT) | instid1(VALU_DEP_4)
	v_dual_cndmask_b32 v101, v101, v112 :: v_dual_lshlrev_b32 v114, 24, v50
	v_cndmask_b32_e32 v102, v113, v102, vcc_lo
	s_delay_alu instid0(VALU_DEP_2) | instskip(NEXT) | instid1(VALU_DEP_3)
	v_and_b32_e32 v112, 0x80000000, v114
	v_lshlrev_b32_e32 v101, 20, v101
	s_delay_alu instid0(VALU_DEP_3) | instskip(NEXT) | instid1(VALU_DEP_1)
	v_lshl_add_u32 v102, v102, 23, 0x3b800000
	v_or3_b32 v101, v112, v102, v101
.LBB6_9029:                             ;   in Loop: Header=BB6_8618 Depth=3
	s_or_b32 exec_lo, exec_lo, s14
	v_and_b32_e32 v112, 0xff, v49
	s_mov_b32 s14, 0
	s_mov_b32 s35, exec_lo
                                        ; implicit-def: $sgpr15
	s_delay_alu instid0(VALU_DEP_1)
	v_cmpx_lt_i16_e32 0x7f, v112
	s_xor_b32 s35, exec_lo, s35
	s_cbranch_execnz .LBB6_9313
; %bb.9030:                             ;   in Loop: Header=BB6_8618 Depth=3
	s_or_saveexec_b32 s35, s35
	v_mov_b32_e32 v102, s15
	s_xor_b32 exec_lo, exec_lo, s35
	s_cbranch_execnz .LBB6_9316
.LBB6_9031:                             ;   in Loop: Header=BB6_8618 Depth=3
	s_or_b32 exec_lo, exec_lo, s35
	s_and_saveexec_b32 s15, s14
	s_cbranch_execz .LBB6_9033
.LBB6_9032:                             ;   in Loop: Header=BB6_8618 Depth=3
	v_bfe_u32 v102, v11, 16, 3
	v_bfe_u32 v114, v11, 19, 4
	v_lshlrev_b32_e32 v115, 24, v49
	s_delay_alu instid0(VALU_DEP_3) | instskip(NEXT) | instid1(VALU_DEP_3)
	v_clz_i32_u32_e32 v112, v102
	v_cmp_eq_u32_e32 vcc_lo, 0, v114
	s_delay_alu instid0(VALU_DEP_2) | instskip(NEXT) | instid1(VALU_DEP_1)
	v_min_u32_e32 v112, 32, v112
	v_subrev_nc_u32_e32 v113, 28, v112
	v_sub_nc_u32_e32 v112, 29, v112
	s_delay_alu instid0(VALU_DEP_1) | instskip(NEXT) | instid1(VALU_DEP_1)
	v_dual_cndmask_b32 v112, v114, v112 :: v_dual_lshlrev_b32 v113, v113, v49
	v_and_b32_e32 v113, 7, v113
	s_delay_alu instid0(VALU_DEP_2) | instskip(NEXT) | instid1(VALU_DEP_2)
	v_lshl_add_u32 v112, v112, 23, 0x3b800000
	v_dual_cndmask_b32 v102, v102, v113 :: v_dual_and_b32 v113, 0x80000000, v115
	s_delay_alu instid0(VALU_DEP_1) | instskip(NEXT) | instid1(VALU_DEP_1)
	v_lshlrev_b32_e32 v102, 20, v102
	v_or3_b32 v102, v113, v112, v102
.LBB6_9033:                             ;   in Loop: Header=BB6_8618 Depth=3
	s_or_b32 exec_lo, exec_lo, s15
	s_delay_alu instid0(VALU_DEP_1) | instskip(SKIP_1) | instid1(VALU_DEP_1)
	v_dual_max_f32 v102, v102, v102 :: v_dual_max_f32 v101, v101, v101
	s_mov_b32 s14, 0
	v_max_f32_e32 v101, v101, v102
	s_branch .LBB6_9035
.LBB6_9034:                             ;   in Loop: Header=BB6_8618 Depth=3
	s_mov_b32 s14, -1
                                        ; implicit-def: $vgpr101
.LBB6_9035:                             ;   in Loop: Header=BB6_8618 Depth=3
	s_delay_alu instid0(SALU_CYCLE_1)
	s_and_b32 vcc_lo, exec_lo, s14
	s_cbranch_vccz .LBB6_9045
; %bb.9036:                             ;   in Loop: Header=BB6_8618 Depth=3
	s_mov_b32 s14, 0
	s_mov_b32 s35, exec_lo
                                        ; implicit-def: $sgpr15
	v_cmpx_lt_i16_e32 0x7f, v51
	s_xor_b32 s35, exec_lo, s35
	s_cbranch_execnz .LBB6_9317
; %bb.9037:                             ;   in Loop: Header=BB6_8618 Depth=3
	s_or_saveexec_b32 s35, s35
	v_mov_b32_e32 v101, s15
	s_xor_b32 exec_lo, exec_lo, s35
	s_cbranch_execnz .LBB6_9320
.LBB6_9038:                             ;   in Loop: Header=BB6_8618 Depth=3
	s_or_b32 exec_lo, exec_lo, s35
	s_and_saveexec_b32 s15, s14
	s_cbranch_execz .LBB6_9040
.LBB6_9039:                             ;   in Loop: Header=BB6_8618 Depth=3
	v_bfe_u32 v51, v15, 16, 3
	v_bfe_u32 v112, v15, 19, 4
	s_delay_alu instid0(VALU_DEP_2) | instskip(NEXT) | instid1(VALU_DEP_2)
	v_clz_i32_u32_e32 v101, v51
	v_cmp_eq_u32_e32 vcc_lo, 0, v112
	s_delay_alu instid0(VALU_DEP_2) | instskip(NEXT) | instid1(VALU_DEP_1)
	v_min_u32_e32 v101, 32, v101
	v_subrev_nc_u32_e32 v102, 28, v101
	v_sub_nc_u32_e32 v101, 29, v101
	s_delay_alu instid0(VALU_DEP_1) | instskip(SKIP_1) | instid1(VALU_DEP_2)
	v_dual_cndmask_b32 v101, v112, v101 :: v_dual_lshlrev_b32 v102, v102, v50
	v_lshlrev_b32_e32 v50, 24, v50
	v_and_b32_e32 v102, 7, v102
	s_delay_alu instid0(VALU_DEP_3) | instskip(NEXT) | instid1(VALU_DEP_3)
	v_lshl_add_u32 v101, v101, 23, 0x3b800000
	v_and_b32_e32 v50, 0x80000000, v50
	s_delay_alu instid0(VALU_DEP_3) | instskip(NEXT) | instid1(VALU_DEP_1)
	v_cndmask_b32_e32 v51, v51, v102, vcc_lo
	v_lshlrev_b32_e32 v51, 20, v51
	s_delay_alu instid0(VALU_DEP_1)
	v_or3_b32 v101, v50, v101, v51
.LBB6_9040:                             ;   in Loop: Header=BB6_8618 Depth=3
	s_or_b32 exec_lo, exec_lo, s15
	v_and_b32_e32 v51, 0xff, v49
	s_mov_b32 s14, 0
	s_mov_b32 s35, exec_lo
                                        ; implicit-def: $sgpr15
	s_delay_alu instid0(VALU_DEP_1)
	v_cmpx_lt_i16_e32 0x7f, v51
	s_xor_b32 s35, exec_lo, s35
	s_cbranch_execnz .LBB6_9321
; %bb.9041:                             ;   in Loop: Header=BB6_8618 Depth=3
	s_or_saveexec_b32 s35, s35
	v_mov_b32_e32 v50, s15
	s_xor_b32 exec_lo, exec_lo, s35
	s_cbranch_execnz .LBB6_9324
.LBB6_9042:                             ;   in Loop: Header=BB6_8618 Depth=3
	s_or_b32 exec_lo, exec_lo, s35
	s_and_saveexec_b32 s15, s14
	s_cbranch_execz .LBB6_9044
.LBB6_9043:                             ;   in Loop: Header=BB6_8618 Depth=3
	v_bfe_u32 v50, v11, 16, 3
	v_bfe_u32 v112, v11, 19, 4
	s_delay_alu instid0(VALU_DEP_2) | instskip(NEXT) | instid1(VALU_DEP_2)
	v_clz_i32_u32_e32 v51, v50
	v_cmp_eq_u32_e32 vcc_lo, 0, v112
	s_delay_alu instid0(VALU_DEP_2) | instskip(NEXT) | instid1(VALU_DEP_1)
	v_min_u32_e32 v51, 32, v51
	v_subrev_nc_u32_e32 v102, 28, v51
	v_sub_nc_u32_e32 v51, 29, v51
	s_delay_alu instid0(VALU_DEP_1) | instskip(NEXT) | instid1(VALU_DEP_1)
	v_dual_cndmask_b32 v51, v112, v51 :: v_dual_lshlrev_b32 v102, v102, v49
	v_and_b32_e32 v102, 7, v102
	v_lshlrev_b32_e32 v49, 24, v49
	s_delay_alu instid0(VALU_DEP_3) | instskip(NEXT) | instid1(VALU_DEP_2)
	v_lshl_add_u32 v51, v51, 23, 0x3b800000
	v_dual_cndmask_b32 v50, v50, v102 :: v_dual_and_b32 v49, 0x80000000, v49
	s_delay_alu instid0(VALU_DEP_1) | instskip(NEXT) | instid1(VALU_DEP_1)
	v_lshlrev_b32_e32 v50, 20, v50
	v_or3_b32 v50, v49, v51, v50
.LBB6_9044:                             ;   in Loop: Header=BB6_8618 Depth=3
	s_or_b32 exec_lo, exec_lo, s15
	s_delay_alu instid0(VALU_DEP_1) | instskip(NEXT) | instid1(VALU_DEP_1)
	v_dual_max_f32 v49, v50, v50 :: v_dual_max_f32 v50, v101, v101
	v_min_f32_e32 v101, v50, v49
.LBB6_9045:                             ;   in Loop: Header=BB6_8618 Depth=3
	s_delay_alu instid0(VALU_DEP_1) | instskip(NEXT) | instid1(VALU_DEP_1)
	v_and_b32_e32 v49, 0x7f800000, v101
	v_cmp_ne_u32_e32 vcc_lo, 0x7f800000, v49
	v_mov_b32_e32 v49, 0x80
	s_and_saveexec_b32 s15, vcc_lo
	s_cbranch_execz .LBB6_9053
; %bb.9046:                             ;   in Loop: Header=BB6_8618 Depth=3
	v_mov_b32_e32 v49, 0
	s_mov_b32 s35, exec_lo
	v_cmpx_ne_u32_e32 0, v101
	s_cbranch_execz .LBB6_9052
; %bb.9047:                             ;   in Loop: Header=BB6_8618 Depth=3
	v_bfe_u32 v49, v101, 23, 8
	s_delay_alu instid0(VALU_DEP_1) | instskip(SKIP_1) | instid1(VALU_DEP_2)
	v_sub_nc_u32_e32 v51, 0x78, v49
	v_cmp_gt_u32_e32 vcc_lo, 0x79, v49
	v_dual_cndmask_b32 v51, 0, v51 :: v_dual_and_b32 v50, 0x7fffff, v101
	s_delay_alu instid0(VALU_DEP_1) | instskip(SKIP_2) | instid1(VALU_DEP_4)
	v_or_b32_e32 v102, 0x800000, v50
	v_cmp_eq_u32_e32 vcc_lo, 0, v49
	v_add_nc_u32_e32 v49, 0xffffff89, v49
	v_cndmask_b32_e64 v51, v51, 0x77, vcc_lo
	s_delay_alu instid0(VALU_DEP_4) | instskip(NEXT) | instid1(VALU_DEP_3)
	v_cndmask_b32_e32 v50, v102, v50, vcc_lo
	v_cndmask_b32_e64 v49, v49, 0xffffff8a, vcc_lo
	s_delay_alu instid0(VALU_DEP_3) | instskip(NEXT) | instid1(VALU_DEP_3)
	v_lshl_add_u32 v102, 0x100000, v51, -1
	v_lshrrev_b32_e32 v112, v51, v50
	v_lshlrev_b32_e64 v114, v51, 0x80000
	s_delay_alu instid0(VALU_DEP_4) | instskip(NEXT) | instid1(VALU_DEP_4)
	v_add_nc_u32_e32 v51, v51, v49
	v_and_b32_e32 v50, v102, v50
	s_delay_alu instid0(VALU_DEP_4) | instskip(NEXT) | instid1(VALU_DEP_2)
	v_bfe_u32 v113, v112, 20, 1
	v_cmp_eq_u32_e64 s14, v50, v114
	s_delay_alu instid0(VALU_DEP_2) | instskip(NEXT) | instid1(VALU_DEP_1)
	v_add_nc_u32_e32 v102, -1, v113
	v_cndmask_b32_e64 v50, 0, v102, s14
	v_lshrrev_b32_e32 v102, 23, v112
	s_mov_b32 s14, exec_lo
	s_delay_alu instid0(VALU_DEP_2) | instskip(NEXT) | instid1(VALU_DEP_2)
	v_add_nc_u32_e32 v50, v50, v112
	v_xor_b32_e32 v102, 1, v102
	s_delay_alu instid0(VALU_DEP_2) | instskip(NEXT) | instid1(VALU_DEP_1)
	v_and_b32_e32 v49, 0xfffff, v50
	v_add_nc_u32_e32 v50, v49, v112
                                        ; implicit-def: $vgpr49
	s_delay_alu instid0(VALU_DEP_3)
	v_cmpx_ne_u32_e64 v51, v102
	s_xor_b32 s14, exec_lo, s14
; %bb.9048:                             ;   in Loop: Header=BB6_8618 Depth=3
	s_delay_alu instid0(VALU_DEP_2) | instskip(SKIP_2) | instid1(VALU_DEP_2)
	v_cmp_lt_u32_e32 vcc_lo, 0xffffff, v50
	v_sub_nc_u32_e32 v49, v51, v102
	v_cndmask_b32_e64 v51, 0, 1, vcc_lo
	v_add_co_ci_u32_e32 v49, vcc_lo, 0, v49, vcc_lo
	s_delay_alu instid0(VALU_DEP_2)
	v_lshrrev_b32_e32 v50, v51, v50
; %bb.9049:                             ;   in Loop: Header=BB6_8618 Depth=3
	s_and_not1_saveexec_b32 s14, s14
; %bb.9050:                             ;   in Loop: Header=BB6_8618 Depth=3
	s_delay_alu instid0(VALU_DEP_1)
	v_bfe_u32 v49, v50, 23, 1
; %bb.9051:                             ;   in Loop: Header=BB6_8618 Depth=3
	s_or_b32 exec_lo, exec_lo, s14
	v_lshrrev_b32_e32 v50, 20, v50
	s_delay_alu instid0(VALU_DEP_2) | instskip(SKIP_2) | instid1(VALU_DEP_3)
	v_min_i32_e32 v51, 15, v49
	v_cmp_gt_i32_e32 vcc_lo, 16, v49
	v_lshrrev_b32_e32 v101, 24, v101
	v_dual_cndmask_b32 v50, 7, v50 :: v_dual_lshlrev_b32 v51, 3, v51
	s_delay_alu instid0(VALU_DEP_2) | instskip(NEXT) | instid1(VALU_DEP_2)
	v_and_b32_e32 v101, 0x80, v101
	v_and_b32_e32 v51, 0xf8, v51
	s_delay_alu instid0(VALU_DEP_3) | instskip(SKIP_1) | instid1(VALU_DEP_2)
	v_and_b32_e32 v102, 7, v50
	v_or_b32_e32 v49, v49, v50
	v_or3_b32 v50, v51, v101, v102
	s_delay_alu instid0(VALU_DEP_2) | instskip(NEXT) | instid1(VALU_DEP_2)
	v_cmp_ne_u32_e32 vcc_lo, 0, v49
	v_cndmask_b32_e32 v49, 0, v50, vcc_lo
.LBB6_9052:                             ;   in Loop: Header=BB6_8618 Depth=3
	s_or_b32 exec_lo, exec_lo, s35
.LBB6_9053:                             ;   in Loop: Header=BB6_8618 Depth=3
	s_delay_alu instid0(SALU_CYCLE_1) | instskip(SKIP_3) | instid1(VALU_DEP_2)
	s_or_b32 exec_lo, exec_lo, s15
	v_lshrrev_b32_e32 v51, 24, v15
	v_lshrrev_b32_e32 v50, 24, v11
	s_and_b32 vcc_lo, exec_lo, s34
	v_cmp_lt_i16_e64 s14, 0x7f, v51
	s_cbranch_vccz .LBB6_9063
; %bb.9054:                             ;   in Loop: Header=BB6_8618 Depth=3
	s_mov_b32 s15, 0
                                        ; implicit-def: $sgpr35
	s_delay_alu instid0(VALU_DEP_1) | instskip(NEXT) | instid1(SALU_CYCLE_1)
	s_and_saveexec_b32 vcc_lo, s14
	s_xor_b32 s14, exec_lo, vcc_lo
	s_cbranch_execnz .LBB6_9325
; %bb.9055:                             ;   in Loop: Header=BB6_8618 Depth=3
	s_or_saveexec_b32 s14, s14
	v_mov_b32_e32 v101, s35
	s_xor_b32 exec_lo, exec_lo, s14
	s_cbranch_execnz .LBB6_9328
.LBB6_9056:                             ;   in Loop: Header=BB6_8618 Depth=3
	s_or_b32 exec_lo, exec_lo, s14
	s_and_saveexec_b32 s14, s15
	s_cbranch_execz .LBB6_9058
.LBB6_9057:                             ;   in Loop: Header=BB6_8618 Depth=3
	v_bfe_u32 v101, v15, 24, 3
	v_bfe_u32 v113, v15, 27, 4
	s_delay_alu instid0(VALU_DEP_2) | instskip(NEXT) | instid1(VALU_DEP_2)
	v_clz_i32_u32_e32 v102, v101
	v_cmp_eq_u32_e32 vcc_lo, 0, v113
	s_delay_alu instid0(VALU_DEP_2) | instskip(NEXT) | instid1(VALU_DEP_1)
	v_min_u32_e32 v102, 32, v102
	v_subrev_nc_u32_e32 v112, 28, v102
	v_sub_nc_u32_e32 v102, 29, v102
	s_delay_alu instid0(VALU_DEP_2) | instskip(NEXT) | instid1(VALU_DEP_1)
	v_lshlrev_b32_e32 v112, v112, v51
	v_and_b32_e32 v112, 7, v112
	s_delay_alu instid0(VALU_DEP_1) | instskip(NEXT) | instid1(VALU_DEP_1)
	v_dual_cndmask_b32 v101, v101, v112 :: v_dual_and_b32 v112, 0x80000000, v15
	v_dual_cndmask_b32 v102, v113, v102 :: v_dual_lshlrev_b32 v101, 20, v101
	s_delay_alu instid0(VALU_DEP_1) | instskip(NEXT) | instid1(VALU_DEP_1)
	v_lshl_add_u32 v102, v102, 23, 0x3b800000
	v_or3_b32 v101, v112, v102, v101
.LBB6_9058:                             ;   in Loop: Header=BB6_8618 Depth=3
	s_or_b32 exec_lo, exec_lo, s14
	s_mov_b32 s14, 0
	s_mov_b32 s35, exec_lo
                                        ; implicit-def: $sgpr15
	v_cmpx_lt_i16_e32 0x7f, v50
	s_xor_b32 s35, exec_lo, s35
	s_cbranch_execnz .LBB6_9329
; %bb.9059:                             ;   in Loop: Header=BB6_8618 Depth=3
	s_or_saveexec_b32 s35, s35
	v_mov_b32_e32 v102, s15
	s_xor_b32 exec_lo, exec_lo, s35
	s_cbranch_execnz .LBB6_9332
.LBB6_9060:                             ;   in Loop: Header=BB6_8618 Depth=3
	s_or_b32 exec_lo, exec_lo, s35
	s_and_saveexec_b32 s15, s14
	s_cbranch_execz .LBB6_9062
.LBB6_9061:                             ;   in Loop: Header=BB6_8618 Depth=3
	v_bfe_u32 v102, v11, 24, 3
	v_bfe_u32 v114, v11, 27, 4
	s_delay_alu instid0(VALU_DEP_2) | instskip(NEXT) | instid1(VALU_DEP_2)
	v_clz_i32_u32_e32 v112, v102
	v_cmp_eq_u32_e32 vcc_lo, 0, v114
	s_delay_alu instid0(VALU_DEP_2) | instskip(NEXT) | instid1(VALU_DEP_1)
	v_min_u32_e32 v112, 32, v112
	v_subrev_nc_u32_e32 v113, 28, v112
	v_sub_nc_u32_e32 v112, 29, v112
	s_delay_alu instid0(VALU_DEP_1) | instskip(NEXT) | instid1(VALU_DEP_1)
	v_dual_cndmask_b32 v112, v114, v112 :: v_dual_lshlrev_b32 v113, v113, v50
	v_and_b32_e32 v113, 7, v113
	s_delay_alu instid0(VALU_DEP_2) | instskip(NEXT) | instid1(VALU_DEP_2)
	v_lshl_add_u32 v112, v112, 23, 0x3b800000
	v_dual_cndmask_b32 v102, v102, v113 :: v_dual_and_b32 v113, 0x80000000, v11
	s_delay_alu instid0(VALU_DEP_1) | instskip(NEXT) | instid1(VALU_DEP_1)
	v_lshlrev_b32_e32 v102, 20, v102
	v_or3_b32 v102, v113, v112, v102
.LBB6_9062:                             ;   in Loop: Header=BB6_8618 Depth=3
	s_or_b32 exec_lo, exec_lo, s15
	s_delay_alu instid0(VALU_DEP_1) | instskip(SKIP_1) | instid1(VALU_DEP_1)
	v_dual_max_f32 v102, v102, v102 :: v_dual_max_f32 v101, v101, v101
	s_mov_b32 s14, 0
	v_max_f32_e32 v101, v101, v102
	s_branch .LBB6_9064
.LBB6_9063:                             ;   in Loop: Header=BB6_8618 Depth=3
	s_mov_b32 s14, -1
                                        ; implicit-def: $vgpr101
.LBB6_9064:                             ;   in Loop: Header=BB6_8618 Depth=3
	s_delay_alu instid0(SALU_CYCLE_1)
	s_and_b32 vcc_lo, exec_lo, s14
	s_cbranch_vccz .LBB6_9074
; %bb.9065:                             ;   in Loop: Header=BB6_8618 Depth=3
	s_mov_b32 s14, 0
	s_mov_b32 s35, exec_lo
                                        ; implicit-def: $sgpr15
	v_cmpx_lt_i16_e32 0x7f, v51
	s_xor_b32 s35, exec_lo, s35
	s_cbranch_execnz .LBB6_9333
; %bb.9066:                             ;   in Loop: Header=BB6_8618 Depth=3
	s_or_saveexec_b32 s35, s35
	v_mov_b32_e32 v101, s15
	s_xor_b32 exec_lo, exec_lo, s35
	s_cbranch_execnz .LBB6_9336
.LBB6_9067:                             ;   in Loop: Header=BB6_8618 Depth=3
	s_or_b32 exec_lo, exec_lo, s35
	s_and_saveexec_b32 s15, s14
	s_cbranch_execz .LBB6_9069
.LBB6_9068:                             ;   in Loop: Header=BB6_8618 Depth=3
	v_bfe_u32 v101, v15, 24, 3
	s_delay_alu instid0(VALU_DEP_1) | instskip(NEXT) | instid1(VALU_DEP_1)
	v_clz_i32_u32_e32 v102, v101
	v_min_u32_e32 v102, 32, v102
	s_delay_alu instid0(VALU_DEP_1) | instskip(SKIP_1) | instid1(VALU_DEP_2)
	v_subrev_nc_u32_e32 v112, 28, v102
	v_sub_nc_u32_e32 v102, 29, v102
	v_lshlrev_b32_e32 v51, v112, v51
	v_bfe_u32 v112, v15, 27, 4
	v_and_b32_e32 v15, 0x80000000, v15
	s_delay_alu instid0(VALU_DEP_2) | instskip(NEXT) | instid1(VALU_DEP_4)
	v_cmp_eq_u32_e32 vcc_lo, 0, v112
	v_dual_cndmask_b32 v102, v112, v102 :: v_dual_and_b32 v51, 7, v51
	s_delay_alu instid0(VALU_DEP_1) | instskip(NEXT) | instid1(VALU_DEP_2)
	v_cndmask_b32_e32 v51, v101, v51, vcc_lo
	v_lshl_add_u32 v101, v102, 23, 0x3b800000
	s_delay_alu instid0(VALU_DEP_2) | instskip(NEXT) | instid1(VALU_DEP_1)
	v_lshlrev_b32_e32 v51, 20, v51
	v_or3_b32 v101, v15, v101, v51
.LBB6_9069:                             ;   in Loop: Header=BB6_8618 Depth=3
	s_or_b32 exec_lo, exec_lo, s15
	s_mov_b32 s14, 0
	s_mov_b32 s35, exec_lo
                                        ; implicit-def: $sgpr15
	v_cmpx_lt_i16_e32 0x7f, v50
	s_xor_b32 s35, exec_lo, s35
	s_cbranch_execnz .LBB6_9337
; %bb.9070:                             ;   in Loop: Header=BB6_8618 Depth=3
	s_or_saveexec_b32 s35, s35
	v_mov_b32_e32 v15, s15
	s_xor_b32 exec_lo, exec_lo, s35
	s_cbranch_execnz .LBB6_9340
.LBB6_9071:                             ;   in Loop: Header=BB6_8618 Depth=3
	s_or_b32 exec_lo, exec_lo, s35
	s_and_saveexec_b32 s15, s14
	s_cbranch_execz .LBB6_9073
.LBB6_9072:                             ;   in Loop: Header=BB6_8618 Depth=3
	v_bfe_u32 v15, v11, 24, 3
	s_delay_alu instid0(VALU_DEP_1) | instskip(NEXT) | instid1(VALU_DEP_1)
	v_clz_i32_u32_e32 v51, v15
	v_min_u32_e32 v51, 32, v51
	s_delay_alu instid0(VALU_DEP_1) | instskip(SKIP_1) | instid1(VALU_DEP_2)
	v_subrev_nc_u32_e32 v102, 28, v51
	v_sub_nc_u32_e32 v51, 29, v51
	v_lshlrev_b32_e32 v50, v102, v50
	v_bfe_u32 v102, v11, 27, 4
	v_and_b32_e32 v11, 0x80000000, v11
	s_delay_alu instid0(VALU_DEP_2) | instskip(NEXT) | instid1(VALU_DEP_4)
	v_cmp_eq_u32_e32 vcc_lo, 0, v102
	v_dual_cndmask_b32 v51, v102, v51 :: v_dual_and_b32 v50, 7, v50
	s_delay_alu instid0(VALU_DEP_1) | instskip(NEXT) | instid1(VALU_DEP_2)
	v_cndmask_b32_e32 v15, v15, v50, vcc_lo
	v_lshl_add_u32 v50, v51, 23, 0x3b800000
	s_delay_alu instid0(VALU_DEP_2) | instskip(NEXT) | instid1(VALU_DEP_1)
	v_lshlrev_b32_e32 v15, 20, v15
	v_or3_b32 v15, v11, v50, v15
.LBB6_9073:                             ;   in Loop: Header=BB6_8618 Depth=3
	s_or_b32 exec_lo, exec_lo, s15
	s_delay_alu instid0(VALU_DEP_1) | instskip(SKIP_1) | instid1(VALU_DEP_1)
	v_max_f32_e32 v11, v15, v15
	v_max_f32_e32 v15, v101, v101
	v_min_f32_e32 v101, v15, v11
.LBB6_9074:                             ;   in Loop: Header=BB6_8618 Depth=3
	s_delay_alu instid0(VALU_DEP_1) | instskip(NEXT) | instid1(VALU_DEP_1)
	v_and_b32_e32 v11, 0x7f800000, v101
	v_cmp_ne_u32_e32 vcc_lo, 0x7f800000, v11
	v_mov_b32_e32 v11, 0x8000
	s_and_saveexec_b32 s15, vcc_lo
	s_cbranch_execz .LBB6_9082
; %bb.9075:                             ;   in Loop: Header=BB6_8618 Depth=3
	v_mov_b32_e32 v11, 0
	s_mov_b32 s35, exec_lo
	v_cmpx_ne_u32_e32 0, v101
	s_cbranch_execz .LBB6_9081
; %bb.9076:                             ;   in Loop: Header=BB6_8618 Depth=3
	v_bfe_u32 v11, v101, 23, 8
	s_delay_alu instid0(VALU_DEP_1) | instskip(SKIP_1) | instid1(VALU_DEP_2)
	v_sub_nc_u32_e32 v50, 0x78, v11
	v_cmp_gt_u32_e32 vcc_lo, 0x79, v11
	v_dual_cndmask_b32 v50, 0, v50 :: v_dual_and_b32 v15, 0x7fffff, v101
	s_delay_alu instid0(VALU_DEP_1) | instskip(SKIP_2) | instid1(VALU_DEP_4)
	v_or_b32_e32 v51, 0x800000, v15
	v_cmp_eq_u32_e32 vcc_lo, 0, v11
	v_add_nc_u32_e32 v11, 0xffffff89, v11
	v_cndmask_b32_e64 v50, v50, 0x77, vcc_lo
	s_delay_alu instid0(VALU_DEP_4) | instskip(NEXT) | instid1(VALU_DEP_3)
	v_cndmask_b32_e32 v15, v51, v15, vcc_lo
	v_cndmask_b32_e64 v11, v11, 0xffffff8a, vcc_lo
	s_delay_alu instid0(VALU_DEP_3) | instskip(NEXT) | instid1(VALU_DEP_3)
	v_lshl_add_u32 v51, 0x100000, v50, -1
	v_lshrrev_b32_e32 v102, v50, v15
	v_lshlrev_b32_e64 v113, v50, 0x80000
	s_delay_alu instid0(VALU_DEP_4) | instskip(NEXT) | instid1(VALU_DEP_4)
	v_add_nc_u32_e32 v50, v50, v11
	v_and_b32_e32 v15, v51, v15
	s_delay_alu instid0(VALU_DEP_4) | instskip(NEXT) | instid1(VALU_DEP_2)
	v_bfe_u32 v112, v102, 20, 1
	v_cmp_eq_u32_e64 s14, v15, v113
	s_delay_alu instid0(VALU_DEP_2) | instskip(NEXT) | instid1(VALU_DEP_1)
	v_add_nc_u32_e32 v51, -1, v112
	v_cndmask_b32_e64 v15, 0, v51, s14
	v_lshrrev_b32_e32 v51, 23, v102
	s_mov_b32 s14, exec_lo
	s_delay_alu instid0(VALU_DEP_2) | instskip(NEXT) | instid1(VALU_DEP_2)
	v_add_nc_u32_e32 v15, v15, v102
	v_xor_b32_e32 v51, 1, v51
	s_delay_alu instid0(VALU_DEP_2) | instskip(NEXT) | instid1(VALU_DEP_1)
	v_and_b32_e32 v11, 0xfffff, v15
	v_add_nc_u32_e32 v15, v11, v102
                                        ; implicit-def: $vgpr11
	s_delay_alu instid0(VALU_DEP_3)
	v_cmpx_ne_u32_e64 v50, v51
	s_xor_b32 s14, exec_lo, s14
; %bb.9077:                             ;   in Loop: Header=BB6_8618 Depth=3
	s_delay_alu instid0(VALU_DEP_2) | instskip(SKIP_2) | instid1(VALU_DEP_2)
	v_cmp_lt_u32_e32 vcc_lo, 0xffffff, v15
	v_sub_nc_u32_e32 v11, v50, v51
	v_cndmask_b32_e64 v50, 0, 1, vcc_lo
	v_add_co_ci_u32_e32 v11, vcc_lo, 0, v11, vcc_lo
	s_delay_alu instid0(VALU_DEP_2)
	v_lshrrev_b32_e32 v15, v50, v15
; %bb.9078:                             ;   in Loop: Header=BB6_8618 Depth=3
	s_and_not1_saveexec_b32 s14, s14
; %bb.9079:                             ;   in Loop: Header=BB6_8618 Depth=3
	s_delay_alu instid0(VALU_DEP_1)
	v_bfe_u32 v11, v15, 23, 1
; %bb.9080:                             ;   in Loop: Header=BB6_8618 Depth=3
	s_or_b32 exec_lo, exec_lo, s14
	v_lshrrev_b32_e32 v15, 20, v15
	s_delay_alu instid0(VALU_DEP_2) | instskip(SKIP_2) | instid1(VALU_DEP_2)
	v_cmp_gt_i32_e32 vcc_lo, 16, v11
	v_min_i32_e32 v50, 15, v11
	v_lshrrev_b32_e32 v51, 24, v101
	v_dual_cndmask_b32 v15, 7, v15 :: v_dual_lshlrev_b32 v50, 3, v50
	s_delay_alu instid0(VALU_DEP_2) | instskip(NEXT) | instid1(VALU_DEP_2)
	v_and_b32_e32 v51, 0x80, v51
	v_or_b32_e32 v11, v11, v15
	v_and_b32_e32 v101, 7, v15
	s_delay_alu instid0(VALU_DEP_2) | instskip(SKIP_1) | instid1(VALU_DEP_1)
	v_cmp_ne_u32_e32 vcc_lo, 0, v11
	v_and_b32_e32 v50, 0xf8, v50
	v_or3_b32 v50, v51, v50, v101
	s_delay_alu instid0(VALU_DEP_1) | instskip(NEXT) | instid1(VALU_DEP_1)
	v_lshlrev_b32_e32 v15, 8, v50
	v_cndmask_b32_e32 v11, 0, v15, vcc_lo
.LBB6_9081:                             ;   in Loop: Header=BB6_8618 Depth=3
	s_or_b32 exec_lo, exec_lo, s35
.LBB6_9082:                             ;   in Loop: Header=BB6_8618 Depth=3
	s_delay_alu instid0(SALU_CYCLE_1)
	s_or_b32 exec_lo, exec_lo, s15
	v_lshlrev_b32_e32 v15, 8, v36
	v_and_b32_e32 v35, 0xff, v35
	v_or_b32_e32 v9, v9, v37
	v_lshlrev_b32_e32 v34, 8, v34
	v_lshlrev_b32_e32 v36, 8, v38
	v_perm_b32 v12, v15, v12, 0xc0c0500
	v_lshlrev_b32_e32 v15, 16, v35
	v_and_b32_e32 v35, 0xff, v39
	v_lshlrev_b32_e32 v37, 8, v48
	v_lshlrev_b32_e32 v8, 24, v8
	v_perm_b32 v33, v34, v33, 0xc0c0500
	v_lshlrev_b32_e32 v10, 24, v10
	v_lshlrev_b32_e32 v34, 16, v35
	v_perm_b32 v13, v36, v13, 0xc0c0500
	v_perm_b32 v14, v37, v14, 0xc0c0500
	v_or_b32_e32 v11, v11, v49
	v_lshl_or_b32 v9, v9, 16, v12
	v_or3_b32 v8, v8, v15, v33
	v_or3_b32 v10, v10, v34, v13
	s_mov_b64 s[14:15], 0
	v_lshl_or_b32 v11, v11, 16, v14
	s_mov_b32 s35, -1
.LBB6_9083:                             ;   Parent Loop BB6_51 Depth=1
                                        ;     Parent Loop BB6_5644 Depth=2
                                        ;       Parent Loop BB6_8618 Depth=3
                                        ; =>      This Inner Loop Header: Depth=4
	s_cmp_eq_u32 s14, 0
	v_cndmask_b32_e64 v14, 0, 1, s35
	s_cselect_b32 vcc_lo, -1, 0
	s_cmp_eq_u32 s14, 1
	s_mov_b32 s35, 0
	s_cselect_b32 s14, -1, 0
	s_delay_alu instid0(SALU_CYCLE_1) | instskip(SKIP_1) | instid1(VALU_DEP_2)
	v_cndmask_b32_e64 v12, v16, v18, s14
	v_cndmask_b32_e64 v13, v17, v19, s14
	v_add_co_u32 v15, s15, 0x200, v12
	s_delay_alu instid0(VALU_DEP_1) | instskip(SKIP_1) | instid1(VALU_DEP_3)
	v_add_co_ci_u32_e64 v33, s15, 0, v13, s15
	v_cmp_ne_u32_e64 s15, 1, v14
	v_cndmask_b32_e64 v18, v18, v15, s14
	v_cndmask_b32_e32 v16, v16, v15, vcc_lo
	s_delay_alu instid0(VALU_DEP_4)
	v_cndmask_b32_e64 v19, v19, v33, s14
	v_cndmask_b32_e32 v17, v17, v33, vcc_lo
	s_and_b32 vcc_lo, exec_lo, s15
	s_mov_b64 s[14:15], 1
	global_store_b128 v[12:13], v[8:11], off glc slc dlc
	s_cbranch_vccz .LBB6_9083
; %bb.9084:                             ;   in Loop: Header=BB6_8618 Depth=3
	v_add_co_u32 v20, vcc_lo, v20, v148
	v_add_co_ci_u32_e32 v21, vcc_lo, v21, v149, vcc_lo
	v_add_co_u32 v22, vcc_lo, v22, v148
	v_sub_nc_u32_e32 v32, v32, v132
	v_add_co_ci_u32_e32 v23, vcc_lo, v23, v149, vcc_lo
	v_add_co_u32 v16, vcc_lo, v16, v134
	v_add_co_ci_u32_e32 v17, vcc_lo, v17, v146, vcc_lo
	s_delay_alu instid0(VALU_DEP_4) | instskip(SKIP_1) | instid1(VALU_DEP_1)
	v_cmp_gt_i32_e32 vcc_lo, 16, v32
	v_add_co_u32 v18, s14, v18, v134
	v_add_co_ci_u32_e64 v19, s14, v19, v146, s14
	v_sub_nc_u32_e32 v27, v27, v129
	s_or_b32 s31, vcc_lo, s31
	s_delay_alu instid0(SALU_CYCLE_1)
	s_and_not1_b32 exec_lo, exec_lo, s31
	s_cbranch_execnz .LBB6_8618
	s_branch .LBB6_9341
.LBB6_9085:                             ;   in Loop: Header=BB6_8618 Depth=3
	s_mov_b32 s15, -1
	s_mov_b32 s36, exec_lo
                                        ; implicit-def: $sgpr35
	v_cmpx_eq_u16_e32 0x80, v33
; %bb.9086:                             ;   in Loop: Header=BB6_8618 Depth=3
	s_mov_b32 s35, 0x7f800001
	s_xor_b32 s15, exec_lo, -1
; %bb.9087:                             ;   in Loop: Header=BB6_8618 Depth=3
	s_or_b32 exec_lo, exec_lo, s36
	s_delay_alu instid0(SALU_CYCLE_1)
	s_and_b32 s15, s15, exec_lo
	s_or_saveexec_b32 s14, s14
	v_mov_b32_e32 v34, s35
	s_xor_b32 exec_lo, exec_lo, s14
	s_cbranch_execz .LBB6_8621
.LBB6_9088:                             ;   in Loop: Header=BB6_8618 Depth=3
	v_cmp_ne_u16_e32 vcc_lo, 0, v33
	v_mov_b32_e32 v34, 0
	s_and_not1_b32 s15, s15, exec_lo
	s_and_b32 vcc_lo, vcc_lo, exec_lo
	s_delay_alu instid0(SALU_CYCLE_1)
	s_or_b32 s15, s15, vcc_lo
	s_or_b32 exec_lo, exec_lo, s14
	s_and_saveexec_b32 s14, s15
	s_cbranch_execnz .LBB6_8622
	s_branch .LBB6_8623
.LBB6_9089:                             ;   in Loop: Header=BB6_8618 Depth=3
	s_mov_b32 s14, -1
	s_mov_b32 s36, exec_lo
                                        ; implicit-def: $sgpr15
	v_cmpx_eq_u16_e32 0x80, v36
; %bb.9090:                             ;   in Loop: Header=BB6_8618 Depth=3
	s_mov_b32 s15, 0x7f800001
	s_xor_b32 s14, exec_lo, -1
; %bb.9091:                             ;   in Loop: Header=BB6_8618 Depth=3
	s_or_b32 exec_lo, exec_lo, s36
	s_delay_alu instid0(SALU_CYCLE_1)
	s_and_b32 s14, s14, exec_lo
                                        ; implicit-def: $vgpr36
	s_or_saveexec_b32 s35, s35
	v_mov_b32_e32 v35, s15
	s_xor_b32 exec_lo, exec_lo, s35
	s_cbranch_execz .LBB6_8625
.LBB6_9092:                             ;   in Loop: Header=BB6_8618 Depth=3
	v_cmp_ne_u16_e32 vcc_lo, 0, v36
	v_mov_b32_e32 v35, 0
	s_and_not1_b32 s14, s14, exec_lo
	s_and_b32 s15, vcc_lo, exec_lo
	s_delay_alu instid0(SALU_CYCLE_1)
	s_or_b32 s14, s14, s15
	s_or_b32 exec_lo, exec_lo, s35
	s_and_saveexec_b32 s15, s14
	s_cbranch_execnz .LBB6_8626
	s_branch .LBB6_8627
.LBB6_9093:                             ;   in Loop: Header=BB6_8618 Depth=3
	s_mov_b32 s14, -1
	s_mov_b32 s36, exec_lo
                                        ; implicit-def: $sgpr15
	v_cmpx_eq_u16_e32 0x80, v33
; %bb.9094:                             ;   in Loop: Header=BB6_8618 Depth=3
	s_mov_b32 s15, 0x7f800001
	s_xor_b32 s14, exec_lo, -1
; %bb.9095:                             ;   in Loop: Header=BB6_8618 Depth=3
	s_or_b32 exec_lo, exec_lo, s36
	s_delay_alu instid0(SALU_CYCLE_1)
	s_and_b32 s14, s14, exec_lo
                                        ; implicit-def: $vgpr33
	s_or_saveexec_b32 s35, s35
	v_mov_b32_e32 v34, s15
	s_xor_b32 exec_lo, exec_lo, s35
	s_cbranch_execz .LBB6_8632
.LBB6_9096:                             ;   in Loop: Header=BB6_8618 Depth=3
	v_cmp_ne_u16_e32 vcc_lo, 0, v33
	v_mov_b32_e32 v34, 0
	s_and_not1_b32 s14, s14, exec_lo
	s_and_b32 s15, vcc_lo, exec_lo
	s_delay_alu instid0(SALU_CYCLE_1)
	s_or_b32 s14, s14, s15
	s_or_b32 exec_lo, exec_lo, s35
	s_and_saveexec_b32 s15, s14
	s_cbranch_execnz .LBB6_8633
	s_branch .LBB6_8634
.LBB6_9097:                             ;   in Loop: Header=BB6_8618 Depth=3
	s_mov_b32 s14, -1
	s_mov_b32 s36, exec_lo
                                        ; implicit-def: $sgpr15
	v_cmpx_eq_u16_e32 0x80, v35
; %bb.9098:                             ;   in Loop: Header=BB6_8618 Depth=3
	s_mov_b32 s15, 0x7f800001
	s_xor_b32 s14, exec_lo, -1
; %bb.9099:                             ;   in Loop: Header=BB6_8618 Depth=3
	s_or_b32 exec_lo, exec_lo, s36
	s_delay_alu instid0(SALU_CYCLE_1)
	s_and_b32 s14, s14, exec_lo
                                        ; implicit-def: $vgpr35
	s_or_saveexec_b32 s35, s35
	v_mov_b32_e32 v33, s15
	s_xor_b32 exec_lo, exec_lo, s35
	s_cbranch_execz .LBB6_8636
.LBB6_9100:                             ;   in Loop: Header=BB6_8618 Depth=3
	v_cmp_ne_u16_e32 vcc_lo, 0, v35
	v_mov_b32_e32 v33, 0
	s_and_not1_b32 s14, s14, exec_lo
	s_and_b32 s15, vcc_lo, exec_lo
	s_delay_alu instid0(SALU_CYCLE_1)
	s_or_b32 s14, s14, s15
	s_or_b32 exec_lo, exec_lo, s35
	s_and_saveexec_b32 s15, s14
	s_cbranch_execnz .LBB6_8637
	s_branch .LBB6_8638
.LBB6_9101:                             ;   in Loop: Header=BB6_8618 Depth=3
	s_mov_b32 s15, -1
	s_mov_b32 s36, exec_lo
                                        ; implicit-def: $sgpr35
	v_cmpx_eq_u16_e32 0x80, v35
; %bb.9102:                             ;   in Loop: Header=BB6_8618 Depth=3
	s_mov_b32 s35, 0x7f800001
	s_xor_b32 s15, exec_lo, -1
; %bb.9103:                             ;   in Loop: Header=BB6_8618 Depth=3
	s_or_b32 exec_lo, exec_lo, s36
	s_delay_alu instid0(SALU_CYCLE_1)
	s_and_b32 s15, s15, exec_lo
	s_or_saveexec_b32 s14, s14
	v_mov_b32_e32 v36, s35
	s_xor_b32 exec_lo, exec_lo, s14
	s_cbranch_execz .LBB6_8650
.LBB6_9104:                             ;   in Loop: Header=BB6_8618 Depth=3
	v_cmp_ne_u16_e32 vcc_lo, 0, v35
	v_mov_b32_e32 v36, 0
	s_and_not1_b32 s15, s15, exec_lo
	s_and_b32 vcc_lo, vcc_lo, exec_lo
	s_delay_alu instid0(SALU_CYCLE_1)
	s_or_b32 s15, s15, vcc_lo
	s_or_b32 exec_lo, exec_lo, s14
	s_and_saveexec_b32 s14, s15
	s_cbranch_execnz .LBB6_8651
	s_branch .LBB6_8652
.LBB6_9105:                             ;   in Loop: Header=BB6_8618 Depth=3
	s_mov_b32 s14, -1
	s_mov_b32 s36, exec_lo
                                        ; implicit-def: $sgpr15
	v_cmpx_eq_u16_e32 0x80, v34
; %bb.9106:                             ;   in Loop: Header=BB6_8618 Depth=3
	s_mov_b32 s15, 0x7f800001
	s_xor_b32 s14, exec_lo, -1
; %bb.9107:                             ;   in Loop: Header=BB6_8618 Depth=3
	s_or_b32 exec_lo, exec_lo, s36
	s_delay_alu instid0(SALU_CYCLE_1)
	s_and_b32 s14, s14, exec_lo
	s_or_saveexec_b32 s35, s35
	v_mov_b32_e32 v37, s15
	s_xor_b32 exec_lo, exec_lo, s35
	s_cbranch_execz .LBB6_8654
.LBB6_9108:                             ;   in Loop: Header=BB6_8618 Depth=3
	v_cmp_ne_u16_e32 vcc_lo, 0, v34
	v_mov_b32_e32 v37, 0
	s_and_not1_b32 s14, s14, exec_lo
	s_and_b32 s15, vcc_lo, exec_lo
	s_delay_alu instid0(SALU_CYCLE_1)
	s_or_b32 s14, s14, s15
	s_or_b32 exec_lo, exec_lo, s35
	s_and_saveexec_b32 s15, s14
	s_cbranch_execnz .LBB6_8655
	s_branch .LBB6_8656
.LBB6_9109:                             ;   in Loop: Header=BB6_8618 Depth=3
	s_mov_b32 s14, -1
	s_mov_b32 s36, exec_lo
                                        ; implicit-def: $sgpr15
	v_cmpx_eq_u16_e32 0x80, v35
; %bb.9110:                             ;   in Loop: Header=BB6_8618 Depth=3
	s_mov_b32 s15, 0x7f800001
	s_xor_b32 s14, exec_lo, -1
; %bb.9111:                             ;   in Loop: Header=BB6_8618 Depth=3
	s_or_b32 exec_lo, exec_lo, s36
	s_delay_alu instid0(SALU_CYCLE_1)
	s_and_b32 s14, s14, exec_lo
	s_or_saveexec_b32 s35, s35
	v_mov_b32_e32 v36, s15
	s_xor_b32 exec_lo, exec_lo, s35
	s_cbranch_execz .LBB6_8661
.LBB6_9112:                             ;   in Loop: Header=BB6_8618 Depth=3
	v_cmp_ne_u16_e32 vcc_lo, 0, v35
	v_mov_b32_e32 v36, 0
	s_and_not1_b32 s14, s14, exec_lo
	s_and_b32 s15, vcc_lo, exec_lo
	s_delay_alu instid0(SALU_CYCLE_1)
	s_or_b32 s14, s14, s15
	s_or_b32 exec_lo, exec_lo, s35
	s_and_saveexec_b32 s15, s14
	s_cbranch_execnz .LBB6_8662
	s_branch .LBB6_8663
.LBB6_9113:                             ;   in Loop: Header=BB6_8618 Depth=3
	s_mov_b32 s14, -1
	s_mov_b32 s36, exec_lo
                                        ; implicit-def: $sgpr15
	v_cmpx_eq_u16_e32 0x80, v34
; %bb.9114:                             ;   in Loop: Header=BB6_8618 Depth=3
	s_mov_b32 s15, 0x7f800001
	s_xor_b32 s14, exec_lo, -1
; %bb.9115:                             ;   in Loop: Header=BB6_8618 Depth=3
	s_or_b32 exec_lo, exec_lo, s36
	s_delay_alu instid0(SALU_CYCLE_1)
	s_and_b32 s14, s14, exec_lo
	s_or_saveexec_b32 s35, s35
	v_mov_b32_e32 v35, s15
	s_xor_b32 exec_lo, exec_lo, s35
	s_cbranch_execz .LBB6_8665
.LBB6_9116:                             ;   in Loop: Header=BB6_8618 Depth=3
	v_cmp_ne_u16_e32 vcc_lo, 0, v34
	v_mov_b32_e32 v35, 0
	s_and_not1_b32 s14, s14, exec_lo
	s_and_b32 s15, vcc_lo, exec_lo
	s_delay_alu instid0(SALU_CYCLE_1)
	s_or_b32 s14, s14, s15
	s_or_b32 exec_lo, exec_lo, s35
	s_and_saveexec_b32 s15, s14
	s_cbranch_execnz .LBB6_8666
	s_branch .LBB6_8667
.LBB6_9117:                             ;   in Loop: Header=BB6_8618 Depth=3
	s_mov_b32 s15, -1
	s_mov_b32 s36, exec_lo
                                        ; implicit-def: $sgpr35
	v_cmpx_eq_u16_e32 0x80, v37
; %bb.9118:                             ;   in Loop: Header=BB6_8618 Depth=3
	s_mov_b32 s35, 0x7f800001
	s_xor_b32 s15, exec_lo, -1
; %bb.9119:                             ;   in Loop: Header=BB6_8618 Depth=3
	s_or_b32 exec_lo, exec_lo, s36
	s_delay_alu instid0(SALU_CYCLE_1)
	s_and_b32 s15, s15, exec_lo
	s_or_saveexec_b32 s14, s14
	v_mov_b32_e32 v38, s35
	s_xor_b32 exec_lo, exec_lo, s14
	s_cbranch_execz .LBB6_8679
.LBB6_9120:                             ;   in Loop: Header=BB6_8618 Depth=3
	v_cmp_ne_u16_e32 vcc_lo, 0, v37
	v_mov_b32_e32 v38, 0
	s_and_not1_b32 s15, s15, exec_lo
	s_and_b32 vcc_lo, vcc_lo, exec_lo
	s_delay_alu instid0(SALU_CYCLE_1)
	s_or_b32 s15, s15, vcc_lo
	s_or_b32 exec_lo, exec_lo, s14
	s_and_saveexec_b32 s14, s15
	s_cbranch_execnz .LBB6_8680
	s_branch .LBB6_8681
.LBB6_9121:                             ;   in Loop: Header=BB6_8618 Depth=3
	s_mov_b32 s14, -1
	s_mov_b32 s36, exec_lo
                                        ; implicit-def: $sgpr15
	v_cmpx_eq_u16_e32 0x80, v48
; %bb.9122:                             ;   in Loop: Header=BB6_8618 Depth=3
	s_mov_b32 s15, 0x7f800001
	s_xor_b32 s14, exec_lo, -1
; %bb.9123:                             ;   in Loop: Header=BB6_8618 Depth=3
	s_or_b32 exec_lo, exec_lo, s36
	s_delay_alu instid0(SALU_CYCLE_1)
	s_and_b32 s14, s14, exec_lo
                                        ; implicit-def: $vgpr48
	s_or_saveexec_b32 s35, s35
	v_mov_b32_e32 v39, s15
	s_xor_b32 exec_lo, exec_lo, s35
	s_cbranch_execz .LBB6_8683
.LBB6_9124:                             ;   in Loop: Header=BB6_8618 Depth=3
	v_cmp_ne_u16_e32 vcc_lo, 0, v48
	v_mov_b32_e32 v39, 0
	s_and_not1_b32 s14, s14, exec_lo
	s_and_b32 s15, vcc_lo, exec_lo
	s_delay_alu instid0(SALU_CYCLE_1)
	s_or_b32 s14, s14, s15
	s_or_b32 exec_lo, exec_lo, s35
	s_and_saveexec_b32 s15, s14
	s_cbranch_execnz .LBB6_8684
	s_branch .LBB6_8685
.LBB6_9125:                             ;   in Loop: Header=BB6_8618 Depth=3
	s_mov_b32 s14, -1
	s_mov_b32 s36, exec_lo
                                        ; implicit-def: $sgpr15
	v_cmpx_eq_u16_e32 0x80, v37
; %bb.9126:                             ;   in Loop: Header=BB6_8618 Depth=3
	s_mov_b32 s15, 0x7f800001
	s_xor_b32 s14, exec_lo, -1
; %bb.9127:                             ;   in Loop: Header=BB6_8618 Depth=3
	s_or_b32 exec_lo, exec_lo, s36
	s_delay_alu instid0(SALU_CYCLE_1)
	s_and_b32 s14, s14, exec_lo
                                        ; implicit-def: $vgpr37
	s_or_saveexec_b32 s35, s35
	v_mov_b32_e32 v38, s15
	s_xor_b32 exec_lo, exec_lo, s35
	s_cbranch_execz .LBB6_8690
.LBB6_9128:                             ;   in Loop: Header=BB6_8618 Depth=3
	v_cmp_ne_u16_e32 vcc_lo, 0, v37
	v_mov_b32_e32 v38, 0
	s_and_not1_b32 s14, s14, exec_lo
	s_and_b32 s15, vcc_lo, exec_lo
	s_delay_alu instid0(SALU_CYCLE_1)
	s_or_b32 s14, s14, s15
	s_or_b32 exec_lo, exec_lo, s35
	s_and_saveexec_b32 s15, s14
	s_cbranch_execnz .LBB6_8691
	s_branch .LBB6_8692
.LBB6_9129:                             ;   in Loop: Header=BB6_8618 Depth=3
	s_mov_b32 s14, -1
	s_mov_b32 s36, exec_lo
                                        ; implicit-def: $sgpr15
	v_cmpx_eq_u16_e32 0x80, v37
; %bb.9130:                             ;   in Loop: Header=BB6_8618 Depth=3
	s_mov_b32 s15, 0x7f800001
	s_xor_b32 s14, exec_lo, -1
; %bb.9131:                             ;   in Loop: Header=BB6_8618 Depth=3
	s_or_b32 exec_lo, exec_lo, s36
	s_delay_alu instid0(SALU_CYCLE_1)
	s_and_b32 s14, s14, exec_lo
                                        ; implicit-def: $vgpr37
	s_or_saveexec_b32 s35, s35
	v_mov_b32_e32 v36, s15
	s_xor_b32 exec_lo, exec_lo, s35
	s_cbranch_execz .LBB6_8694
.LBB6_9132:                             ;   in Loop: Header=BB6_8618 Depth=3
	v_cmp_ne_u16_e32 vcc_lo, 0, v37
	v_mov_b32_e32 v36, 0
	s_and_not1_b32 s14, s14, exec_lo
	s_and_b32 s15, vcc_lo, exec_lo
	s_delay_alu instid0(SALU_CYCLE_1)
	s_or_b32 s14, s14, s15
	s_or_b32 exec_lo, exec_lo, s35
	s_and_saveexec_b32 s15, s14
	s_cbranch_execnz .LBB6_8695
	s_branch .LBB6_8696
.LBB6_9133:                             ;   in Loop: Header=BB6_8618 Depth=3
	s_mov_b32 s15, -1
	s_mov_b32 s36, exec_lo
                                        ; implicit-def: $sgpr35
	v_cmpx_eq_u16_e32 0x80, v37
; %bb.9134:                             ;   in Loop: Header=BB6_8618 Depth=3
	s_mov_b32 s35, 0x7f800001
	s_xor_b32 s15, exec_lo, -1
; %bb.9135:                             ;   in Loop: Header=BB6_8618 Depth=3
	s_or_b32 exec_lo, exec_lo, s36
	s_delay_alu instid0(SALU_CYCLE_1)
	s_and_b32 s15, s15, exec_lo
	s_or_saveexec_b32 s14, s14
	v_mov_b32_e32 v38, s35
	s_xor_b32 exec_lo, exec_lo, s14
	s_cbranch_execz .LBB6_8708
.LBB6_9136:                             ;   in Loop: Header=BB6_8618 Depth=3
	v_cmp_ne_u16_e32 vcc_lo, 0, v37
	v_mov_b32_e32 v38, 0
	s_and_not1_b32 s15, s15, exec_lo
	s_and_b32 vcc_lo, vcc_lo, exec_lo
	s_delay_alu instid0(SALU_CYCLE_1)
	s_or_b32 s15, s15, vcc_lo
	s_or_b32 exec_lo, exec_lo, s14
	s_and_saveexec_b32 s14, s15
	s_cbranch_execnz .LBB6_8709
	s_branch .LBB6_8710
.LBB6_9137:                             ;   in Loop: Header=BB6_8618 Depth=3
	s_mov_b32 s14, -1
	s_mov_b32 s36, exec_lo
                                        ; implicit-def: $sgpr15
	v_cmpx_eq_u16_e32 0x80, v36
; %bb.9138:                             ;   in Loop: Header=BB6_8618 Depth=3
	s_mov_b32 s15, 0x7f800001
	s_xor_b32 s14, exec_lo, -1
; %bb.9139:                             ;   in Loop: Header=BB6_8618 Depth=3
	s_or_b32 exec_lo, exec_lo, s36
	s_delay_alu instid0(SALU_CYCLE_1)
	s_and_b32 s14, s14, exec_lo
	s_or_saveexec_b32 s35, s35
	v_mov_b32_e32 v39, s15
	s_xor_b32 exec_lo, exec_lo, s35
	s_cbranch_execz .LBB6_8712
.LBB6_9140:                             ;   in Loop: Header=BB6_8618 Depth=3
	v_cmp_ne_u16_e32 vcc_lo, 0, v36
	v_mov_b32_e32 v39, 0
	s_and_not1_b32 s14, s14, exec_lo
	s_and_b32 s15, vcc_lo, exec_lo
	s_delay_alu instid0(SALU_CYCLE_1)
	s_or_b32 s14, s14, s15
	s_or_b32 exec_lo, exec_lo, s35
	s_and_saveexec_b32 s15, s14
	s_cbranch_execnz .LBB6_8713
	s_branch .LBB6_8714
.LBB6_9141:                             ;   in Loop: Header=BB6_8618 Depth=3
	s_mov_b32 s14, -1
	s_mov_b32 s36, exec_lo
                                        ; implicit-def: $sgpr15
	v_cmpx_eq_u16_e32 0x80, v37
; %bb.9142:                             ;   in Loop: Header=BB6_8618 Depth=3
	s_mov_b32 s15, 0x7f800001
	s_xor_b32 s14, exec_lo, -1
; %bb.9143:                             ;   in Loop: Header=BB6_8618 Depth=3
	s_or_b32 exec_lo, exec_lo, s36
	s_delay_alu instid0(SALU_CYCLE_1)
	s_and_b32 s14, s14, exec_lo
	s_or_saveexec_b32 s35, s35
	v_mov_b32_e32 v38, s15
	s_xor_b32 exec_lo, exec_lo, s35
	s_cbranch_execz .LBB6_8719
.LBB6_9144:                             ;   in Loop: Header=BB6_8618 Depth=3
	v_cmp_ne_u16_e32 vcc_lo, 0, v37
	v_mov_b32_e32 v38, 0
	s_and_not1_b32 s14, s14, exec_lo
	s_and_b32 s15, vcc_lo, exec_lo
	s_delay_alu instid0(SALU_CYCLE_1)
	s_or_b32 s14, s14, s15
	s_or_b32 exec_lo, exec_lo, s35
	s_and_saveexec_b32 s15, s14
	s_cbranch_execnz .LBB6_8720
	s_branch .LBB6_8721
.LBB6_9145:                             ;   in Loop: Header=BB6_8618 Depth=3
	s_mov_b32 s14, -1
	s_mov_b32 s36, exec_lo
                                        ; implicit-def: $sgpr15
	v_cmpx_eq_u16_e32 0x80, v36
; %bb.9146:                             ;   in Loop: Header=BB6_8618 Depth=3
	s_mov_b32 s15, 0x7f800001
	s_xor_b32 s14, exec_lo, -1
; %bb.9147:                             ;   in Loop: Header=BB6_8618 Depth=3
	s_or_b32 exec_lo, exec_lo, s36
	s_delay_alu instid0(SALU_CYCLE_1)
	s_and_b32 s14, s14, exec_lo
	s_or_saveexec_b32 s35, s35
	v_mov_b32_e32 v12, s15
	s_xor_b32 exec_lo, exec_lo, s35
	s_cbranch_execz .LBB6_8723
.LBB6_9148:                             ;   in Loop: Header=BB6_8618 Depth=3
	v_cmp_ne_u16_e32 vcc_lo, 0, v36
	v_mov_b32_e32 v12, 0
	s_and_not1_b32 s14, s14, exec_lo
	s_and_b32 s15, vcc_lo, exec_lo
	s_delay_alu instid0(SALU_CYCLE_1)
	s_or_b32 s14, s14, s15
	s_or_b32 exec_lo, exec_lo, s35
	s_and_saveexec_b32 s15, s14
	s_cbranch_execnz .LBB6_8724
	s_branch .LBB6_8725
.LBB6_9149:                             ;   in Loop: Header=BB6_8618 Depth=3
	s_mov_b32 s15, -1
	s_mov_b32 s36, exec_lo
                                        ; implicit-def: $sgpr35
	v_cmpx_eq_u16_e32 0x80, v12
; %bb.9150:                             ;   in Loop: Header=BB6_8618 Depth=3
	s_mov_b32 s35, 0x7f800001
	s_xor_b32 s15, exec_lo, -1
; %bb.9151:                             ;   in Loop: Header=BB6_8618 Depth=3
	s_or_b32 exec_lo, exec_lo, s36
	s_delay_alu instid0(SALU_CYCLE_1)
	s_and_b32 s15, s15, exec_lo
	s_or_saveexec_b32 s14, s14
	v_mov_b32_e32 v36, s35
	s_xor_b32 exec_lo, exec_lo, s14
	s_cbranch_execz .LBB6_8737
.LBB6_9152:                             ;   in Loop: Header=BB6_8618 Depth=3
	v_cmp_ne_u16_e32 vcc_lo, 0, v12
	v_mov_b32_e32 v36, 0
	s_and_not1_b32 s15, s15, exec_lo
	s_and_b32 vcc_lo, vcc_lo, exec_lo
	s_delay_alu instid0(SALU_CYCLE_1)
	s_or_b32 s15, s15, vcc_lo
	s_or_b32 exec_lo, exec_lo, s14
	s_and_saveexec_b32 s14, s15
	s_cbranch_execnz .LBB6_8738
	s_branch .LBB6_8739
.LBB6_9153:                             ;   in Loop: Header=BB6_8618 Depth=3
	s_mov_b32 s14, -1
	s_mov_b32 s36, exec_lo
                                        ; implicit-def: $sgpr15
	v_cmpx_eq_u16_e32 0x80, v38
; %bb.9154:                             ;   in Loop: Header=BB6_8618 Depth=3
	s_mov_b32 s15, 0x7f800001
	s_xor_b32 s14, exec_lo, -1
; %bb.9155:                             ;   in Loop: Header=BB6_8618 Depth=3
	s_or_b32 exec_lo, exec_lo, s36
	s_delay_alu instid0(SALU_CYCLE_1)
	s_and_b32 s14, s14, exec_lo
                                        ; implicit-def: $vgpr38
	s_or_saveexec_b32 s35, s35
	v_mov_b32_e32 v37, s15
	s_xor_b32 exec_lo, exec_lo, s35
	s_cbranch_execz .LBB6_8741
.LBB6_9156:                             ;   in Loop: Header=BB6_8618 Depth=3
	v_cmp_ne_u16_e32 vcc_lo, 0, v38
	v_mov_b32_e32 v37, 0
	s_and_not1_b32 s14, s14, exec_lo
	s_and_b32 s15, vcc_lo, exec_lo
	s_delay_alu instid0(SALU_CYCLE_1)
	s_or_b32 s14, s14, s15
	s_or_b32 exec_lo, exec_lo, s35
	s_and_saveexec_b32 s15, s14
	s_cbranch_execnz .LBB6_8742
	s_branch .LBB6_8743
.LBB6_9157:                             ;   in Loop: Header=BB6_8618 Depth=3
	s_mov_b32 s14, -1
	s_mov_b32 s36, exec_lo
                                        ; implicit-def: $sgpr15
	v_cmpx_eq_u16_e32 0x80, v12
; %bb.9158:                             ;   in Loop: Header=BB6_8618 Depth=3
	s_mov_b32 s15, 0x7f800001
	s_xor_b32 s14, exec_lo, -1
; %bb.9159:                             ;   in Loop: Header=BB6_8618 Depth=3
	s_or_b32 exec_lo, exec_lo, s36
	s_delay_alu instid0(SALU_CYCLE_1)
	s_and_b32 s14, s14, exec_lo
                                        ; implicit-def: $vgpr12
	s_or_saveexec_b32 s35, s35
	v_mov_b32_e32 v36, s15
	s_xor_b32 exec_lo, exec_lo, s35
	s_cbranch_execz .LBB6_8748
.LBB6_9160:                             ;   in Loop: Header=BB6_8618 Depth=3
	v_cmp_ne_u16_e32 vcc_lo, 0, v12
	v_mov_b32_e32 v36, 0
	s_and_not1_b32 s14, s14, exec_lo
	s_and_b32 s15, vcc_lo, exec_lo
	s_delay_alu instid0(SALU_CYCLE_1)
	s_or_b32 s14, s14, s15
	s_or_b32 exec_lo, exec_lo, s35
	s_and_saveexec_b32 s15, s14
	s_cbranch_execnz .LBB6_8749
	s_branch .LBB6_8750
.LBB6_9161:                             ;   in Loop: Header=BB6_8618 Depth=3
	s_mov_b32 s14, -1
	s_mov_b32 s36, exec_lo
                                        ; implicit-def: $sgpr15
	v_cmpx_eq_u16_e32 0x80, v37
; %bb.9162:                             ;   in Loop: Header=BB6_8618 Depth=3
	s_mov_b32 s15, 0x7f800001
	s_xor_b32 s14, exec_lo, -1
; %bb.9163:                             ;   in Loop: Header=BB6_8618 Depth=3
	s_or_b32 exec_lo, exec_lo, s36
	s_delay_alu instid0(SALU_CYCLE_1)
	s_and_b32 s14, s14, exec_lo
                                        ; implicit-def: $vgpr37
	s_or_saveexec_b32 s35, s35
	v_mov_b32_e32 v12, s15
	s_xor_b32 exec_lo, exec_lo, s35
	s_cbranch_execz .LBB6_8752
.LBB6_9164:                             ;   in Loop: Header=BB6_8618 Depth=3
	v_cmp_ne_u16_e32 vcc_lo, 0, v37
	v_mov_b32_e32 v12, 0
	s_and_not1_b32 s14, s14, exec_lo
	s_and_b32 s15, vcc_lo, exec_lo
	s_delay_alu instid0(SALU_CYCLE_1)
	s_or_b32 s14, s14, s15
	s_or_b32 exec_lo, exec_lo, s35
	s_and_saveexec_b32 s15, s14
	s_cbranch_execnz .LBB6_8753
	s_branch .LBB6_8754
.LBB6_9165:                             ;   in Loop: Header=BB6_8618 Depth=3
	s_mov_b32 s15, -1
	s_mov_b32 s36, exec_lo
                                        ; implicit-def: $sgpr35
	v_cmpx_eq_u16_e32 0x80, v37
; %bb.9166:                             ;   in Loop: Header=BB6_8618 Depth=3
	s_mov_b32 s35, 0x7f800001
	s_xor_b32 s15, exec_lo, -1
; %bb.9167:                             ;   in Loop: Header=BB6_8618 Depth=3
	s_or_b32 exec_lo, exec_lo, s36
	s_delay_alu instid0(SALU_CYCLE_1)
	s_and_b32 s15, s15, exec_lo
	s_or_saveexec_b32 s14, s14
	v_mov_b32_e32 v38, s35
	s_xor_b32 exec_lo, exec_lo, s14
	s_cbranch_execz .LBB6_8766
.LBB6_9168:                             ;   in Loop: Header=BB6_8618 Depth=3
	v_cmp_ne_u16_e32 vcc_lo, 0, v37
	v_mov_b32_e32 v38, 0
	s_and_not1_b32 s15, s15, exec_lo
	s_and_b32 vcc_lo, vcc_lo, exec_lo
	s_delay_alu instid0(SALU_CYCLE_1)
	s_or_b32 s15, s15, vcc_lo
	s_or_b32 exec_lo, exec_lo, s14
	s_and_saveexec_b32 s14, s15
	s_cbranch_execnz .LBB6_8767
	s_branch .LBB6_8768
.LBB6_9169:                             ;   in Loop: Header=BB6_8618 Depth=3
	s_mov_b32 s14, -1
	s_mov_b32 s36, exec_lo
                                        ; implicit-def: $sgpr15
	v_cmpx_eq_u16_e32 0x80, v36
; %bb.9170:                             ;   in Loop: Header=BB6_8618 Depth=3
	s_mov_b32 s15, 0x7f800001
	s_xor_b32 s14, exec_lo, -1
; %bb.9171:                             ;   in Loop: Header=BB6_8618 Depth=3
	s_or_b32 exec_lo, exec_lo, s36
	s_delay_alu instid0(SALU_CYCLE_1)
	s_and_b32 s14, s14, exec_lo
	s_or_saveexec_b32 s35, s35
	v_mov_b32_e32 v39, s15
	s_xor_b32 exec_lo, exec_lo, s35
	s_cbranch_execz .LBB6_8770
.LBB6_9172:                             ;   in Loop: Header=BB6_8618 Depth=3
	v_cmp_ne_u16_e32 vcc_lo, 0, v36
	v_mov_b32_e32 v39, 0
	s_and_not1_b32 s14, s14, exec_lo
	s_and_b32 s15, vcc_lo, exec_lo
	s_delay_alu instid0(SALU_CYCLE_1)
	s_or_b32 s14, s14, s15
	s_or_b32 exec_lo, exec_lo, s35
	s_and_saveexec_b32 s15, s14
	s_cbranch_execnz .LBB6_8771
	s_branch .LBB6_8772
.LBB6_9173:                             ;   in Loop: Header=BB6_8618 Depth=3
	s_mov_b32 s14, -1
	s_mov_b32 s36, exec_lo
                                        ; implicit-def: $sgpr15
	v_cmpx_eq_u16_e32 0x80, v37
; %bb.9174:                             ;   in Loop: Header=BB6_8618 Depth=3
	s_mov_b32 s15, 0x7f800001
	s_xor_b32 s14, exec_lo, -1
; %bb.9175:                             ;   in Loop: Header=BB6_8618 Depth=3
	s_or_b32 exec_lo, exec_lo, s36
	s_delay_alu instid0(SALU_CYCLE_1)
	s_and_b32 s14, s14, exec_lo
	s_or_saveexec_b32 s35, s35
	v_mov_b32_e32 v38, s15
	s_xor_b32 exec_lo, exec_lo, s35
	s_cbranch_execz .LBB6_8777
.LBB6_9176:                             ;   in Loop: Header=BB6_8618 Depth=3
	v_cmp_ne_u16_e32 vcc_lo, 0, v37
	v_mov_b32_e32 v38, 0
	s_and_not1_b32 s14, s14, exec_lo
	s_and_b32 s15, vcc_lo, exec_lo
	s_delay_alu instid0(SALU_CYCLE_1)
	s_or_b32 s14, s14, s15
	s_or_b32 exec_lo, exec_lo, s35
	s_and_saveexec_b32 s15, s14
	s_cbranch_execnz .LBB6_8778
	s_branch .LBB6_8779
.LBB6_9177:                             ;   in Loop: Header=BB6_8618 Depth=3
	s_mov_b32 s14, -1
	s_mov_b32 s36, exec_lo
                                        ; implicit-def: $sgpr15
	v_cmpx_eq_u16_e32 0x80, v36
; %bb.9178:                             ;   in Loop: Header=BB6_8618 Depth=3
	s_mov_b32 s15, 0x7f800001
	s_xor_b32 s14, exec_lo, -1
; %bb.9179:                             ;   in Loop: Header=BB6_8618 Depth=3
	s_or_b32 exec_lo, exec_lo, s36
	s_delay_alu instid0(SALU_CYCLE_1)
	s_and_b32 s14, s14, exec_lo
	s_or_saveexec_b32 s35, s35
	v_mov_b32_e32 v37, s15
	s_xor_b32 exec_lo, exec_lo, s35
	s_cbranch_execz .LBB6_8781
.LBB6_9180:                             ;   in Loop: Header=BB6_8618 Depth=3
	v_cmp_ne_u16_e32 vcc_lo, 0, v36
	v_mov_b32_e32 v37, 0
	s_and_not1_b32 s14, s14, exec_lo
	s_and_b32 s15, vcc_lo, exec_lo
	s_delay_alu instid0(SALU_CYCLE_1)
	s_or_b32 s14, s14, s15
	s_or_b32 exec_lo, exec_lo, s35
	s_and_saveexec_b32 s15, s14
	s_cbranch_execnz .LBB6_8782
	s_branch .LBB6_8783
.LBB6_9181:                             ;   in Loop: Header=BB6_8618 Depth=3
	s_mov_b32 s15, -1
	s_mov_b32 s36, exec_lo
                                        ; implicit-def: $sgpr35
	v_cmpx_eq_u16_e32 0x80, v39
; %bb.9182:                             ;   in Loop: Header=BB6_8618 Depth=3
	s_mov_b32 s35, 0x7f800001
	s_xor_b32 s15, exec_lo, -1
; %bb.9183:                             ;   in Loop: Header=BB6_8618 Depth=3
	s_or_b32 exec_lo, exec_lo, s36
	s_delay_alu instid0(SALU_CYCLE_1)
	s_and_b32 s15, s15, exec_lo
	s_or_saveexec_b32 s14, s14
	v_mov_b32_e32 v48, s35
	s_xor_b32 exec_lo, exec_lo, s14
	s_cbranch_execz .LBB6_8795
.LBB6_9184:                             ;   in Loop: Header=BB6_8618 Depth=3
	v_cmp_ne_u16_e32 vcc_lo, 0, v39
	v_mov_b32_e32 v48, 0
	s_and_not1_b32 s15, s15, exec_lo
	s_and_b32 vcc_lo, vcc_lo, exec_lo
	s_delay_alu instid0(SALU_CYCLE_1)
	s_or_b32 s15, s15, vcc_lo
	s_or_b32 exec_lo, exec_lo, s14
	s_and_saveexec_b32 s14, s15
	s_cbranch_execnz .LBB6_8796
	s_branch .LBB6_8797
.LBB6_9185:                             ;   in Loop: Header=BB6_8618 Depth=3
	s_mov_b32 s14, -1
	s_mov_b32 s36, exec_lo
                                        ; implicit-def: $sgpr15
	v_cmpx_eq_u16_e32 0x80, v50
; %bb.9186:                             ;   in Loop: Header=BB6_8618 Depth=3
	s_mov_b32 s15, 0x7f800001
	s_xor_b32 s14, exec_lo, -1
; %bb.9187:                             ;   in Loop: Header=BB6_8618 Depth=3
	s_or_b32 exec_lo, exec_lo, s36
	s_delay_alu instid0(SALU_CYCLE_1)
	s_and_b32 s14, s14, exec_lo
                                        ; implicit-def: $vgpr50
	s_or_saveexec_b32 s35, s35
	v_mov_b32_e32 v49, s15
	s_xor_b32 exec_lo, exec_lo, s35
	s_cbranch_execz .LBB6_8799
.LBB6_9188:                             ;   in Loop: Header=BB6_8618 Depth=3
	v_cmp_ne_u16_e32 vcc_lo, 0, v50
	v_mov_b32_e32 v49, 0
	s_and_not1_b32 s14, s14, exec_lo
	s_and_b32 s15, vcc_lo, exec_lo
	s_delay_alu instid0(SALU_CYCLE_1)
	s_or_b32 s14, s14, s15
	s_or_b32 exec_lo, exec_lo, s35
	s_and_saveexec_b32 s15, s14
	s_cbranch_execnz .LBB6_8800
	s_branch .LBB6_8801
.LBB6_9189:                             ;   in Loop: Header=BB6_8618 Depth=3
	s_mov_b32 s14, -1
	s_mov_b32 s36, exec_lo
                                        ; implicit-def: $sgpr15
	v_cmpx_eq_u16_e32 0x80, v39
; %bb.9190:                             ;   in Loop: Header=BB6_8618 Depth=3
	s_mov_b32 s15, 0x7f800001
	s_xor_b32 s14, exec_lo, -1
; %bb.9191:                             ;   in Loop: Header=BB6_8618 Depth=3
	s_or_b32 exec_lo, exec_lo, s36
	s_delay_alu instid0(SALU_CYCLE_1)
	s_and_b32 s14, s14, exec_lo
                                        ; implicit-def: $vgpr39
	s_or_saveexec_b32 s35, s35
	v_mov_b32_e32 v48, s15
	s_xor_b32 exec_lo, exec_lo, s35
	s_cbranch_execz .LBB6_8806
.LBB6_9192:                             ;   in Loop: Header=BB6_8618 Depth=3
	v_cmp_ne_u16_e32 vcc_lo, 0, v39
	v_mov_b32_e32 v48, 0
	s_and_not1_b32 s14, s14, exec_lo
	s_and_b32 s15, vcc_lo, exec_lo
	s_delay_alu instid0(SALU_CYCLE_1)
	s_or_b32 s14, s14, s15
	s_or_b32 exec_lo, exec_lo, s35
	s_and_saveexec_b32 s15, s14
	s_cbranch_execnz .LBB6_8807
	s_branch .LBB6_8808
.LBB6_9193:                             ;   in Loop: Header=BB6_8618 Depth=3
	s_mov_b32 s14, -1
	s_mov_b32 s36, exec_lo
                                        ; implicit-def: $sgpr15
	v_cmpx_eq_u16_e32 0x80, v39
; %bb.9194:                             ;   in Loop: Header=BB6_8618 Depth=3
	s_mov_b32 s15, 0x7f800001
	s_xor_b32 s14, exec_lo, -1
; %bb.9195:                             ;   in Loop: Header=BB6_8618 Depth=3
	s_or_b32 exec_lo, exec_lo, s36
	s_delay_alu instid0(SALU_CYCLE_1)
	s_and_b32 s14, s14, exec_lo
                                        ; implicit-def: $vgpr39
	s_or_saveexec_b32 s35, s35
	v_mov_b32_e32 v38, s15
	s_xor_b32 exec_lo, exec_lo, s35
	s_cbranch_execz .LBB6_8810
.LBB6_9196:                             ;   in Loop: Header=BB6_8618 Depth=3
	v_cmp_ne_u16_e32 vcc_lo, 0, v39
	v_mov_b32_e32 v38, 0
	s_and_not1_b32 s14, s14, exec_lo
	s_and_b32 s15, vcc_lo, exec_lo
	s_delay_alu instid0(SALU_CYCLE_1)
	s_or_b32 s14, s14, s15
	s_or_b32 exec_lo, exec_lo, s35
	s_and_saveexec_b32 s15, s14
	s_cbranch_execnz .LBB6_8811
	s_branch .LBB6_8812
.LBB6_9197:                             ;   in Loop: Header=BB6_8618 Depth=3
	s_mov_b32 s15, -1
	s_mov_b32 s36, exec_lo
                                        ; implicit-def: $sgpr35
	v_cmpx_eq_u16_e32 0x80, v39
; %bb.9198:                             ;   in Loop: Header=BB6_8618 Depth=3
	s_mov_b32 s35, 0x7f800001
	s_xor_b32 s15, exec_lo, -1
; %bb.9199:                             ;   in Loop: Header=BB6_8618 Depth=3
	s_or_b32 exec_lo, exec_lo, s36
	s_delay_alu instid0(SALU_CYCLE_1)
	s_and_b32 s15, s15, exec_lo
	s_or_saveexec_b32 s14, s14
	v_mov_b32_e32 v48, s35
	s_xor_b32 exec_lo, exec_lo, s14
	s_cbranch_execz .LBB6_8824
.LBB6_9200:                             ;   in Loop: Header=BB6_8618 Depth=3
	v_cmp_ne_u16_e32 vcc_lo, 0, v39
	v_mov_b32_e32 v48, 0
	s_and_not1_b32 s15, s15, exec_lo
	s_and_b32 vcc_lo, vcc_lo, exec_lo
	s_delay_alu instid0(SALU_CYCLE_1)
	s_or_b32 s15, s15, vcc_lo
	s_or_b32 exec_lo, exec_lo, s14
	s_and_saveexec_b32 s14, s15
	s_cbranch_execnz .LBB6_8825
	s_branch .LBB6_8826
.LBB6_9201:                             ;   in Loop: Header=BB6_8618 Depth=3
	s_mov_b32 s14, -1
	s_mov_b32 s36, exec_lo
                                        ; implicit-def: $sgpr15
	v_cmpx_eq_u16_e32 0x80, v38
; %bb.9202:                             ;   in Loop: Header=BB6_8618 Depth=3
	s_mov_b32 s15, 0x7f800001
	s_xor_b32 s14, exec_lo, -1
; %bb.9203:                             ;   in Loop: Header=BB6_8618 Depth=3
	s_or_b32 exec_lo, exec_lo, s36
	s_delay_alu instid0(SALU_CYCLE_1)
	s_and_b32 s14, s14, exec_lo
	s_or_saveexec_b32 s35, s35
	v_mov_b32_e32 v49, s15
	s_xor_b32 exec_lo, exec_lo, s35
	s_cbranch_execz .LBB6_8828
.LBB6_9204:                             ;   in Loop: Header=BB6_8618 Depth=3
	v_cmp_ne_u16_e32 vcc_lo, 0, v38
	v_mov_b32_e32 v49, 0
	s_and_not1_b32 s14, s14, exec_lo
	s_and_b32 s15, vcc_lo, exec_lo
	s_delay_alu instid0(SALU_CYCLE_1)
	s_or_b32 s14, s14, s15
	s_or_b32 exec_lo, exec_lo, s35
	s_and_saveexec_b32 s15, s14
	s_cbranch_execnz .LBB6_8829
	s_branch .LBB6_8830
.LBB6_9205:                             ;   in Loop: Header=BB6_8618 Depth=3
	s_mov_b32 s14, -1
	s_mov_b32 s36, exec_lo
                                        ; implicit-def: $sgpr15
	v_cmpx_eq_u16_e32 0x80, v39
; %bb.9206:                             ;   in Loop: Header=BB6_8618 Depth=3
	s_mov_b32 s15, 0x7f800001
	s_xor_b32 s14, exec_lo, -1
; %bb.9207:                             ;   in Loop: Header=BB6_8618 Depth=3
	s_or_b32 exec_lo, exec_lo, s36
	s_delay_alu instid0(SALU_CYCLE_1)
	s_and_b32 s14, s14, exec_lo
	s_or_saveexec_b32 s35, s35
	v_mov_b32_e32 v48, s15
	s_xor_b32 exec_lo, exec_lo, s35
	s_cbranch_execz .LBB6_8835
.LBB6_9208:                             ;   in Loop: Header=BB6_8618 Depth=3
	v_cmp_ne_u16_e32 vcc_lo, 0, v39
	v_mov_b32_e32 v48, 0
	s_and_not1_b32 s14, s14, exec_lo
	s_and_b32 s15, vcc_lo, exec_lo
	s_delay_alu instid0(SALU_CYCLE_1)
	s_or_b32 s14, s14, s15
	s_or_b32 exec_lo, exec_lo, s35
	s_and_saveexec_b32 s15, s14
	s_cbranch_execnz .LBB6_8836
	s_branch .LBB6_8837
.LBB6_9209:                             ;   in Loop: Header=BB6_8618 Depth=3
	s_mov_b32 s14, -1
	s_mov_b32 s36, exec_lo
                                        ; implicit-def: $sgpr15
	v_cmpx_eq_u16_e32 0x80, v38
; %bb.9210:                             ;   in Loop: Header=BB6_8618 Depth=3
	s_mov_b32 s15, 0x7f800001
	s_xor_b32 s14, exec_lo, -1
; %bb.9211:                             ;   in Loop: Header=BB6_8618 Depth=3
	s_or_b32 exec_lo, exec_lo, s36
	s_delay_alu instid0(SALU_CYCLE_1)
	s_and_b32 s14, s14, exec_lo
	s_or_saveexec_b32 s35, s35
	v_mov_b32_e32 v13, s15
	s_xor_b32 exec_lo, exec_lo, s35
	s_cbranch_execz .LBB6_8839
.LBB6_9212:                             ;   in Loop: Header=BB6_8618 Depth=3
	v_cmp_ne_u16_e32 vcc_lo, 0, v38
	v_mov_b32_e32 v13, 0
	s_and_not1_b32 s14, s14, exec_lo
	s_and_b32 s15, vcc_lo, exec_lo
	s_delay_alu instid0(SALU_CYCLE_1)
	s_or_b32 s14, s14, s15
	s_or_b32 exec_lo, exec_lo, s35
	s_and_saveexec_b32 s15, s14
	s_cbranch_execnz .LBB6_8840
	s_branch .LBB6_8841
.LBB6_9213:                             ;   in Loop: Header=BB6_8618 Depth=3
	s_mov_b32 s15, -1
	s_mov_b32 s36, exec_lo
                                        ; implicit-def: $sgpr35
	v_cmpx_eq_u16_e32 0x80, v13
; %bb.9214:                             ;   in Loop: Header=BB6_8618 Depth=3
	s_mov_b32 s35, 0x7f800001
	s_xor_b32 s15, exec_lo, -1
; %bb.9215:                             ;   in Loop: Header=BB6_8618 Depth=3
	s_or_b32 exec_lo, exec_lo, s36
	s_delay_alu instid0(SALU_CYCLE_1)
	s_and_b32 s15, s15, exec_lo
	s_or_saveexec_b32 s14, s14
	v_mov_b32_e32 v38, s35
	s_xor_b32 exec_lo, exec_lo, s14
	s_cbranch_execz .LBB6_8853
.LBB6_9216:                             ;   in Loop: Header=BB6_8618 Depth=3
	v_cmp_ne_u16_e32 vcc_lo, 0, v13
	v_mov_b32_e32 v38, 0
	s_and_not1_b32 s15, s15, exec_lo
	s_and_b32 vcc_lo, vcc_lo, exec_lo
	s_delay_alu instid0(SALU_CYCLE_1)
	s_or_b32 s15, s15, vcc_lo
	s_or_b32 exec_lo, exec_lo, s14
	s_and_saveexec_b32 s14, s15
	s_cbranch_execnz .LBB6_8854
	s_branch .LBB6_8855
.LBB6_9217:                             ;   in Loop: Header=BB6_8618 Depth=3
	s_mov_b32 s14, -1
	s_mov_b32 s36, exec_lo
                                        ; implicit-def: $sgpr15
	v_cmpx_eq_u16_e32 0x80, v48
; %bb.9218:                             ;   in Loop: Header=BB6_8618 Depth=3
	s_mov_b32 s15, 0x7f800001
	s_xor_b32 s14, exec_lo, -1
; %bb.9219:                             ;   in Loop: Header=BB6_8618 Depth=3
	s_or_b32 exec_lo, exec_lo, s36
	s_delay_alu instid0(SALU_CYCLE_1)
	s_and_b32 s14, s14, exec_lo
                                        ; implicit-def: $vgpr48
	s_or_saveexec_b32 s35, s35
	v_mov_b32_e32 v39, s15
	s_xor_b32 exec_lo, exec_lo, s35
	s_cbranch_execz .LBB6_8857
.LBB6_9220:                             ;   in Loop: Header=BB6_8618 Depth=3
	v_cmp_ne_u16_e32 vcc_lo, 0, v48
	v_mov_b32_e32 v39, 0
	s_and_not1_b32 s14, s14, exec_lo
	s_and_b32 s15, vcc_lo, exec_lo
	s_delay_alu instid0(SALU_CYCLE_1)
	s_or_b32 s14, s14, s15
	s_or_b32 exec_lo, exec_lo, s35
	s_and_saveexec_b32 s15, s14
	s_cbranch_execnz .LBB6_8858
	s_branch .LBB6_8859
.LBB6_9221:                             ;   in Loop: Header=BB6_8618 Depth=3
	s_mov_b32 s14, -1
	s_mov_b32 s36, exec_lo
                                        ; implicit-def: $sgpr15
	v_cmpx_eq_u16_e32 0x80, v13
; %bb.9222:                             ;   in Loop: Header=BB6_8618 Depth=3
	s_mov_b32 s15, 0x7f800001
	s_xor_b32 s14, exec_lo, -1
; %bb.9223:                             ;   in Loop: Header=BB6_8618 Depth=3
	s_or_b32 exec_lo, exec_lo, s36
	s_delay_alu instid0(SALU_CYCLE_1)
	s_and_b32 s14, s14, exec_lo
                                        ; implicit-def: $vgpr13
	s_or_saveexec_b32 s35, s35
	v_mov_b32_e32 v38, s15
	s_xor_b32 exec_lo, exec_lo, s35
	s_cbranch_execz .LBB6_8864
.LBB6_9224:                             ;   in Loop: Header=BB6_8618 Depth=3
	v_cmp_ne_u16_e32 vcc_lo, 0, v13
	v_mov_b32_e32 v38, 0
	s_and_not1_b32 s14, s14, exec_lo
	s_and_b32 s15, vcc_lo, exec_lo
	s_delay_alu instid0(SALU_CYCLE_1)
	s_or_b32 s14, s14, s15
	s_or_b32 exec_lo, exec_lo, s35
	s_and_saveexec_b32 s15, s14
	s_cbranch_execnz .LBB6_8865
	s_branch .LBB6_8866
.LBB6_9225:                             ;   in Loop: Header=BB6_8618 Depth=3
	s_mov_b32 s14, -1
	s_mov_b32 s36, exec_lo
                                        ; implicit-def: $sgpr15
	v_cmpx_eq_u16_e32 0x80, v39
; %bb.9226:                             ;   in Loop: Header=BB6_8618 Depth=3
	s_mov_b32 s15, 0x7f800001
	s_xor_b32 s14, exec_lo, -1
; %bb.9227:                             ;   in Loop: Header=BB6_8618 Depth=3
	s_or_b32 exec_lo, exec_lo, s36
	s_delay_alu instid0(SALU_CYCLE_1)
	s_and_b32 s14, s14, exec_lo
                                        ; implicit-def: $vgpr39
	s_or_saveexec_b32 s35, s35
	v_mov_b32_e32 v13, s15
	s_xor_b32 exec_lo, exec_lo, s35
	s_cbranch_execz .LBB6_8868
.LBB6_9228:                             ;   in Loop: Header=BB6_8618 Depth=3
	v_cmp_ne_u16_e32 vcc_lo, 0, v39
	v_mov_b32_e32 v13, 0
	s_and_not1_b32 s14, s14, exec_lo
	s_and_b32 s15, vcc_lo, exec_lo
	s_delay_alu instid0(SALU_CYCLE_1)
	s_or_b32 s14, s14, s15
	s_or_b32 exec_lo, exec_lo, s35
	s_and_saveexec_b32 s15, s14
	s_cbranch_execnz .LBB6_8869
	s_branch .LBB6_8870
.LBB6_9229:                             ;   in Loop: Header=BB6_8618 Depth=3
	s_mov_b32 s15, -1
	s_mov_b32 s36, exec_lo
                                        ; implicit-def: $sgpr35
	v_cmpx_eq_u16_e32 0x80, v39
; %bb.9230:                             ;   in Loop: Header=BB6_8618 Depth=3
	s_mov_b32 s35, 0x7f800001
	s_xor_b32 s15, exec_lo, -1
; %bb.9231:                             ;   in Loop: Header=BB6_8618 Depth=3
	s_or_b32 exec_lo, exec_lo, s36
	s_delay_alu instid0(SALU_CYCLE_1)
	s_and_b32 s15, s15, exec_lo
	s_or_saveexec_b32 s14, s14
	v_mov_b32_e32 v48, s35
	s_xor_b32 exec_lo, exec_lo, s14
	s_cbranch_execz .LBB6_8882
.LBB6_9232:                             ;   in Loop: Header=BB6_8618 Depth=3
	v_cmp_ne_u16_e32 vcc_lo, 0, v39
	v_mov_b32_e32 v48, 0
	s_and_not1_b32 s15, s15, exec_lo
	s_and_b32 vcc_lo, vcc_lo, exec_lo
	s_delay_alu instid0(SALU_CYCLE_1)
	s_or_b32 s15, s15, vcc_lo
	s_or_b32 exec_lo, exec_lo, s14
	s_and_saveexec_b32 s14, s15
	s_cbranch_execnz .LBB6_8883
	s_branch .LBB6_8884
.LBB6_9233:                             ;   in Loop: Header=BB6_8618 Depth=3
	s_mov_b32 s14, -1
	s_mov_b32 s36, exec_lo
                                        ; implicit-def: $sgpr15
	v_cmpx_eq_u16_e32 0x80, v38
; %bb.9234:                             ;   in Loop: Header=BB6_8618 Depth=3
	s_mov_b32 s15, 0x7f800001
	s_xor_b32 s14, exec_lo, -1
; %bb.9235:                             ;   in Loop: Header=BB6_8618 Depth=3
	s_or_b32 exec_lo, exec_lo, s36
	s_delay_alu instid0(SALU_CYCLE_1)
	s_and_b32 s14, s14, exec_lo
	s_or_saveexec_b32 s35, s35
	v_mov_b32_e32 v49, s15
	s_xor_b32 exec_lo, exec_lo, s35
	s_cbranch_execz .LBB6_8886
.LBB6_9236:                             ;   in Loop: Header=BB6_8618 Depth=3
	v_cmp_ne_u16_e32 vcc_lo, 0, v38
	v_mov_b32_e32 v49, 0
	s_and_not1_b32 s14, s14, exec_lo
	s_and_b32 s15, vcc_lo, exec_lo
	s_delay_alu instid0(SALU_CYCLE_1)
	s_or_b32 s14, s14, s15
	s_or_b32 exec_lo, exec_lo, s35
	s_and_saveexec_b32 s15, s14
	s_cbranch_execnz .LBB6_8887
	s_branch .LBB6_8888
.LBB6_9237:                             ;   in Loop: Header=BB6_8618 Depth=3
	s_mov_b32 s14, -1
	s_mov_b32 s36, exec_lo
                                        ; implicit-def: $sgpr15
	v_cmpx_eq_u16_e32 0x80, v39
; %bb.9238:                             ;   in Loop: Header=BB6_8618 Depth=3
	s_mov_b32 s15, 0x7f800001
	s_xor_b32 s14, exec_lo, -1
; %bb.9239:                             ;   in Loop: Header=BB6_8618 Depth=3
	s_or_b32 exec_lo, exec_lo, s36
	s_delay_alu instid0(SALU_CYCLE_1)
	s_and_b32 s14, s14, exec_lo
	s_or_saveexec_b32 s35, s35
	v_mov_b32_e32 v48, s15
	s_xor_b32 exec_lo, exec_lo, s35
	s_cbranch_execz .LBB6_8893
.LBB6_9240:                             ;   in Loop: Header=BB6_8618 Depth=3
	v_cmp_ne_u16_e32 vcc_lo, 0, v39
	v_mov_b32_e32 v48, 0
	s_and_not1_b32 s14, s14, exec_lo
	s_and_b32 s15, vcc_lo, exec_lo
	s_delay_alu instid0(SALU_CYCLE_1)
	s_or_b32 s14, s14, s15
	s_or_b32 exec_lo, exec_lo, s35
	s_and_saveexec_b32 s15, s14
	s_cbranch_execnz .LBB6_8894
	s_branch .LBB6_8895
.LBB6_9241:                             ;   in Loop: Header=BB6_8618 Depth=3
	s_mov_b32 s14, -1
	s_mov_b32 s36, exec_lo
                                        ; implicit-def: $sgpr15
	v_cmpx_eq_u16_e32 0x80, v38
; %bb.9242:                             ;   in Loop: Header=BB6_8618 Depth=3
	s_mov_b32 s15, 0x7f800001
	s_xor_b32 s14, exec_lo, -1
; %bb.9243:                             ;   in Loop: Header=BB6_8618 Depth=3
	s_or_b32 exec_lo, exec_lo, s36
	s_delay_alu instid0(SALU_CYCLE_1)
	s_and_b32 s14, s14, exec_lo
	s_or_saveexec_b32 s35, s35
	v_mov_b32_e32 v39, s15
	s_xor_b32 exec_lo, exec_lo, s35
	s_cbranch_execz .LBB6_8897
.LBB6_9244:                             ;   in Loop: Header=BB6_8618 Depth=3
	v_cmp_ne_u16_e32 vcc_lo, 0, v38
	v_mov_b32_e32 v39, 0
	s_and_not1_b32 s14, s14, exec_lo
	s_and_b32 s15, vcc_lo, exec_lo
	s_delay_alu instid0(SALU_CYCLE_1)
	s_or_b32 s14, s14, s15
	s_or_b32 exec_lo, exec_lo, s35
	s_and_saveexec_b32 s15, s14
	s_cbranch_execnz .LBB6_8898
	s_branch .LBB6_8899
.LBB6_9245:                             ;   in Loop: Header=BB6_8618 Depth=3
	s_mov_b32 s15, -1
	s_mov_b32 s36, exec_lo
                                        ; implicit-def: $sgpr35
	v_cmpx_eq_u16_e32 0x80, v49
; %bb.9246:                             ;   in Loop: Header=BB6_8618 Depth=3
	s_mov_b32 s35, 0x7f800001
	s_xor_b32 s15, exec_lo, -1
; %bb.9247:                             ;   in Loop: Header=BB6_8618 Depth=3
	s_or_b32 exec_lo, exec_lo, s36
	s_delay_alu instid0(SALU_CYCLE_1)
	s_and_b32 s15, s15, exec_lo
	s_or_saveexec_b32 s14, s14
	v_mov_b32_e32 v50, s35
	s_xor_b32 exec_lo, exec_lo, s14
	s_cbranch_execz .LBB6_8911
.LBB6_9248:                             ;   in Loop: Header=BB6_8618 Depth=3
	v_cmp_ne_u16_e32 vcc_lo, 0, v49
	v_mov_b32_e32 v50, 0
	s_and_not1_b32 s15, s15, exec_lo
	s_and_b32 vcc_lo, vcc_lo, exec_lo
	s_delay_alu instid0(SALU_CYCLE_1)
	s_or_b32 s15, s15, vcc_lo
	s_or_b32 exec_lo, exec_lo, s14
	s_and_saveexec_b32 s14, s15
	s_cbranch_execnz .LBB6_8912
	s_branch .LBB6_8913
.LBB6_9249:                             ;   in Loop: Header=BB6_8618 Depth=3
	s_mov_b32 s14, -1
	s_mov_b32 s36, exec_lo
                                        ; implicit-def: $sgpr15
	v_cmpx_eq_u16_e32 0x80, v101
; %bb.9250:                             ;   in Loop: Header=BB6_8618 Depth=3
	s_mov_b32 s15, 0x7f800001
	s_xor_b32 s14, exec_lo, -1
; %bb.9251:                             ;   in Loop: Header=BB6_8618 Depth=3
	s_or_b32 exec_lo, exec_lo, s36
	s_delay_alu instid0(SALU_CYCLE_1)
	s_and_b32 s14, s14, exec_lo
                                        ; implicit-def: $vgpr101
	s_or_saveexec_b32 s35, s35
	v_mov_b32_e32 v51, s15
	s_xor_b32 exec_lo, exec_lo, s35
	s_cbranch_execz .LBB6_8915
.LBB6_9252:                             ;   in Loop: Header=BB6_8618 Depth=3
	v_cmp_ne_u16_e32 vcc_lo, 0, v101
	v_mov_b32_e32 v51, 0
	s_and_not1_b32 s14, s14, exec_lo
	s_and_b32 s15, vcc_lo, exec_lo
	s_delay_alu instid0(SALU_CYCLE_1)
	s_or_b32 s14, s14, s15
	s_or_b32 exec_lo, exec_lo, s35
	s_and_saveexec_b32 s15, s14
	s_cbranch_execnz .LBB6_8916
	s_branch .LBB6_8917
.LBB6_9253:                             ;   in Loop: Header=BB6_8618 Depth=3
	s_mov_b32 s14, -1
	s_mov_b32 s36, exec_lo
                                        ; implicit-def: $sgpr15
	v_cmpx_eq_u16_e32 0x80, v49
; %bb.9254:                             ;   in Loop: Header=BB6_8618 Depth=3
	s_mov_b32 s15, 0x7f800001
	s_xor_b32 s14, exec_lo, -1
; %bb.9255:                             ;   in Loop: Header=BB6_8618 Depth=3
	s_or_b32 exec_lo, exec_lo, s36
	s_delay_alu instid0(SALU_CYCLE_1)
	s_and_b32 s14, s14, exec_lo
                                        ; implicit-def: $vgpr49
	s_or_saveexec_b32 s35, s35
	v_mov_b32_e32 v50, s15
	s_xor_b32 exec_lo, exec_lo, s35
	s_cbranch_execz .LBB6_8922
.LBB6_9256:                             ;   in Loop: Header=BB6_8618 Depth=3
	v_cmp_ne_u16_e32 vcc_lo, 0, v49
	v_mov_b32_e32 v50, 0
	s_and_not1_b32 s14, s14, exec_lo
	s_and_b32 s15, vcc_lo, exec_lo
	s_delay_alu instid0(SALU_CYCLE_1)
	s_or_b32 s14, s14, s15
	s_or_b32 exec_lo, exec_lo, s35
	s_and_saveexec_b32 s15, s14
	s_cbranch_execnz .LBB6_8923
	s_branch .LBB6_8924
.LBB6_9257:                             ;   in Loop: Header=BB6_8618 Depth=3
	s_mov_b32 s14, -1
	s_mov_b32 s36, exec_lo
                                        ; implicit-def: $sgpr15
	v_cmpx_eq_u16_e32 0x80, v49
; %bb.9258:                             ;   in Loop: Header=BB6_8618 Depth=3
	s_mov_b32 s15, 0x7f800001
	s_xor_b32 s14, exec_lo, -1
; %bb.9259:                             ;   in Loop: Header=BB6_8618 Depth=3
	s_or_b32 exec_lo, exec_lo, s36
	s_delay_alu instid0(SALU_CYCLE_1)
	s_and_b32 s14, s14, exec_lo
                                        ; implicit-def: $vgpr49
	s_or_saveexec_b32 s35, s35
	v_mov_b32_e32 v48, s15
	s_xor_b32 exec_lo, exec_lo, s35
	s_cbranch_execz .LBB6_8926
.LBB6_9260:                             ;   in Loop: Header=BB6_8618 Depth=3
	v_cmp_ne_u16_e32 vcc_lo, 0, v49
	v_mov_b32_e32 v48, 0
	s_and_not1_b32 s14, s14, exec_lo
	s_and_b32 s15, vcc_lo, exec_lo
	s_delay_alu instid0(SALU_CYCLE_1)
	s_or_b32 s14, s14, s15
	s_or_b32 exec_lo, exec_lo, s35
	s_and_saveexec_b32 s15, s14
	s_cbranch_execnz .LBB6_8927
	s_branch .LBB6_8928
.LBB6_9261:                             ;   in Loop: Header=BB6_8618 Depth=3
	s_mov_b32 s15, -1
	s_mov_b32 s36, exec_lo
                                        ; implicit-def: $sgpr35
	v_cmpx_eq_u16_e32 0x80, v49
; %bb.9262:                             ;   in Loop: Header=BB6_8618 Depth=3
	s_mov_b32 s35, 0x7f800001
	s_xor_b32 s15, exec_lo, -1
; %bb.9263:                             ;   in Loop: Header=BB6_8618 Depth=3
	s_or_b32 exec_lo, exec_lo, s36
	s_delay_alu instid0(SALU_CYCLE_1)
	s_and_b32 s15, s15, exec_lo
	s_or_saveexec_b32 s14, s14
	v_mov_b32_e32 v50, s35
	s_xor_b32 exec_lo, exec_lo, s14
	s_cbranch_execz .LBB6_8940
.LBB6_9264:                             ;   in Loop: Header=BB6_8618 Depth=3
	v_cmp_ne_u16_e32 vcc_lo, 0, v49
	v_mov_b32_e32 v50, 0
	s_and_not1_b32 s15, s15, exec_lo
	s_and_b32 vcc_lo, vcc_lo, exec_lo
	s_delay_alu instid0(SALU_CYCLE_1)
	s_or_b32 s15, s15, vcc_lo
	s_or_b32 exec_lo, exec_lo, s14
	s_and_saveexec_b32 s14, s15
	s_cbranch_execnz .LBB6_8941
	s_branch .LBB6_8942
.LBB6_9265:                             ;   in Loop: Header=BB6_8618 Depth=3
	s_mov_b32 s14, -1
	s_mov_b32 s36, exec_lo
                                        ; implicit-def: $sgpr15
	v_cmpx_eq_u16_e32 0x80, v48
; %bb.9266:                             ;   in Loop: Header=BB6_8618 Depth=3
	s_mov_b32 s15, 0x7f800001
	s_xor_b32 s14, exec_lo, -1
; %bb.9267:                             ;   in Loop: Header=BB6_8618 Depth=3
	s_or_b32 exec_lo, exec_lo, s36
	s_delay_alu instid0(SALU_CYCLE_1)
	s_and_b32 s14, s14, exec_lo
	s_or_saveexec_b32 s35, s35
	v_mov_b32_e32 v51, s15
	s_xor_b32 exec_lo, exec_lo, s35
	s_cbranch_execz .LBB6_8944
.LBB6_9268:                             ;   in Loop: Header=BB6_8618 Depth=3
	v_cmp_ne_u16_e32 vcc_lo, 0, v48
	v_mov_b32_e32 v51, 0
	s_and_not1_b32 s14, s14, exec_lo
	s_and_b32 s15, vcc_lo, exec_lo
	s_delay_alu instid0(SALU_CYCLE_1)
	s_or_b32 s14, s14, s15
	s_or_b32 exec_lo, exec_lo, s35
	s_and_saveexec_b32 s15, s14
	s_cbranch_execnz .LBB6_8945
	s_branch .LBB6_8946
.LBB6_9269:                             ;   in Loop: Header=BB6_8618 Depth=3
	s_mov_b32 s14, -1
	s_mov_b32 s36, exec_lo
                                        ; implicit-def: $sgpr15
	v_cmpx_eq_u16_e32 0x80, v49
; %bb.9270:                             ;   in Loop: Header=BB6_8618 Depth=3
	s_mov_b32 s15, 0x7f800001
	s_xor_b32 s14, exec_lo, -1
; %bb.9271:                             ;   in Loop: Header=BB6_8618 Depth=3
	s_or_b32 exec_lo, exec_lo, s36
	s_delay_alu instid0(SALU_CYCLE_1)
	s_and_b32 s14, s14, exec_lo
	s_or_saveexec_b32 s35, s35
	v_mov_b32_e32 v50, s15
	s_xor_b32 exec_lo, exec_lo, s35
	s_cbranch_execz .LBB6_8951
.LBB6_9272:                             ;   in Loop: Header=BB6_8618 Depth=3
	v_cmp_ne_u16_e32 vcc_lo, 0, v49
	v_mov_b32_e32 v50, 0
	s_and_not1_b32 s14, s14, exec_lo
	s_and_b32 s15, vcc_lo, exec_lo
	s_delay_alu instid0(SALU_CYCLE_1)
	s_or_b32 s14, s14, s15
	s_or_b32 exec_lo, exec_lo, s35
	s_and_saveexec_b32 s15, s14
	s_cbranch_execnz .LBB6_8952
	s_branch .LBB6_8953
.LBB6_9273:                             ;   in Loop: Header=BB6_8618 Depth=3
	s_mov_b32 s14, -1
	s_mov_b32 s36, exec_lo
                                        ; implicit-def: $sgpr15
	v_cmpx_eq_u16_e32 0x80, v48
; %bb.9274:                             ;   in Loop: Header=BB6_8618 Depth=3
	s_mov_b32 s15, 0x7f800001
	s_xor_b32 s14, exec_lo, -1
; %bb.9275:                             ;   in Loop: Header=BB6_8618 Depth=3
	s_or_b32 exec_lo, exec_lo, s36
	s_delay_alu instid0(SALU_CYCLE_1)
	s_and_b32 s14, s14, exec_lo
	s_or_saveexec_b32 s35, s35
	v_mov_b32_e32 v14, s15
	s_xor_b32 exec_lo, exec_lo, s35
	s_cbranch_execz .LBB6_8955
.LBB6_9276:                             ;   in Loop: Header=BB6_8618 Depth=3
	v_cmp_ne_u16_e32 vcc_lo, 0, v48
	v_mov_b32_e32 v14, 0
	s_and_not1_b32 s14, s14, exec_lo
	s_and_b32 s15, vcc_lo, exec_lo
	s_delay_alu instid0(SALU_CYCLE_1)
	s_or_b32 s14, s14, s15
	s_or_b32 exec_lo, exec_lo, s35
	s_and_saveexec_b32 s15, s14
	s_cbranch_execnz .LBB6_8956
	s_branch .LBB6_8957
.LBB6_9277:                             ;   in Loop: Header=BB6_8618 Depth=3
	s_mov_b32 s15, -1
	s_mov_b32 s36, exec_lo
                                        ; implicit-def: $sgpr35
	v_cmpx_eq_u16_e32 0x80, v14
; %bb.9278:                             ;   in Loop: Header=BB6_8618 Depth=3
	s_mov_b32 s35, 0x7f800001
	s_xor_b32 s15, exec_lo, -1
; %bb.9279:                             ;   in Loop: Header=BB6_8618 Depth=3
	s_or_b32 exec_lo, exec_lo, s36
	s_delay_alu instid0(SALU_CYCLE_1)
	s_and_b32 s15, s15, exec_lo
	s_or_saveexec_b32 s14, s14
	v_mov_b32_e32 v48, s35
	s_xor_b32 exec_lo, exec_lo, s14
	s_cbranch_execz .LBB6_8969
.LBB6_9280:                             ;   in Loop: Header=BB6_8618 Depth=3
	v_cmp_ne_u16_e32 vcc_lo, 0, v14
	v_mov_b32_e32 v48, 0
	s_and_not1_b32 s15, s15, exec_lo
	s_and_b32 vcc_lo, vcc_lo, exec_lo
	s_delay_alu instid0(SALU_CYCLE_1)
	s_or_b32 s15, s15, vcc_lo
	s_or_b32 exec_lo, exec_lo, s14
	s_and_saveexec_b32 s14, s15
	s_cbranch_execnz .LBB6_8970
	s_branch .LBB6_8971
.LBB6_9281:                             ;   in Loop: Header=BB6_8618 Depth=3
	s_mov_b32 s14, -1
	s_mov_b32 s36, exec_lo
                                        ; implicit-def: $sgpr15
	v_cmpx_eq_u16_e32 0x80, v50
; %bb.9282:                             ;   in Loop: Header=BB6_8618 Depth=3
	s_mov_b32 s15, 0x7f800001
	s_xor_b32 s14, exec_lo, -1
; %bb.9283:                             ;   in Loop: Header=BB6_8618 Depth=3
	s_or_b32 exec_lo, exec_lo, s36
	s_delay_alu instid0(SALU_CYCLE_1)
	s_and_b32 s14, s14, exec_lo
                                        ; implicit-def: $vgpr50
	s_or_saveexec_b32 s35, s35
	v_mov_b32_e32 v49, s15
	s_xor_b32 exec_lo, exec_lo, s35
	s_cbranch_execz .LBB6_8973
.LBB6_9284:                             ;   in Loop: Header=BB6_8618 Depth=3
	v_cmp_ne_u16_e32 vcc_lo, 0, v50
	v_mov_b32_e32 v49, 0
	s_and_not1_b32 s14, s14, exec_lo
	s_and_b32 s15, vcc_lo, exec_lo
	s_delay_alu instid0(SALU_CYCLE_1)
	s_or_b32 s14, s14, s15
	s_or_b32 exec_lo, exec_lo, s35
	s_and_saveexec_b32 s15, s14
	s_cbranch_execnz .LBB6_8974
	s_branch .LBB6_8975
.LBB6_9285:                             ;   in Loop: Header=BB6_8618 Depth=3
	s_mov_b32 s14, -1
	s_mov_b32 s36, exec_lo
                                        ; implicit-def: $sgpr15
	v_cmpx_eq_u16_e32 0x80, v14
; %bb.9286:                             ;   in Loop: Header=BB6_8618 Depth=3
	s_mov_b32 s15, 0x7f800001
	s_xor_b32 s14, exec_lo, -1
; %bb.9287:                             ;   in Loop: Header=BB6_8618 Depth=3
	s_or_b32 exec_lo, exec_lo, s36
	s_delay_alu instid0(SALU_CYCLE_1)
	s_and_b32 s14, s14, exec_lo
                                        ; implicit-def: $vgpr14
	s_or_saveexec_b32 s35, s35
	v_mov_b32_e32 v48, s15
	s_xor_b32 exec_lo, exec_lo, s35
	s_cbranch_execz .LBB6_8980
.LBB6_9288:                             ;   in Loop: Header=BB6_8618 Depth=3
	v_cmp_ne_u16_e32 vcc_lo, 0, v14
	v_mov_b32_e32 v48, 0
	s_and_not1_b32 s14, s14, exec_lo
	s_and_b32 s15, vcc_lo, exec_lo
	s_delay_alu instid0(SALU_CYCLE_1)
	s_or_b32 s14, s14, s15
	s_or_b32 exec_lo, exec_lo, s35
	s_and_saveexec_b32 s15, s14
	s_cbranch_execnz .LBB6_8981
	s_branch .LBB6_8982
.LBB6_9289:                             ;   in Loop: Header=BB6_8618 Depth=3
	s_mov_b32 s14, -1
	s_mov_b32 s36, exec_lo
                                        ; implicit-def: $sgpr15
	v_cmpx_eq_u16_e32 0x80, v49
; %bb.9290:                             ;   in Loop: Header=BB6_8618 Depth=3
	s_mov_b32 s15, 0x7f800001
	s_xor_b32 s14, exec_lo, -1
; %bb.9291:                             ;   in Loop: Header=BB6_8618 Depth=3
	s_or_b32 exec_lo, exec_lo, s36
	s_delay_alu instid0(SALU_CYCLE_1)
	s_and_b32 s14, s14, exec_lo
                                        ; implicit-def: $vgpr49
	s_or_saveexec_b32 s35, s35
	v_mov_b32_e32 v14, s15
	s_xor_b32 exec_lo, exec_lo, s35
	s_cbranch_execz .LBB6_8984
.LBB6_9292:                             ;   in Loop: Header=BB6_8618 Depth=3
	v_cmp_ne_u16_e32 vcc_lo, 0, v49
	v_mov_b32_e32 v14, 0
	s_and_not1_b32 s14, s14, exec_lo
	s_and_b32 s15, vcc_lo, exec_lo
	s_delay_alu instid0(SALU_CYCLE_1)
	s_or_b32 s14, s14, s15
	s_or_b32 exec_lo, exec_lo, s35
	s_and_saveexec_b32 s15, s14
	s_cbranch_execnz .LBB6_8985
	s_branch .LBB6_8986
.LBB6_9293:                             ;   in Loop: Header=BB6_8618 Depth=3
	s_mov_b32 s15, -1
	s_mov_b32 s36, exec_lo
                                        ; implicit-def: $sgpr35
	v_cmpx_eq_u16_e32 0x80, v49
; %bb.9294:                             ;   in Loop: Header=BB6_8618 Depth=3
	s_mov_b32 s35, 0x7f800001
	s_xor_b32 s15, exec_lo, -1
; %bb.9295:                             ;   in Loop: Header=BB6_8618 Depth=3
	s_or_b32 exec_lo, exec_lo, s36
	s_delay_alu instid0(SALU_CYCLE_1)
	s_and_b32 s15, s15, exec_lo
	s_or_saveexec_b32 s14, s14
	v_mov_b32_e32 v50, s35
	s_xor_b32 exec_lo, exec_lo, s14
	s_cbranch_execz .LBB6_8998
.LBB6_9296:                             ;   in Loop: Header=BB6_8618 Depth=3
	v_cmp_ne_u16_e32 vcc_lo, 0, v49
	v_mov_b32_e32 v50, 0
	s_and_not1_b32 s15, s15, exec_lo
	s_and_b32 vcc_lo, vcc_lo, exec_lo
	s_delay_alu instid0(SALU_CYCLE_1)
	s_or_b32 s15, s15, vcc_lo
	s_or_b32 exec_lo, exec_lo, s14
	s_and_saveexec_b32 s14, s15
	s_cbranch_execnz .LBB6_8999
	s_branch .LBB6_9000
.LBB6_9297:                             ;   in Loop: Header=BB6_8618 Depth=3
	s_mov_b32 s14, -1
	s_mov_b32 s36, exec_lo
                                        ; implicit-def: $sgpr15
	v_cmpx_eq_u16_e32 0x80, v48
; %bb.9298:                             ;   in Loop: Header=BB6_8618 Depth=3
	s_mov_b32 s15, 0x7f800001
	s_xor_b32 s14, exec_lo, -1
; %bb.9299:                             ;   in Loop: Header=BB6_8618 Depth=3
	s_or_b32 exec_lo, exec_lo, s36
	s_delay_alu instid0(SALU_CYCLE_1)
	s_and_b32 s14, s14, exec_lo
	s_or_saveexec_b32 s35, s35
	v_mov_b32_e32 v51, s15
	s_xor_b32 exec_lo, exec_lo, s35
	s_cbranch_execz .LBB6_9002
.LBB6_9300:                             ;   in Loop: Header=BB6_8618 Depth=3
	v_cmp_ne_u16_e32 vcc_lo, 0, v48
	v_mov_b32_e32 v51, 0
	s_and_not1_b32 s14, s14, exec_lo
	s_and_b32 s15, vcc_lo, exec_lo
	s_delay_alu instid0(SALU_CYCLE_1)
	s_or_b32 s14, s14, s15
	s_or_b32 exec_lo, exec_lo, s35
	s_and_saveexec_b32 s15, s14
	s_cbranch_execnz .LBB6_9003
	s_branch .LBB6_9004
.LBB6_9301:                             ;   in Loop: Header=BB6_8618 Depth=3
	s_mov_b32 s14, -1
	s_mov_b32 s36, exec_lo
                                        ; implicit-def: $sgpr15
	v_cmpx_eq_u16_e32 0x80, v49
; %bb.9302:                             ;   in Loop: Header=BB6_8618 Depth=3
	s_mov_b32 s15, 0x7f800001
	s_xor_b32 s14, exec_lo, -1
; %bb.9303:                             ;   in Loop: Header=BB6_8618 Depth=3
	s_or_b32 exec_lo, exec_lo, s36
	s_delay_alu instid0(SALU_CYCLE_1)
	s_and_b32 s14, s14, exec_lo
	s_or_saveexec_b32 s35, s35
	v_mov_b32_e32 v50, s15
	s_xor_b32 exec_lo, exec_lo, s35
	s_cbranch_execz .LBB6_9009
.LBB6_9304:                             ;   in Loop: Header=BB6_8618 Depth=3
	v_cmp_ne_u16_e32 vcc_lo, 0, v49
	v_mov_b32_e32 v50, 0
	s_and_not1_b32 s14, s14, exec_lo
	s_and_b32 s15, vcc_lo, exec_lo
	s_delay_alu instid0(SALU_CYCLE_1)
	s_or_b32 s14, s14, s15
	s_or_b32 exec_lo, exec_lo, s35
	s_and_saveexec_b32 s15, s14
	s_cbranch_execnz .LBB6_9010
	s_branch .LBB6_9011
.LBB6_9305:                             ;   in Loop: Header=BB6_8618 Depth=3
	s_mov_b32 s14, -1
	s_mov_b32 s36, exec_lo
                                        ; implicit-def: $sgpr15
	v_cmpx_eq_u16_e32 0x80, v48
; %bb.9306:                             ;   in Loop: Header=BB6_8618 Depth=3
	s_mov_b32 s15, 0x7f800001
	s_xor_b32 s14, exec_lo, -1
; %bb.9307:                             ;   in Loop: Header=BB6_8618 Depth=3
	s_or_b32 exec_lo, exec_lo, s36
	s_delay_alu instid0(SALU_CYCLE_1)
	s_and_b32 s14, s14, exec_lo
	s_or_saveexec_b32 s35, s35
	v_mov_b32_e32 v49, s15
	s_xor_b32 exec_lo, exec_lo, s35
	s_cbranch_execz .LBB6_9013
.LBB6_9308:                             ;   in Loop: Header=BB6_8618 Depth=3
	v_cmp_ne_u16_e32 vcc_lo, 0, v48
	v_mov_b32_e32 v49, 0
	s_and_not1_b32 s14, s14, exec_lo
	s_and_b32 s15, vcc_lo, exec_lo
	s_delay_alu instid0(SALU_CYCLE_1)
	s_or_b32 s14, s14, s15
	s_or_b32 exec_lo, exec_lo, s35
	s_and_saveexec_b32 s15, s14
	s_cbranch_execnz .LBB6_9014
	s_branch .LBB6_9015
.LBB6_9309:                             ;   in Loop: Header=BB6_8618 Depth=3
	s_mov_b32 s15, -1
	s_mov_b32 s36, exec_lo
                                        ; implicit-def: $sgpr35
	v_cmpx_eq_u16_e32 0x80, v51
; %bb.9310:                             ;   in Loop: Header=BB6_8618 Depth=3
	s_mov_b32 s35, 0x7f800001
	s_xor_b32 s15, exec_lo, -1
; %bb.9311:                             ;   in Loop: Header=BB6_8618 Depth=3
	s_or_b32 exec_lo, exec_lo, s36
	s_delay_alu instid0(SALU_CYCLE_1)
	s_and_b32 s15, s15, exec_lo
	s_or_saveexec_b32 s14, s14
	v_mov_b32_e32 v101, s35
	s_xor_b32 exec_lo, exec_lo, s14
	s_cbranch_execz .LBB6_9027
.LBB6_9312:                             ;   in Loop: Header=BB6_8618 Depth=3
	v_cmp_ne_u16_e32 vcc_lo, 0, v51
	v_mov_b32_e32 v101, 0
	s_and_not1_b32 s15, s15, exec_lo
	s_and_b32 vcc_lo, vcc_lo, exec_lo
	s_delay_alu instid0(SALU_CYCLE_1)
	s_or_b32 s15, s15, vcc_lo
	s_or_b32 exec_lo, exec_lo, s14
	s_and_saveexec_b32 s14, s15
	s_cbranch_execnz .LBB6_9028
	s_branch .LBB6_9029
.LBB6_9313:                             ;   in Loop: Header=BB6_8618 Depth=3
	s_mov_b32 s14, -1
	s_mov_b32 s36, exec_lo
                                        ; implicit-def: $sgpr15
	v_cmpx_eq_u16_e32 0x80, v112
; %bb.9314:                             ;   in Loop: Header=BB6_8618 Depth=3
	s_mov_b32 s15, 0x7f800001
	s_xor_b32 s14, exec_lo, -1
; %bb.9315:                             ;   in Loop: Header=BB6_8618 Depth=3
	s_or_b32 exec_lo, exec_lo, s36
	s_delay_alu instid0(SALU_CYCLE_1)
	s_and_b32 s14, s14, exec_lo
                                        ; implicit-def: $vgpr112
	s_or_saveexec_b32 s35, s35
	v_mov_b32_e32 v102, s15
	s_xor_b32 exec_lo, exec_lo, s35
	s_cbranch_execz .LBB6_9031
.LBB6_9316:                             ;   in Loop: Header=BB6_8618 Depth=3
	v_cmp_ne_u16_e32 vcc_lo, 0, v112
	v_mov_b32_e32 v102, 0
	s_and_not1_b32 s14, s14, exec_lo
	s_and_b32 s15, vcc_lo, exec_lo
	s_delay_alu instid0(SALU_CYCLE_1)
	s_or_b32 s14, s14, s15
	s_or_b32 exec_lo, exec_lo, s35
	s_and_saveexec_b32 s15, s14
	s_cbranch_execnz .LBB6_9032
	s_branch .LBB6_9033
.LBB6_9317:                             ;   in Loop: Header=BB6_8618 Depth=3
	s_mov_b32 s14, -1
	s_mov_b32 s36, exec_lo
                                        ; implicit-def: $sgpr15
	v_cmpx_eq_u16_e32 0x80, v51
; %bb.9318:                             ;   in Loop: Header=BB6_8618 Depth=3
	s_mov_b32 s15, 0x7f800001
	s_xor_b32 s14, exec_lo, -1
; %bb.9319:                             ;   in Loop: Header=BB6_8618 Depth=3
	s_or_b32 exec_lo, exec_lo, s36
	s_delay_alu instid0(SALU_CYCLE_1)
	s_and_b32 s14, s14, exec_lo
                                        ; implicit-def: $vgpr51
	s_or_saveexec_b32 s35, s35
	v_mov_b32_e32 v101, s15
	s_xor_b32 exec_lo, exec_lo, s35
	s_cbranch_execz .LBB6_9038
.LBB6_9320:                             ;   in Loop: Header=BB6_8618 Depth=3
	v_cmp_ne_u16_e32 vcc_lo, 0, v51
	v_mov_b32_e32 v101, 0
	s_and_not1_b32 s14, s14, exec_lo
	s_and_b32 s15, vcc_lo, exec_lo
	s_delay_alu instid0(SALU_CYCLE_1)
	s_or_b32 s14, s14, s15
	s_or_b32 exec_lo, exec_lo, s35
	s_and_saveexec_b32 s15, s14
	s_cbranch_execnz .LBB6_9039
	s_branch .LBB6_9040
.LBB6_9321:                             ;   in Loop: Header=BB6_8618 Depth=3
	s_mov_b32 s14, -1
	s_mov_b32 s36, exec_lo
                                        ; implicit-def: $sgpr15
	v_cmpx_eq_u16_e32 0x80, v51
; %bb.9322:                             ;   in Loop: Header=BB6_8618 Depth=3
	s_mov_b32 s15, 0x7f800001
	s_xor_b32 s14, exec_lo, -1
; %bb.9323:                             ;   in Loop: Header=BB6_8618 Depth=3
	s_or_b32 exec_lo, exec_lo, s36
	s_delay_alu instid0(SALU_CYCLE_1)
	s_and_b32 s14, s14, exec_lo
                                        ; implicit-def: $vgpr51
	s_or_saveexec_b32 s35, s35
	v_mov_b32_e32 v50, s15
	s_xor_b32 exec_lo, exec_lo, s35
	s_cbranch_execz .LBB6_9042
.LBB6_9324:                             ;   in Loop: Header=BB6_8618 Depth=3
	v_cmp_ne_u16_e32 vcc_lo, 0, v51
	v_mov_b32_e32 v50, 0
	s_and_not1_b32 s14, s14, exec_lo
	s_and_b32 s15, vcc_lo, exec_lo
	s_delay_alu instid0(SALU_CYCLE_1)
	s_or_b32 s14, s14, s15
	s_or_b32 exec_lo, exec_lo, s35
	s_and_saveexec_b32 s15, s14
	s_cbranch_execnz .LBB6_9043
	s_branch .LBB6_9044
.LBB6_9325:                             ;   in Loop: Header=BB6_8618 Depth=3
	s_mov_b32 s15, -1
	s_mov_b32 s36, exec_lo
                                        ; implicit-def: $sgpr35
	v_cmpx_eq_u16_e32 0x80, v51
; %bb.9326:                             ;   in Loop: Header=BB6_8618 Depth=3
	s_mov_b32 s35, 0x7f800001
	s_xor_b32 s15, exec_lo, -1
; %bb.9327:                             ;   in Loop: Header=BB6_8618 Depth=3
	s_or_b32 exec_lo, exec_lo, s36
	s_delay_alu instid0(SALU_CYCLE_1)
	s_and_b32 s15, s15, exec_lo
	s_or_saveexec_b32 s14, s14
	v_mov_b32_e32 v101, s35
	s_xor_b32 exec_lo, exec_lo, s14
	s_cbranch_execz .LBB6_9056
.LBB6_9328:                             ;   in Loop: Header=BB6_8618 Depth=3
	v_cmp_ne_u16_e32 vcc_lo, 0, v51
	v_mov_b32_e32 v101, 0
	s_and_not1_b32 s15, s15, exec_lo
	s_and_b32 vcc_lo, vcc_lo, exec_lo
	s_delay_alu instid0(SALU_CYCLE_1)
	s_or_b32 s15, s15, vcc_lo
	s_or_b32 exec_lo, exec_lo, s14
	s_and_saveexec_b32 s14, s15
	s_cbranch_execnz .LBB6_9057
	s_branch .LBB6_9058
.LBB6_9329:                             ;   in Loop: Header=BB6_8618 Depth=3
	s_mov_b32 s14, -1
	s_mov_b32 s36, exec_lo
                                        ; implicit-def: $sgpr15
	v_cmpx_eq_u16_e32 0x80, v50
; %bb.9330:                             ;   in Loop: Header=BB6_8618 Depth=3
	s_mov_b32 s15, 0x7f800001
	s_xor_b32 s14, exec_lo, -1
; %bb.9331:                             ;   in Loop: Header=BB6_8618 Depth=3
	s_or_b32 exec_lo, exec_lo, s36
	s_delay_alu instid0(SALU_CYCLE_1)
	s_and_b32 s14, s14, exec_lo
	s_or_saveexec_b32 s35, s35
	v_mov_b32_e32 v102, s15
	s_xor_b32 exec_lo, exec_lo, s35
	s_cbranch_execz .LBB6_9060
.LBB6_9332:                             ;   in Loop: Header=BB6_8618 Depth=3
	v_cmp_ne_u16_e32 vcc_lo, 0, v50
	v_mov_b32_e32 v102, 0
	s_and_not1_b32 s14, s14, exec_lo
	s_and_b32 s15, vcc_lo, exec_lo
	s_delay_alu instid0(SALU_CYCLE_1)
	s_or_b32 s14, s14, s15
	s_or_b32 exec_lo, exec_lo, s35
	s_and_saveexec_b32 s15, s14
	s_cbranch_execnz .LBB6_9061
	s_branch .LBB6_9062
.LBB6_9333:                             ;   in Loop: Header=BB6_8618 Depth=3
	s_mov_b32 s14, -1
	s_mov_b32 s36, exec_lo
                                        ; implicit-def: $sgpr15
	v_cmpx_eq_u16_e32 0x80, v51
; %bb.9334:                             ;   in Loop: Header=BB6_8618 Depth=3
	s_mov_b32 s15, 0x7f800001
	s_xor_b32 s14, exec_lo, -1
; %bb.9335:                             ;   in Loop: Header=BB6_8618 Depth=3
	s_or_b32 exec_lo, exec_lo, s36
	s_delay_alu instid0(SALU_CYCLE_1)
	s_and_b32 s14, s14, exec_lo
	s_or_saveexec_b32 s35, s35
	v_mov_b32_e32 v101, s15
	s_xor_b32 exec_lo, exec_lo, s35
	s_cbranch_execz .LBB6_9067
.LBB6_9336:                             ;   in Loop: Header=BB6_8618 Depth=3
	v_cmp_ne_u16_e32 vcc_lo, 0, v51
	v_mov_b32_e32 v101, 0
	s_and_not1_b32 s14, s14, exec_lo
	s_and_b32 s15, vcc_lo, exec_lo
	s_delay_alu instid0(SALU_CYCLE_1)
	s_or_b32 s14, s14, s15
	s_or_b32 exec_lo, exec_lo, s35
	s_and_saveexec_b32 s15, s14
	s_cbranch_execnz .LBB6_9068
	s_branch .LBB6_9069
.LBB6_9337:                             ;   in Loop: Header=BB6_8618 Depth=3
	s_mov_b32 s14, -1
	s_mov_b32 s36, exec_lo
                                        ; implicit-def: $sgpr15
	v_cmpx_eq_u16_e32 0x80, v50
; %bb.9338:                             ;   in Loop: Header=BB6_8618 Depth=3
	s_mov_b32 s15, 0x7f800001
	s_xor_b32 s14, exec_lo, -1
; %bb.9339:                             ;   in Loop: Header=BB6_8618 Depth=3
	s_or_b32 exec_lo, exec_lo, s36
	s_delay_alu instid0(SALU_CYCLE_1)
	s_and_b32 s14, s14, exec_lo
	s_or_saveexec_b32 s35, s35
	v_mov_b32_e32 v15, s15
	s_xor_b32 exec_lo, exec_lo, s35
	s_cbranch_execz .LBB6_9071
.LBB6_9340:                             ;   in Loop: Header=BB6_8618 Depth=3
	v_cmp_ne_u16_e32 vcc_lo, 0, v50
	v_mov_b32_e32 v15, 0
	s_and_not1_b32 s14, s14, exec_lo
	s_and_b32 s15, vcc_lo, exec_lo
	s_delay_alu instid0(SALU_CYCLE_1)
	s_or_b32 s14, s14, s15
	s_or_b32 exec_lo, exec_lo, s35
	s_and_saveexec_b32 s15, s14
	s_cbranch_execnz .LBB6_9072
	s_branch .LBB6_9073
.LBB6_9341:                             ;   in Loop: Header=BB6_5644 Depth=2
	s_or_b32 exec_lo, exec_lo, s31
.LBB6_9342:                             ;   in Loop: Header=BB6_5644 Depth=2
	s_delay_alu instid0(SALU_CYCLE_1) | instskip(SKIP_3) | instid1(VALU_DEP_1)
	s_or_b32 exec_lo, exec_lo, s17
	v_dual_mov_b32 v16, 0 :: v_dual_and_b32 v9, 15, v182
	s_mov_b32 s14, 0
	s_mov_b32 s15, exec_lo
                                        ; implicit-def: $vgpr18
                                        ; implicit-def: $vgpr8
	v_cndmask_b32_e64 v17, v26, v9, s13
	s_delay_alu instid0(VALU_DEP_1)
	v_cmpx_ne_u32_e32 0, v17
	s_cbranch_execz .LBB6_9344
; %bb.9343:                             ;   in Loop: Header=BB6_5644 Depth=2
	v_cmp_lt_i32_e32 vcc_lo, 0, v27
	v_sub_nc_u32_e32 v9, v26, v9
	s_mov_b32 s14, exec_lo
	v_cndmask_b32_e32 v8, 0, v129, vcc_lo
	s_delay_alu instid0(VALU_DEP_2) | instskip(NEXT) | instid1(VALU_DEP_2)
	v_cndmask_b32_e64 v9, 0, v9, s13
	v_sub_nc_u32_e32 v8, v8, v27
	s_delay_alu instid0(VALU_DEP_2) | instskip(NEXT) | instid1(VALU_DEP_2)
	v_add3_u32 v16, v2, v24, v9
	v_lshl_add_u32 v18, v8, 5, v25
	s_delay_alu instid0(VALU_DEP_1) | instskip(NEXT) | instid1(VALU_DEP_1)
	v_ashrrev_i32_e32 v8, 31, v18
	v_lshrrev_b32_e32 v8, 27, v8
	s_delay_alu instid0(VALU_DEP_1) | instskip(NEXT) | instid1(VALU_DEP_1)
	v_add_nc_u32_e32 v8, v18, v8
	v_ashrrev_i32_e32 v8, 5, v8
.LBB6_9344:                             ;   in Loop: Header=BB6_5644 Depth=2
	s_or_b32 exec_lo, exec_lo, s15
	s_delay_alu instid0(SALU_CYCLE_1)
	s_and_b32 s13, s14, exec_lo
.LBB6_9345:                             ;   in Loop: Header=BB6_5644 Depth=2
	s_or_b32 exec_lo, exec_lo, s16
.LBB6_9346:                             ;   in Loop: Header=BB6_5644 Depth=2
	s_and_saveexec_b32 s15, s13
	s_cbranch_execz .LBB6_10845
; %bb.9347:                             ;   in Loop: Header=BB6_5644 Depth=2
	v_ashrrev_i32_e32 v2, 31, v17
	s_mov_b32 s14, exec_lo
	s_delay_alu instid0(VALU_DEP_1) | instskip(NEXT) | instid1(VALU_DEP_1)
	v_lshrrev_b32_e32 v2, 22, v2
	v_add_nc_u32_e32 v2, v17, v2
	s_delay_alu instid0(VALU_DEP_1) | instskip(NEXT) | instid1(VALU_DEP_1)
	v_ashrrev_i32_e32 v19, 10, v2
	v_sub_nc_u32_e32 v2, v19, v8
	s_delay_alu instid0(VALU_DEP_1)
	v_cmpx_lt_i32_e32 0, v2
	s_cbranch_execz .LBB6_10792
; %bb.9348:                             ;   in Loop: Header=BB6_5644 Depth=2
	s_cbranch_execz .LBB6_9349
; %bb.17452:
	s_getpc_b64 s[48:49]
.Lpost_getpc397:
	s_add_u32 s48, s48, (.LBB6_17002-.Lpost_getpc397)&4294967295
	s_addc_u32 s49, s49, (.LBB6_17002-.Lpost_getpc397)>>32
	s_setpc_b64 s[48:49]
.LBB6_9349:                             ;   in Loop: Header=BB6_5644 Depth=2
	v_ashrrev_i32_e32 v9, 31, v18
	v_lshlrev_b32_e32 v8, 10, v8
	s_bitcmp1_b32 s30, 0
	s_mov_b32 s16, 0
	s_cselect_b32 s17, -1, 0
	v_lshrrev_b32_e32 v9, 27, v9
	s_delay_alu instid0(VALU_DEP_1) | instskip(SKIP_2) | instid1(VALU_DEP_1)
	v_add_nc_u32_e32 v13, v18, v9
	ds_load_b128 v[9:12], v0
	v_and_b32_e32 v13, 0xffffffe0, v13
	v_sub_nc_u32_e32 v13, v18, v13
	s_delay_alu instid0(VALU_DEP_1) | instskip(NEXT) | instid1(VALU_DEP_1)
	v_add3_u32 v13, v16, v13, v8
	v_ashrrev_i32_e32 v14, 31, v13
	s_waitcnt lgkmcnt(0)
	v_add_co_u32 v8, vcc_lo, v9, v13
	s_delay_alu instid0(VALU_DEP_2) | instskip(SKIP_2) | instid1(VALU_DEP_3)
	v_add_co_ci_u32_e32 v9, vcc_lo, v10, v14, vcc_lo
	v_add_co_u32 v10, vcc_lo, v11, v13
	v_add_co_ci_u32_e32 v11, vcc_lo, v12, v14, vcc_lo
	v_dual_mov_b32 v13, v9 :: v_dual_mov_b32 v12, v8
	s_delay_alu instid0(VALU_DEP_2)
	v_dual_mov_b32 v15, v11 :: v_dual_mov_b32 v14, v10
	s_branch .LBB6_9353
.LBB6_9350:                             ;   in Loop: Header=BB6_9353 Depth=3
	s_or_b32 exec_lo, exec_lo, s13
	s_delay_alu instid0(VALU_DEP_1) | instskip(NEXT) | instid1(VALU_DEP_2)
	v_lshrrev_b32_e32 v21, 20, v21
	v_cmp_gt_i32_e32 vcc_lo, 16, v20
	v_lshrrev_b32_e32 v24, 24, v24
	v_min_i32_e32 v27, 15, v20
	s_delay_alu instid0(VALU_DEP_2) | instskip(NEXT) | instid1(VALU_DEP_1)
	v_dual_cndmask_b32 v21, 7, v21 :: v_dual_and_b32 v24, 0x80, v24
	v_or_b32_e32 v20, v20, v21
	v_and_b32_e32 v34, 7, v21
	s_delay_alu instid0(VALU_DEP_2) | instskip(SKIP_1) | instid1(VALU_DEP_1)
	v_cmp_ne_u32_e32 vcc_lo, 0, v20
	v_lshlrev_b32_e32 v27, 3, v27
	v_or3_b32 v21, v27, v24, v34
	s_delay_alu instid0(VALU_DEP_1)
	v_cndmask_b32_e32 v20, 0, v21, vcc_lo
.LBB6_9351:                             ;   in Loop: Header=BB6_9353 Depth=3
	s_or_b32 exec_lo, exec_lo, s34
.LBB6_9352:                             ;   in Loop: Header=BB6_9353 Depth=3
	s_delay_alu instid0(SALU_CYCLE_1)
	s_or_b32 exec_lo, exec_lo, s31
	v_add_co_u32 v8, vcc_lo, v8, v151
	v_add_co_ci_u32_e32 v9, vcc_lo, v9, v160, vcc_lo
	v_add_co_u32 v10, vcc_lo, v10, v151
	v_sub_nc_u32_e32 v2, v2, v129
	v_add_co_ci_u32_e32 v11, vcc_lo, v11, v160, vcc_lo
	s_clause 0x1f
	flat_store_b8 v[12:13], v22 glc slc dlc
	flat_store_b8 v[12:13], v25 offset:32 glc slc dlc
	flat_store_b8 v[12:13], v32 offset:64 glc slc dlc
	;; [unrolled: 1-line block ×31, first 2 shown]
	s_clause 0x1f
	flat_store_b8 v[14:15], v22 glc slc dlc
	flat_store_b8 v[14:15], v25 offset:32 glc slc dlc
	flat_store_b8 v[14:15], v32 offset:64 glc slc dlc
	;; [unrolled: 1-line block ×31, first 2 shown]
	v_add_co_u32 v12, vcc_lo, v12, v151
	v_add_co_ci_u32_e32 v13, vcc_lo, v13, v160, vcc_lo
	v_cmp_gt_i32_e32 vcc_lo, 1, v2
	v_add_co_u32 v14, s13, v14, v151
	s_delay_alu instid0(VALU_DEP_1) | instskip(SKIP_1) | instid1(SALU_CYCLE_1)
	v_add_co_ci_u32_e64 v15, s13, v15, v160, s13
	s_or_b32 s16, vcc_lo, s16
	s_and_not1_b32 exec_lo, exec_lo, s16
	s_cbranch_execz .LBB6_10791
.LBB6_9353:                             ;   Parent Loop BB6_51 Depth=1
                                        ;     Parent Loop BB6_5644 Depth=2
                                        ; =>    This Inner Loop Header: Depth=3
	s_clause 0x1f
	flat_load_u8 v106, v[8:9] slc dlc
	flat_load_u8 v105, v[8:9] offset:32 slc dlc
	flat_load_u8 v104, v[8:9] offset:64 slc dlc
	;; [unrolled: 1-line block ×31, first 2 shown]
	s_clause 0x1f
	flat_load_u8 v22, v[10:11] slc dlc
	flat_load_u8 v25, v[10:11] offset:32 slc dlc
	flat_load_u8 v32, v[10:11] offset:64 slc dlc
	;; [unrolled: 1-line block ×31, first 2 shown]
	s_and_b32 vcc_lo, exec_lo, s17
	s_cbranch_vccz .LBB6_9363
; %bb.9354:                             ;   in Loop: Header=BB6_9353 Depth=3
	s_waitcnt vmcnt(62) lgkmcnt(62)
	v_and_b32_e32 v108, 0xff, v106
	s_mov_b32 s13, 0
	s_mov_b32 s34, exec_lo
                                        ; implicit-def: $sgpr31
	s_delay_alu instid0(VALU_DEP_1)
	v_cmpx_lt_i16_e32 0x7f, v108
	s_xor_b32 s34, exec_lo, s34
	s_cbranch_execnz .LBB6_10279
; %bb.9355:                             ;   in Loop: Header=BB6_9353 Depth=3
	s_or_saveexec_b32 s34, s34
	v_mov_b32_e32 v107, s31
	s_xor_b32 exec_lo, exec_lo, s34
	s_cbranch_execnz .LBB6_10282
.LBB6_9356:                             ;   in Loop: Header=BB6_9353 Depth=3
	s_or_b32 exec_lo, exec_lo, s34
	s_and_saveexec_b32 s31, s13
	s_cbranch_execz .LBB6_9358
.LBB6_9357:                             ;   in Loop: Header=BB6_9353 Depth=3
	v_lshrrev_b16 v110, 3, v106
	v_lshlrev_b32_e32 v111, 24, v106
	s_delay_alu instid0(VALU_DEP_2) | instskip(NEXT) | instid1(VALU_DEP_1)
	v_and_b32_e32 v110, 15, v110
	v_cmp_eq_u32_e32 vcc_lo, 0, v110
	v_and_b32_e32 v107, 7, v106
	s_delay_alu instid0(VALU_DEP_1) | instskip(NEXT) | instid1(VALU_DEP_1)
	v_clz_i32_u32_e32 v108, v107
	v_min_u32_e32 v108, 32, v108
	s_delay_alu instid0(VALU_DEP_1) | instskip(SKIP_1) | instid1(VALU_DEP_1)
	v_subrev_nc_u32_e32 v109, 28, v108
	v_sub_nc_u32_e32 v108, 29, v108
	v_dual_cndmask_b32 v108, v110, v108 :: v_dual_lshlrev_b32 v109, v109, v106
	s_delay_alu instid0(VALU_DEP_1) | instskip(NEXT) | instid1(VALU_DEP_2)
	v_and_b32_e32 v109, 7, v109
	v_lshl_add_u32 v108, v108, 23, 0x3b800000
	s_delay_alu instid0(VALU_DEP_2) | instskip(SKIP_1) | instid1(VALU_DEP_2)
	v_cndmask_b32_e32 v107, v107, v109, vcc_lo
	v_and_b32_e32 v109, 0x80000000, v111
	v_lshlrev_b32_e32 v107, 20, v107
	s_delay_alu instid0(VALU_DEP_1)
	v_or3_b32 v107, v109, v108, v107
.LBB6_9358:                             ;   in Loop: Header=BB6_9353 Depth=3
	s_or_b32 exec_lo, exec_lo, s31
	s_waitcnt vmcnt(31) lgkmcnt(31)
	v_and_b32_e32 v109, 0xff, v22
	s_mov_b32 s13, 0
	s_mov_b32 s34, exec_lo
                                        ; implicit-def: $sgpr31
	s_delay_alu instid0(VALU_DEP_1)
	v_cmpx_lt_i16_e32 0x7f, v109
	s_xor_b32 s34, exec_lo, s34
	s_cbranch_execnz .LBB6_10283
; %bb.9359:                             ;   in Loop: Header=BB6_9353 Depth=3
	s_or_saveexec_b32 s34, s34
	v_mov_b32_e32 v108, s31
	s_xor_b32 exec_lo, exec_lo, s34
	s_cbranch_execnz .LBB6_10286
.LBB6_9360:                             ;   in Loop: Header=BB6_9353 Depth=3
	s_or_b32 exec_lo, exec_lo, s34
	s_and_saveexec_b32 s31, s13
	s_cbranch_execz .LBB6_9362
.LBB6_9361:                             ;   in Loop: Header=BB6_9353 Depth=3
	v_lshrrev_b16 v111, 3, v22
	v_lshlrev_b32_e32 v120, 24, v22
	s_delay_alu instid0(VALU_DEP_2) | instskip(NEXT) | instid1(VALU_DEP_1)
	v_and_b32_e32 v111, 15, v111
	v_cmp_eq_u32_e32 vcc_lo, 0, v111
	v_and_b32_e32 v108, 7, v22
	s_delay_alu instid0(VALU_DEP_1) | instskip(NEXT) | instid1(VALU_DEP_1)
	v_clz_i32_u32_e32 v109, v108
	v_min_u32_e32 v109, 32, v109
	s_delay_alu instid0(VALU_DEP_1) | instskip(SKIP_1) | instid1(VALU_DEP_1)
	v_subrev_nc_u32_e32 v110, 28, v109
	v_sub_nc_u32_e32 v109, 29, v109
	v_dual_cndmask_b32 v109, v111, v109 :: v_dual_lshlrev_b32 v110, v110, v22
	s_delay_alu instid0(VALU_DEP_1) | instskip(NEXT) | instid1(VALU_DEP_2)
	v_and_b32_e32 v110, 7, v110
	v_lshl_add_u32 v109, v109, 23, 0x3b800000
	s_delay_alu instid0(VALU_DEP_2) | instskip(SKIP_1) | instid1(VALU_DEP_2)
	v_cndmask_b32_e32 v108, v108, v110, vcc_lo
	v_and_b32_e32 v110, 0x80000000, v120
	v_lshlrev_b32_e32 v108, 20, v108
	s_delay_alu instid0(VALU_DEP_1)
	v_or3_b32 v108, v110, v109, v108
.LBB6_9362:                             ;   in Loop: Header=BB6_9353 Depth=3
	s_or_b32 exec_lo, exec_lo, s31
	s_delay_alu instid0(VALU_DEP_1) | instskip(SKIP_1) | instid1(VALU_DEP_1)
	v_dual_max_f32 v108, v108, v108 :: v_dual_max_f32 v107, v107, v107
	s_mov_b32 s13, 0
	v_max_f32_e32 v107, v107, v108
	s_branch .LBB6_9364
.LBB6_9363:                             ;   in Loop: Header=BB6_9353 Depth=3
	s_mov_b32 s13, -1
                                        ; implicit-def: $vgpr107
.LBB6_9364:                             ;   in Loop: Header=BB6_9353 Depth=3
	s_delay_alu instid0(SALU_CYCLE_1)
	s_and_b32 vcc_lo, exec_lo, s13
	s_cbranch_vccz .LBB6_9374
; %bb.9365:                             ;   in Loop: Header=BB6_9353 Depth=3
	s_waitcnt vmcnt(62) lgkmcnt(62)
	v_and_b32_e32 v108, 0xff, v106
	s_mov_b32 s13, 0
	s_mov_b32 s34, exec_lo
                                        ; implicit-def: $sgpr31
	s_delay_alu instid0(VALU_DEP_1)
	v_cmpx_lt_i16_e32 0x7f, v108
	s_xor_b32 s34, exec_lo, s34
	s_cbranch_execnz .LBB6_10287
; %bb.9366:                             ;   in Loop: Header=BB6_9353 Depth=3
	s_or_saveexec_b32 s34, s34
	v_mov_b32_e32 v107, s31
	s_xor_b32 exec_lo, exec_lo, s34
	s_cbranch_execnz .LBB6_10290
.LBB6_9367:                             ;   in Loop: Header=BB6_9353 Depth=3
	s_or_b32 exec_lo, exec_lo, s34
	s_and_saveexec_b32 s31, s13
	s_cbranch_execz .LBB6_9369
.LBB6_9368:                             ;   in Loop: Header=BB6_9353 Depth=3
	v_lshrrev_b16 v110, 3, v106
	s_delay_alu instid0(VALU_DEP_1) | instskip(NEXT) | instid1(VALU_DEP_1)
	v_and_b32_e32 v110, 15, v110
	v_cmp_eq_u32_e32 vcc_lo, 0, v110
	v_and_b32_e32 v107, 7, v106
	s_delay_alu instid0(VALU_DEP_1) | instskip(NEXT) | instid1(VALU_DEP_1)
	v_clz_i32_u32_e32 v108, v107
	v_min_u32_e32 v108, 32, v108
	s_delay_alu instid0(VALU_DEP_1) | instskip(SKIP_1) | instid1(VALU_DEP_1)
	v_subrev_nc_u32_e32 v109, 28, v108
	v_sub_nc_u32_e32 v108, 29, v108
	v_dual_cndmask_b32 v108, v110, v108 :: v_dual_lshlrev_b32 v109, v109, v106
	v_lshlrev_b32_e32 v106, 24, v106
	s_delay_alu instid0(VALU_DEP_2) | instskip(NEXT) | instid1(VALU_DEP_3)
	v_and_b32_e32 v109, 7, v109
	v_lshl_add_u32 v108, v108, 23, 0x3b800000
	s_delay_alu instid0(VALU_DEP_2) | instskip(NEXT) | instid1(VALU_DEP_1)
	v_dual_cndmask_b32 v107, v107, v109 :: v_dual_and_b32 v106, 0x80000000, v106
	v_lshlrev_b32_e32 v107, 20, v107
	s_delay_alu instid0(VALU_DEP_1)
	v_or3_b32 v107, v106, v108, v107
.LBB6_9369:                             ;   in Loop: Header=BB6_9353 Depth=3
	s_or_b32 exec_lo, exec_lo, s31
	s_waitcnt vmcnt(31) lgkmcnt(31)
	v_and_b32_e32 v108, 0xff, v22
	s_mov_b32 s13, 0
	s_mov_b32 s34, exec_lo
                                        ; implicit-def: $sgpr31
	s_delay_alu instid0(VALU_DEP_1)
	v_cmpx_lt_i16_e32 0x7f, v108
	s_xor_b32 s34, exec_lo, s34
	s_cbranch_execnz .LBB6_10291
; %bb.9370:                             ;   in Loop: Header=BB6_9353 Depth=3
	s_or_saveexec_b32 s34, s34
	v_mov_b32_e32 v106, s31
	s_xor_b32 exec_lo, exec_lo, s34
	s_cbranch_execnz .LBB6_10294
.LBB6_9371:                             ;   in Loop: Header=BB6_9353 Depth=3
	s_or_b32 exec_lo, exec_lo, s34
	s_and_saveexec_b32 s31, s13
	s_cbranch_execz .LBB6_9373
.LBB6_9372:                             ;   in Loop: Header=BB6_9353 Depth=3
	v_and_b32_e32 v106, 7, v22
	v_lshrrev_b16 v110, 3, v22
	s_delay_alu instid0(VALU_DEP_2) | instskip(NEXT) | instid1(VALU_DEP_2)
	v_clz_i32_u32_e32 v108, v106
	v_and_b32_e32 v110, 15, v110
	s_delay_alu instid0(VALU_DEP_2) | instskip(NEXT) | instid1(VALU_DEP_2)
	v_min_u32_e32 v108, 32, v108
	v_cmp_eq_u32_e32 vcc_lo, 0, v110
	s_delay_alu instid0(VALU_DEP_2) | instskip(SKIP_1) | instid1(VALU_DEP_1)
	v_subrev_nc_u32_e32 v109, 28, v108
	v_sub_nc_u32_e32 v108, 29, v108
	v_dual_cndmask_b32 v108, v110, v108 :: v_dual_lshlrev_b32 v109, v109, v22
	v_lshlrev_b32_e32 v22, 24, v22
	s_delay_alu instid0(VALU_DEP_2) | instskip(NEXT) | instid1(VALU_DEP_3)
	v_and_b32_e32 v109, 7, v109
	v_lshl_add_u32 v108, v108, 23, 0x3b800000
	s_delay_alu instid0(VALU_DEP_3) | instskip(NEXT) | instid1(VALU_DEP_3)
	v_and_b32_e32 v22, 0x80000000, v22
	v_cndmask_b32_e32 v106, v106, v109, vcc_lo
	s_delay_alu instid0(VALU_DEP_1) | instskip(NEXT) | instid1(VALU_DEP_1)
	v_lshlrev_b32_e32 v106, 20, v106
	v_or3_b32 v106, v22, v108, v106
.LBB6_9373:                             ;   in Loop: Header=BB6_9353 Depth=3
	s_or_b32 exec_lo, exec_lo, s31
	s_delay_alu instid0(VALU_DEP_1) | instskip(SKIP_1) | instid1(VALU_DEP_1)
	v_max_f32_e32 v22, v106, v106
	v_max_f32_e32 v106, v107, v107
	v_min_f32_e32 v107, v106, v22
.LBB6_9374:                             ;   in Loop: Header=BB6_9353 Depth=3
	s_waitcnt vmcnt(31) lgkmcnt(31)
	s_delay_alu instid0(VALU_DEP_1) | instskip(NEXT) | instid1(VALU_DEP_1)
	v_and_b32_e32 v22, 0x7f800000, v107
	v_cmp_ne_u32_e32 vcc_lo, 0x7f800000, v22
	v_mov_b32_e32 v22, 0x80
	s_and_saveexec_b32 s31, vcc_lo
	s_cbranch_execz .LBB6_9382
; %bb.9375:                             ;   in Loop: Header=BB6_9353 Depth=3
	v_mov_b32_e32 v22, 0
	s_mov_b32 s34, exec_lo
	v_cmpx_ne_u32_e32 0, v107
	s_cbranch_execz .LBB6_9381
; %bb.9376:                             ;   in Loop: Header=BB6_9353 Depth=3
	v_bfe_u32 v22, v107, 23, 8
	v_and_b32_e32 v106, 0x7fffff, v107
	s_delay_alu instid0(VALU_DEP_2) | instskip(SKIP_1) | instid1(VALU_DEP_3)
	v_sub_nc_u32_e32 v108, 0x78, v22
	v_cmp_gt_u32_e32 vcc_lo, 0x79, v22
	v_or_b32_e32 v109, 0x800000, v106
	s_delay_alu instid0(VALU_DEP_3) | instskip(SKIP_2) | instid1(VALU_DEP_3)
	v_cndmask_b32_e32 v108, 0, v108, vcc_lo
	v_cmp_eq_u32_e32 vcc_lo, 0, v22
	v_add_nc_u32_e32 v22, 0xffffff89, v22
	v_cndmask_b32_e64 v108, v108, 0x77, vcc_lo
	v_cndmask_b32_e32 v106, v109, v106, vcc_lo
	s_delay_alu instid0(VALU_DEP_3) | instskip(NEXT) | instid1(VALU_DEP_3)
	v_cndmask_b32_e64 v22, v22, 0xffffff8a, vcc_lo
	v_lshl_add_u32 v109, 0x100000, v108, -1
	s_delay_alu instid0(VALU_DEP_3) | instskip(SKIP_1) | instid1(VALU_DEP_4)
	v_lshrrev_b32_e32 v110, v108, v106
	v_lshlrev_b32_e64 v120, v108, 0x80000
	v_add_nc_u32_e32 v108, v108, v22
	s_delay_alu instid0(VALU_DEP_4) | instskip(NEXT) | instid1(VALU_DEP_4)
	v_and_b32_e32 v106, v109, v106
	v_bfe_u32 v111, v110, 20, 1
	s_delay_alu instid0(VALU_DEP_2) | instskip(NEXT) | instid1(VALU_DEP_2)
	v_cmp_eq_u32_e64 s13, v106, v120
	v_add_nc_u32_e32 v109, -1, v111
	s_delay_alu instid0(VALU_DEP_1) | instskip(SKIP_2) | instid1(VALU_DEP_2)
	v_cndmask_b32_e64 v106, 0, v109, s13
	v_lshrrev_b32_e32 v109, 23, v110
	s_mov_b32 s13, exec_lo
	v_add_nc_u32_e32 v106, v106, v110
	s_delay_alu instid0(VALU_DEP_2) | instskip(NEXT) | instid1(VALU_DEP_2)
	v_xor_b32_e32 v109, 1, v109
	v_and_b32_e32 v22, 0xfffff, v106
	s_delay_alu instid0(VALU_DEP_1) | instskip(NEXT) | instid1(VALU_DEP_3)
	v_add_nc_u32_e32 v106, v22, v110
                                        ; implicit-def: $vgpr22
	v_cmpx_ne_u32_e64 v108, v109
	s_xor_b32 s13, exec_lo, s13
; %bb.9377:                             ;   in Loop: Header=BB6_9353 Depth=3
	s_delay_alu instid0(VALU_DEP_2) | instskip(SKIP_2) | instid1(VALU_DEP_2)
	v_cmp_lt_u32_e32 vcc_lo, 0xffffff, v106
	v_sub_nc_u32_e32 v22, v108, v109
	v_cndmask_b32_e64 v108, 0, 1, vcc_lo
	v_add_co_ci_u32_e32 v22, vcc_lo, 0, v22, vcc_lo
	s_delay_alu instid0(VALU_DEP_2)
	v_lshrrev_b32_e32 v106, v108, v106
; %bb.9378:                             ;   in Loop: Header=BB6_9353 Depth=3
	s_and_not1_saveexec_b32 s13, s13
; %bb.9379:                             ;   in Loop: Header=BB6_9353 Depth=3
	s_delay_alu instid0(VALU_DEP_1)
	v_bfe_u32 v22, v106, 23, 1
; %bb.9380:                             ;   in Loop: Header=BB6_9353 Depth=3
	s_or_b32 exec_lo, exec_lo, s13
	v_lshrrev_b32_e32 v106, 20, v106
	s_delay_alu instid0(VALU_DEP_2) | instskip(SKIP_2) | instid1(VALU_DEP_2)
	v_cmp_gt_i32_e32 vcc_lo, 16, v22
	v_lshrrev_b32_e32 v107, 24, v107
	v_min_i32_e32 v108, 15, v22
	v_dual_cndmask_b32 v106, 7, v106 :: v_dual_and_b32 v107, 0x80, v107
	s_delay_alu instid0(VALU_DEP_2) | instskip(NEXT) | instid1(VALU_DEP_2)
	v_lshlrev_b32_e32 v108, 3, v108
	v_and_b32_e32 v109, 7, v106
	v_or_b32_e32 v22, v22, v106
	s_delay_alu instid0(VALU_DEP_2) | instskip(NEXT) | instid1(VALU_DEP_2)
	v_or3_b32 v106, v108, v107, v109
	v_cmp_ne_u32_e32 vcc_lo, 0, v22
	s_delay_alu instid0(VALU_DEP_2)
	v_cndmask_b32_e32 v22, 0, v106, vcc_lo
.LBB6_9381:                             ;   in Loop: Header=BB6_9353 Depth=3
	s_or_b32 exec_lo, exec_lo, s34
.LBB6_9382:                             ;   in Loop: Header=BB6_9353 Depth=3
	s_delay_alu instid0(SALU_CYCLE_1) | instskip(NEXT) | instid1(SALU_CYCLE_1)
	s_or_b32 exec_lo, exec_lo, s31
	s_and_not1_b32 vcc_lo, exec_lo, s17
	s_cbranch_vccnz .LBB6_9392
; %bb.9383:                             ;   in Loop: Header=BB6_9353 Depth=3
	v_and_b32_e32 v107, 0xff, v105
	s_mov_b32 s13, 0
	s_mov_b32 s34, exec_lo
                                        ; implicit-def: $sgpr31
	s_delay_alu instid0(VALU_DEP_1)
	v_cmpx_lt_i16_e32 0x7f, v107
	s_xor_b32 s34, exec_lo, s34
	s_cbranch_execnz .LBB6_10295
; %bb.9384:                             ;   in Loop: Header=BB6_9353 Depth=3
	s_or_saveexec_b32 s34, s34
	v_mov_b32_e32 v106, s31
	s_xor_b32 exec_lo, exec_lo, s34
	s_cbranch_execnz .LBB6_10298
.LBB6_9385:                             ;   in Loop: Header=BB6_9353 Depth=3
	s_or_b32 exec_lo, exec_lo, s34
	s_and_saveexec_b32 s31, s13
	s_cbranch_execz .LBB6_9387
.LBB6_9386:                             ;   in Loop: Header=BB6_9353 Depth=3
	v_lshrrev_b16 v109, 3, v105
	v_lshlrev_b32_e32 v110, 24, v105
	s_delay_alu instid0(VALU_DEP_2) | instskip(NEXT) | instid1(VALU_DEP_1)
	v_and_b32_e32 v109, 15, v109
	v_cmp_eq_u32_e32 vcc_lo, 0, v109
	v_and_b32_e32 v106, 7, v105
	s_delay_alu instid0(VALU_DEP_1) | instskip(NEXT) | instid1(VALU_DEP_1)
	v_clz_i32_u32_e32 v107, v106
	v_min_u32_e32 v107, 32, v107
	s_delay_alu instid0(VALU_DEP_1) | instskip(SKIP_1) | instid1(VALU_DEP_1)
	v_subrev_nc_u32_e32 v108, 28, v107
	v_sub_nc_u32_e32 v107, 29, v107
	v_dual_cndmask_b32 v107, v109, v107 :: v_dual_lshlrev_b32 v108, v108, v105
	s_delay_alu instid0(VALU_DEP_1) | instskip(NEXT) | instid1(VALU_DEP_2)
	v_and_b32_e32 v108, 7, v108
	v_lshl_add_u32 v107, v107, 23, 0x3b800000
	s_delay_alu instid0(VALU_DEP_2) | instskip(SKIP_1) | instid1(VALU_DEP_2)
	v_cndmask_b32_e32 v106, v106, v108, vcc_lo
	v_and_b32_e32 v108, 0x80000000, v110
	v_lshlrev_b32_e32 v106, 20, v106
	s_delay_alu instid0(VALU_DEP_1)
	v_or3_b32 v106, v108, v107, v106
.LBB6_9387:                             ;   in Loop: Header=BB6_9353 Depth=3
	s_or_b32 exec_lo, exec_lo, s31
	s_waitcnt vmcnt(30) lgkmcnt(30)
	v_and_b32_e32 v108, 0xff, v25
	s_mov_b32 s13, 0
	s_mov_b32 s34, exec_lo
                                        ; implicit-def: $sgpr31
	s_delay_alu instid0(VALU_DEP_1)
	v_cmpx_lt_i16_e32 0x7f, v108
	s_xor_b32 s34, exec_lo, s34
	s_cbranch_execnz .LBB6_10299
; %bb.9388:                             ;   in Loop: Header=BB6_9353 Depth=3
	s_or_saveexec_b32 s34, s34
	v_mov_b32_e32 v107, s31
	s_xor_b32 exec_lo, exec_lo, s34
	s_cbranch_execnz .LBB6_10302
.LBB6_9389:                             ;   in Loop: Header=BB6_9353 Depth=3
	s_or_b32 exec_lo, exec_lo, s34
	s_and_saveexec_b32 s31, s13
	s_cbranch_execz .LBB6_9391
.LBB6_9390:                             ;   in Loop: Header=BB6_9353 Depth=3
	v_lshrrev_b16 v110, 3, v25
	v_lshlrev_b32_e32 v111, 24, v25
	s_delay_alu instid0(VALU_DEP_2) | instskip(NEXT) | instid1(VALU_DEP_1)
	v_and_b32_e32 v110, 15, v110
	v_cmp_eq_u32_e32 vcc_lo, 0, v110
	v_and_b32_e32 v107, 7, v25
	s_delay_alu instid0(VALU_DEP_1) | instskip(NEXT) | instid1(VALU_DEP_1)
	v_clz_i32_u32_e32 v108, v107
	v_min_u32_e32 v108, 32, v108
	s_delay_alu instid0(VALU_DEP_1) | instskip(SKIP_1) | instid1(VALU_DEP_1)
	v_subrev_nc_u32_e32 v109, 28, v108
	v_sub_nc_u32_e32 v108, 29, v108
	v_dual_cndmask_b32 v108, v110, v108 :: v_dual_lshlrev_b32 v109, v109, v25
	s_delay_alu instid0(VALU_DEP_1) | instskip(NEXT) | instid1(VALU_DEP_2)
	v_and_b32_e32 v109, 7, v109
	v_lshl_add_u32 v108, v108, 23, 0x3b800000
	s_delay_alu instid0(VALU_DEP_2) | instskip(SKIP_1) | instid1(VALU_DEP_2)
	v_cndmask_b32_e32 v107, v107, v109, vcc_lo
	v_and_b32_e32 v109, 0x80000000, v111
	v_lshlrev_b32_e32 v107, 20, v107
	s_delay_alu instid0(VALU_DEP_1)
	v_or3_b32 v107, v109, v108, v107
.LBB6_9391:                             ;   in Loop: Header=BB6_9353 Depth=3
	s_or_b32 exec_lo, exec_lo, s31
	s_delay_alu instid0(VALU_DEP_1) | instskip(SKIP_1) | instid1(VALU_DEP_1)
	v_dual_max_f32 v107, v107, v107 :: v_dual_max_f32 v106, v106, v106
	s_mov_b32 s13, 0
	v_max_f32_e32 v106, v106, v107
	s_branch .LBB6_9393
.LBB6_9392:                             ;   in Loop: Header=BB6_9353 Depth=3
	s_mov_b32 s13, -1
                                        ; implicit-def: $vgpr106
.LBB6_9393:                             ;   in Loop: Header=BB6_9353 Depth=3
	s_delay_alu instid0(SALU_CYCLE_1)
	s_and_b32 vcc_lo, exec_lo, s13
	s_cbranch_vccz .LBB6_9403
; %bb.9394:                             ;   in Loop: Header=BB6_9353 Depth=3
	v_and_b32_e32 v107, 0xff, v105
	s_mov_b32 s13, 0
	s_mov_b32 s34, exec_lo
                                        ; implicit-def: $sgpr31
	s_delay_alu instid0(VALU_DEP_1)
	v_cmpx_lt_i16_e32 0x7f, v107
	s_xor_b32 s34, exec_lo, s34
	s_cbranch_execnz .LBB6_10303
; %bb.9395:                             ;   in Loop: Header=BB6_9353 Depth=3
	s_or_saveexec_b32 s34, s34
	v_mov_b32_e32 v106, s31
	s_xor_b32 exec_lo, exec_lo, s34
	s_cbranch_execnz .LBB6_10306
.LBB6_9396:                             ;   in Loop: Header=BB6_9353 Depth=3
	s_or_b32 exec_lo, exec_lo, s34
	s_and_saveexec_b32 s31, s13
	s_cbranch_execz .LBB6_9398
.LBB6_9397:                             ;   in Loop: Header=BB6_9353 Depth=3
	v_lshrrev_b16 v109, 3, v105
	s_delay_alu instid0(VALU_DEP_1) | instskip(NEXT) | instid1(VALU_DEP_1)
	v_and_b32_e32 v109, 15, v109
	v_cmp_eq_u32_e32 vcc_lo, 0, v109
	v_and_b32_e32 v106, 7, v105
	s_delay_alu instid0(VALU_DEP_1) | instskip(NEXT) | instid1(VALU_DEP_1)
	v_clz_i32_u32_e32 v107, v106
	v_min_u32_e32 v107, 32, v107
	s_delay_alu instid0(VALU_DEP_1) | instskip(SKIP_1) | instid1(VALU_DEP_1)
	v_subrev_nc_u32_e32 v108, 28, v107
	v_sub_nc_u32_e32 v107, 29, v107
	v_dual_cndmask_b32 v107, v109, v107 :: v_dual_lshlrev_b32 v108, v108, v105
	v_lshlrev_b32_e32 v105, 24, v105
	s_delay_alu instid0(VALU_DEP_2) | instskip(NEXT) | instid1(VALU_DEP_3)
	v_and_b32_e32 v108, 7, v108
	v_lshl_add_u32 v107, v107, 23, 0x3b800000
	s_delay_alu instid0(VALU_DEP_2) | instskip(NEXT) | instid1(VALU_DEP_1)
	v_dual_cndmask_b32 v106, v106, v108 :: v_dual_and_b32 v105, 0x80000000, v105
	v_lshlrev_b32_e32 v106, 20, v106
	s_delay_alu instid0(VALU_DEP_1)
	v_or3_b32 v106, v105, v107, v106
.LBB6_9398:                             ;   in Loop: Header=BB6_9353 Depth=3
	s_or_b32 exec_lo, exec_lo, s31
	s_waitcnt vmcnt(30) lgkmcnt(30)
	v_and_b32_e32 v107, 0xff, v25
	s_mov_b32 s13, 0
	s_mov_b32 s34, exec_lo
                                        ; implicit-def: $sgpr31
	s_delay_alu instid0(VALU_DEP_1)
	v_cmpx_lt_i16_e32 0x7f, v107
	s_xor_b32 s34, exec_lo, s34
	s_cbranch_execnz .LBB6_10307
; %bb.9399:                             ;   in Loop: Header=BB6_9353 Depth=3
	s_or_saveexec_b32 s34, s34
	v_mov_b32_e32 v105, s31
	s_xor_b32 exec_lo, exec_lo, s34
	s_cbranch_execnz .LBB6_10310
.LBB6_9400:                             ;   in Loop: Header=BB6_9353 Depth=3
	s_or_b32 exec_lo, exec_lo, s34
	s_and_saveexec_b32 s31, s13
	s_cbranch_execz .LBB6_9402
.LBB6_9401:                             ;   in Loop: Header=BB6_9353 Depth=3
	v_and_b32_e32 v105, 7, v25
	v_lshrrev_b16 v109, 3, v25
	s_delay_alu instid0(VALU_DEP_2) | instskip(NEXT) | instid1(VALU_DEP_2)
	v_clz_i32_u32_e32 v107, v105
	v_and_b32_e32 v109, 15, v109
	s_delay_alu instid0(VALU_DEP_2) | instskip(NEXT) | instid1(VALU_DEP_2)
	v_min_u32_e32 v107, 32, v107
	v_cmp_eq_u32_e32 vcc_lo, 0, v109
	s_delay_alu instid0(VALU_DEP_2) | instskip(SKIP_1) | instid1(VALU_DEP_1)
	v_subrev_nc_u32_e32 v108, 28, v107
	v_sub_nc_u32_e32 v107, 29, v107
	v_dual_cndmask_b32 v107, v109, v107 :: v_dual_lshlrev_b32 v108, v108, v25
	v_lshlrev_b32_e32 v25, 24, v25
	s_delay_alu instid0(VALU_DEP_2) | instskip(NEXT) | instid1(VALU_DEP_3)
	v_and_b32_e32 v108, 7, v108
	v_lshl_add_u32 v107, v107, 23, 0x3b800000
	s_delay_alu instid0(VALU_DEP_3) | instskip(NEXT) | instid1(VALU_DEP_3)
	v_and_b32_e32 v25, 0x80000000, v25
	v_cndmask_b32_e32 v105, v105, v108, vcc_lo
	s_delay_alu instid0(VALU_DEP_1) | instskip(NEXT) | instid1(VALU_DEP_1)
	v_lshlrev_b32_e32 v105, 20, v105
	v_or3_b32 v105, v25, v107, v105
.LBB6_9402:                             ;   in Loop: Header=BB6_9353 Depth=3
	s_or_b32 exec_lo, exec_lo, s31
	s_delay_alu instid0(VALU_DEP_1) | instskip(SKIP_1) | instid1(VALU_DEP_1)
	v_max_f32_e32 v25, v105, v105
	v_max_f32_e32 v105, v106, v106
	v_min_f32_e32 v106, v105, v25
.LBB6_9403:                             ;   in Loop: Header=BB6_9353 Depth=3
	s_waitcnt vmcnt(30) lgkmcnt(30)
	s_delay_alu instid0(VALU_DEP_1) | instskip(NEXT) | instid1(VALU_DEP_1)
	v_and_b32_e32 v25, 0x7f800000, v106
	v_cmp_ne_u32_e32 vcc_lo, 0x7f800000, v25
	v_mov_b32_e32 v25, 0x80
	s_and_saveexec_b32 s31, vcc_lo
	s_cbranch_execz .LBB6_9411
; %bb.9404:                             ;   in Loop: Header=BB6_9353 Depth=3
	v_mov_b32_e32 v25, 0
	s_mov_b32 s34, exec_lo
	v_cmpx_ne_u32_e32 0, v106
	s_cbranch_execz .LBB6_9410
; %bb.9405:                             ;   in Loop: Header=BB6_9353 Depth=3
	v_bfe_u32 v25, v106, 23, 8
	v_and_b32_e32 v105, 0x7fffff, v106
	s_delay_alu instid0(VALU_DEP_2) | instskip(SKIP_1) | instid1(VALU_DEP_3)
	v_sub_nc_u32_e32 v107, 0x78, v25
	v_cmp_gt_u32_e32 vcc_lo, 0x79, v25
	v_or_b32_e32 v108, 0x800000, v105
	s_delay_alu instid0(VALU_DEP_3) | instskip(SKIP_2) | instid1(VALU_DEP_3)
	v_cndmask_b32_e32 v107, 0, v107, vcc_lo
	v_cmp_eq_u32_e32 vcc_lo, 0, v25
	v_add_nc_u32_e32 v25, 0xffffff89, v25
	v_cndmask_b32_e64 v107, v107, 0x77, vcc_lo
	v_cndmask_b32_e32 v105, v108, v105, vcc_lo
	s_delay_alu instid0(VALU_DEP_3) | instskip(NEXT) | instid1(VALU_DEP_3)
	v_cndmask_b32_e64 v25, v25, 0xffffff8a, vcc_lo
	v_lshl_add_u32 v108, 0x100000, v107, -1
	s_delay_alu instid0(VALU_DEP_3) | instskip(SKIP_1) | instid1(VALU_DEP_4)
	v_lshrrev_b32_e32 v109, v107, v105
	v_lshlrev_b32_e64 v111, v107, 0x80000
	v_add_nc_u32_e32 v107, v107, v25
	s_delay_alu instid0(VALU_DEP_4) | instskip(NEXT) | instid1(VALU_DEP_4)
	v_and_b32_e32 v105, v108, v105
	v_bfe_u32 v110, v109, 20, 1
	s_delay_alu instid0(VALU_DEP_2) | instskip(NEXT) | instid1(VALU_DEP_2)
	v_cmp_eq_u32_e64 s13, v105, v111
	v_add_nc_u32_e32 v108, -1, v110
	s_delay_alu instid0(VALU_DEP_1) | instskip(SKIP_2) | instid1(VALU_DEP_2)
	v_cndmask_b32_e64 v105, 0, v108, s13
	v_lshrrev_b32_e32 v108, 23, v109
	s_mov_b32 s13, exec_lo
	v_add_nc_u32_e32 v105, v105, v109
	s_delay_alu instid0(VALU_DEP_2) | instskip(NEXT) | instid1(VALU_DEP_2)
	v_xor_b32_e32 v108, 1, v108
	v_and_b32_e32 v25, 0xfffff, v105
	s_delay_alu instid0(VALU_DEP_1) | instskip(NEXT) | instid1(VALU_DEP_3)
	v_add_nc_u32_e32 v105, v25, v109
                                        ; implicit-def: $vgpr25
	v_cmpx_ne_u32_e64 v107, v108
	s_xor_b32 s13, exec_lo, s13
; %bb.9406:                             ;   in Loop: Header=BB6_9353 Depth=3
	s_delay_alu instid0(VALU_DEP_2) | instskip(SKIP_2) | instid1(VALU_DEP_2)
	v_cmp_lt_u32_e32 vcc_lo, 0xffffff, v105
	v_sub_nc_u32_e32 v25, v107, v108
	v_cndmask_b32_e64 v107, 0, 1, vcc_lo
	v_add_co_ci_u32_e32 v25, vcc_lo, 0, v25, vcc_lo
	s_delay_alu instid0(VALU_DEP_2)
	v_lshrrev_b32_e32 v105, v107, v105
; %bb.9407:                             ;   in Loop: Header=BB6_9353 Depth=3
	s_and_not1_saveexec_b32 s13, s13
; %bb.9408:                             ;   in Loop: Header=BB6_9353 Depth=3
	s_delay_alu instid0(VALU_DEP_1)
	v_bfe_u32 v25, v105, 23, 1
; %bb.9409:                             ;   in Loop: Header=BB6_9353 Depth=3
	s_or_b32 exec_lo, exec_lo, s13
	v_lshrrev_b32_e32 v105, 20, v105
	s_delay_alu instid0(VALU_DEP_2) | instskip(SKIP_2) | instid1(VALU_DEP_2)
	v_cmp_gt_i32_e32 vcc_lo, 16, v25
	v_lshrrev_b32_e32 v106, 24, v106
	v_min_i32_e32 v107, 15, v25
	v_dual_cndmask_b32 v105, 7, v105 :: v_dual_and_b32 v106, 0x80, v106
	s_delay_alu instid0(VALU_DEP_2) | instskip(NEXT) | instid1(VALU_DEP_2)
	v_lshlrev_b32_e32 v107, 3, v107
	v_and_b32_e32 v108, 7, v105
	v_or_b32_e32 v25, v25, v105
	s_delay_alu instid0(VALU_DEP_2) | instskip(NEXT) | instid1(VALU_DEP_2)
	v_or3_b32 v105, v107, v106, v108
	v_cmp_ne_u32_e32 vcc_lo, 0, v25
	s_delay_alu instid0(VALU_DEP_2)
	v_cndmask_b32_e32 v25, 0, v105, vcc_lo
.LBB6_9410:                             ;   in Loop: Header=BB6_9353 Depth=3
	s_or_b32 exec_lo, exec_lo, s34
.LBB6_9411:                             ;   in Loop: Header=BB6_9353 Depth=3
	s_delay_alu instid0(SALU_CYCLE_1) | instskip(NEXT) | instid1(SALU_CYCLE_1)
	s_or_b32 exec_lo, exec_lo, s31
	s_and_not1_b32 vcc_lo, exec_lo, s17
	s_cbranch_vccnz .LBB6_9421
; %bb.9412:                             ;   in Loop: Header=BB6_9353 Depth=3
	v_and_b32_e32 v106, 0xff, v104
	s_mov_b32 s13, 0
	s_mov_b32 s34, exec_lo
                                        ; implicit-def: $sgpr31
	s_delay_alu instid0(VALU_DEP_1)
	v_cmpx_lt_i16_e32 0x7f, v106
	s_xor_b32 s34, exec_lo, s34
	s_cbranch_execnz .LBB6_10311
; %bb.9413:                             ;   in Loop: Header=BB6_9353 Depth=3
	s_or_saveexec_b32 s34, s34
	v_mov_b32_e32 v105, s31
	s_xor_b32 exec_lo, exec_lo, s34
	s_cbranch_execnz .LBB6_10314
.LBB6_9414:                             ;   in Loop: Header=BB6_9353 Depth=3
	s_or_b32 exec_lo, exec_lo, s34
	s_and_saveexec_b32 s31, s13
	s_cbranch_execz .LBB6_9416
.LBB6_9415:                             ;   in Loop: Header=BB6_9353 Depth=3
	v_lshrrev_b16 v108, 3, v104
	v_lshlrev_b32_e32 v109, 24, v104
	s_delay_alu instid0(VALU_DEP_2) | instskip(NEXT) | instid1(VALU_DEP_1)
	v_and_b32_e32 v108, 15, v108
	v_cmp_eq_u32_e32 vcc_lo, 0, v108
	v_and_b32_e32 v105, 7, v104
	s_delay_alu instid0(VALU_DEP_1) | instskip(NEXT) | instid1(VALU_DEP_1)
	v_clz_i32_u32_e32 v106, v105
	v_min_u32_e32 v106, 32, v106
	s_delay_alu instid0(VALU_DEP_1) | instskip(SKIP_1) | instid1(VALU_DEP_1)
	v_subrev_nc_u32_e32 v107, 28, v106
	v_sub_nc_u32_e32 v106, 29, v106
	v_dual_cndmask_b32 v106, v108, v106 :: v_dual_lshlrev_b32 v107, v107, v104
	s_delay_alu instid0(VALU_DEP_1) | instskip(NEXT) | instid1(VALU_DEP_2)
	v_and_b32_e32 v107, 7, v107
	v_lshl_add_u32 v106, v106, 23, 0x3b800000
	s_delay_alu instid0(VALU_DEP_2) | instskip(SKIP_1) | instid1(VALU_DEP_2)
	v_cndmask_b32_e32 v105, v105, v107, vcc_lo
	v_and_b32_e32 v107, 0x80000000, v109
	v_lshlrev_b32_e32 v105, 20, v105
	s_delay_alu instid0(VALU_DEP_1)
	v_or3_b32 v105, v107, v106, v105
.LBB6_9416:                             ;   in Loop: Header=BB6_9353 Depth=3
	s_or_b32 exec_lo, exec_lo, s31
	s_waitcnt vmcnt(29) lgkmcnt(29)
	v_and_b32_e32 v107, 0xff, v32
	s_mov_b32 s13, 0
	s_mov_b32 s34, exec_lo
                                        ; implicit-def: $sgpr31
	s_delay_alu instid0(VALU_DEP_1)
	v_cmpx_lt_i16_e32 0x7f, v107
	s_xor_b32 s34, exec_lo, s34
	s_cbranch_execnz .LBB6_10315
; %bb.9417:                             ;   in Loop: Header=BB6_9353 Depth=3
	s_or_saveexec_b32 s34, s34
	v_mov_b32_e32 v106, s31
	s_xor_b32 exec_lo, exec_lo, s34
	s_cbranch_execnz .LBB6_10318
.LBB6_9418:                             ;   in Loop: Header=BB6_9353 Depth=3
	s_or_b32 exec_lo, exec_lo, s34
	s_and_saveexec_b32 s31, s13
	s_cbranch_execz .LBB6_9420
.LBB6_9419:                             ;   in Loop: Header=BB6_9353 Depth=3
	v_lshrrev_b16 v109, 3, v32
	v_lshlrev_b32_e32 v110, 24, v32
	s_delay_alu instid0(VALU_DEP_2) | instskip(NEXT) | instid1(VALU_DEP_1)
	v_and_b32_e32 v109, 15, v109
	v_cmp_eq_u32_e32 vcc_lo, 0, v109
	v_and_b32_e32 v106, 7, v32
	s_delay_alu instid0(VALU_DEP_1) | instskip(NEXT) | instid1(VALU_DEP_1)
	v_clz_i32_u32_e32 v107, v106
	v_min_u32_e32 v107, 32, v107
	s_delay_alu instid0(VALU_DEP_1) | instskip(SKIP_1) | instid1(VALU_DEP_1)
	v_subrev_nc_u32_e32 v108, 28, v107
	v_sub_nc_u32_e32 v107, 29, v107
	v_dual_cndmask_b32 v107, v109, v107 :: v_dual_lshlrev_b32 v108, v108, v32
	s_delay_alu instid0(VALU_DEP_1) | instskip(NEXT) | instid1(VALU_DEP_2)
	v_and_b32_e32 v108, 7, v108
	v_lshl_add_u32 v107, v107, 23, 0x3b800000
	s_delay_alu instid0(VALU_DEP_2) | instskip(SKIP_1) | instid1(VALU_DEP_2)
	v_cndmask_b32_e32 v106, v106, v108, vcc_lo
	v_and_b32_e32 v108, 0x80000000, v110
	v_lshlrev_b32_e32 v106, 20, v106
	s_delay_alu instid0(VALU_DEP_1)
	v_or3_b32 v106, v108, v107, v106
.LBB6_9420:                             ;   in Loop: Header=BB6_9353 Depth=3
	s_or_b32 exec_lo, exec_lo, s31
	s_delay_alu instid0(VALU_DEP_1) | instskip(SKIP_1) | instid1(VALU_DEP_1)
	v_dual_max_f32 v106, v106, v106 :: v_dual_max_f32 v105, v105, v105
	s_mov_b32 s13, 0
	v_max_f32_e32 v105, v105, v106
	s_branch .LBB6_9422
.LBB6_9421:                             ;   in Loop: Header=BB6_9353 Depth=3
	s_mov_b32 s13, -1
                                        ; implicit-def: $vgpr105
.LBB6_9422:                             ;   in Loop: Header=BB6_9353 Depth=3
	s_delay_alu instid0(SALU_CYCLE_1)
	s_and_b32 vcc_lo, exec_lo, s13
	s_cbranch_vccz .LBB6_9432
; %bb.9423:                             ;   in Loop: Header=BB6_9353 Depth=3
	v_and_b32_e32 v106, 0xff, v104
	s_mov_b32 s13, 0
	s_mov_b32 s34, exec_lo
                                        ; implicit-def: $sgpr31
	s_delay_alu instid0(VALU_DEP_1)
	v_cmpx_lt_i16_e32 0x7f, v106
	s_xor_b32 s34, exec_lo, s34
	s_cbranch_execnz .LBB6_10319
; %bb.9424:                             ;   in Loop: Header=BB6_9353 Depth=3
	s_or_saveexec_b32 s34, s34
	v_mov_b32_e32 v105, s31
	s_xor_b32 exec_lo, exec_lo, s34
	s_cbranch_execnz .LBB6_10322
.LBB6_9425:                             ;   in Loop: Header=BB6_9353 Depth=3
	s_or_b32 exec_lo, exec_lo, s34
	s_and_saveexec_b32 s31, s13
	s_cbranch_execz .LBB6_9427
.LBB6_9426:                             ;   in Loop: Header=BB6_9353 Depth=3
	v_lshrrev_b16 v108, 3, v104
	s_delay_alu instid0(VALU_DEP_1) | instskip(NEXT) | instid1(VALU_DEP_1)
	v_and_b32_e32 v108, 15, v108
	v_cmp_eq_u32_e32 vcc_lo, 0, v108
	v_and_b32_e32 v105, 7, v104
	s_delay_alu instid0(VALU_DEP_1) | instskip(NEXT) | instid1(VALU_DEP_1)
	v_clz_i32_u32_e32 v106, v105
	v_min_u32_e32 v106, 32, v106
	s_delay_alu instid0(VALU_DEP_1) | instskip(SKIP_1) | instid1(VALU_DEP_1)
	v_subrev_nc_u32_e32 v107, 28, v106
	v_sub_nc_u32_e32 v106, 29, v106
	v_dual_cndmask_b32 v106, v108, v106 :: v_dual_lshlrev_b32 v107, v107, v104
	v_lshlrev_b32_e32 v104, 24, v104
	s_delay_alu instid0(VALU_DEP_2) | instskip(NEXT) | instid1(VALU_DEP_3)
	v_and_b32_e32 v107, 7, v107
	v_lshl_add_u32 v106, v106, 23, 0x3b800000
	s_delay_alu instid0(VALU_DEP_2) | instskip(NEXT) | instid1(VALU_DEP_1)
	v_dual_cndmask_b32 v105, v105, v107 :: v_dual_and_b32 v104, 0x80000000, v104
	v_lshlrev_b32_e32 v105, 20, v105
	s_delay_alu instid0(VALU_DEP_1)
	v_or3_b32 v105, v104, v106, v105
.LBB6_9427:                             ;   in Loop: Header=BB6_9353 Depth=3
	s_or_b32 exec_lo, exec_lo, s31
	s_waitcnt vmcnt(29) lgkmcnt(29)
	v_and_b32_e32 v106, 0xff, v32
	s_mov_b32 s13, 0
	s_mov_b32 s34, exec_lo
                                        ; implicit-def: $sgpr31
	s_delay_alu instid0(VALU_DEP_1)
	v_cmpx_lt_i16_e32 0x7f, v106
	s_xor_b32 s34, exec_lo, s34
	s_cbranch_execnz .LBB6_10323
; %bb.9428:                             ;   in Loop: Header=BB6_9353 Depth=3
	s_or_saveexec_b32 s34, s34
	v_mov_b32_e32 v104, s31
	s_xor_b32 exec_lo, exec_lo, s34
	s_cbranch_execnz .LBB6_10326
.LBB6_9429:                             ;   in Loop: Header=BB6_9353 Depth=3
	s_or_b32 exec_lo, exec_lo, s34
	s_and_saveexec_b32 s31, s13
	s_cbranch_execz .LBB6_9431
.LBB6_9430:                             ;   in Loop: Header=BB6_9353 Depth=3
	v_and_b32_e32 v104, 7, v32
	v_lshrrev_b16 v108, 3, v32
	s_delay_alu instid0(VALU_DEP_2) | instskip(NEXT) | instid1(VALU_DEP_2)
	v_clz_i32_u32_e32 v106, v104
	v_and_b32_e32 v108, 15, v108
	s_delay_alu instid0(VALU_DEP_2) | instskip(NEXT) | instid1(VALU_DEP_2)
	v_min_u32_e32 v106, 32, v106
	v_cmp_eq_u32_e32 vcc_lo, 0, v108
	s_delay_alu instid0(VALU_DEP_2) | instskip(SKIP_1) | instid1(VALU_DEP_1)
	v_subrev_nc_u32_e32 v107, 28, v106
	v_sub_nc_u32_e32 v106, 29, v106
	v_dual_cndmask_b32 v106, v108, v106 :: v_dual_lshlrev_b32 v107, v107, v32
	v_lshlrev_b32_e32 v32, 24, v32
	s_delay_alu instid0(VALU_DEP_2) | instskip(NEXT) | instid1(VALU_DEP_3)
	v_and_b32_e32 v107, 7, v107
	v_lshl_add_u32 v106, v106, 23, 0x3b800000
	s_delay_alu instid0(VALU_DEP_3) | instskip(NEXT) | instid1(VALU_DEP_3)
	v_and_b32_e32 v32, 0x80000000, v32
	v_cndmask_b32_e32 v104, v104, v107, vcc_lo
	s_delay_alu instid0(VALU_DEP_1) | instskip(NEXT) | instid1(VALU_DEP_1)
	v_lshlrev_b32_e32 v104, 20, v104
	v_or3_b32 v104, v32, v106, v104
.LBB6_9431:                             ;   in Loop: Header=BB6_9353 Depth=3
	s_or_b32 exec_lo, exec_lo, s31
	s_delay_alu instid0(VALU_DEP_1) | instskip(SKIP_1) | instid1(VALU_DEP_1)
	v_max_f32_e32 v32, v104, v104
	v_max_f32_e32 v104, v105, v105
	v_min_f32_e32 v105, v104, v32
.LBB6_9432:                             ;   in Loop: Header=BB6_9353 Depth=3
	s_waitcnt vmcnt(29) lgkmcnt(29)
	s_delay_alu instid0(VALU_DEP_1) | instskip(NEXT) | instid1(VALU_DEP_1)
	v_and_b32_e32 v32, 0x7f800000, v105
	v_cmp_ne_u32_e32 vcc_lo, 0x7f800000, v32
	v_mov_b32_e32 v32, 0x80
	s_and_saveexec_b32 s31, vcc_lo
	s_cbranch_execz .LBB6_9440
; %bb.9433:                             ;   in Loop: Header=BB6_9353 Depth=3
	v_mov_b32_e32 v32, 0
	s_mov_b32 s34, exec_lo
	v_cmpx_ne_u32_e32 0, v105
	s_cbranch_execz .LBB6_9439
; %bb.9434:                             ;   in Loop: Header=BB6_9353 Depth=3
	v_bfe_u32 v32, v105, 23, 8
	v_and_b32_e32 v104, 0x7fffff, v105
	s_delay_alu instid0(VALU_DEP_2) | instskip(SKIP_1) | instid1(VALU_DEP_3)
	v_sub_nc_u32_e32 v106, 0x78, v32
	v_cmp_gt_u32_e32 vcc_lo, 0x79, v32
	v_or_b32_e32 v107, 0x800000, v104
	s_delay_alu instid0(VALU_DEP_3) | instskip(SKIP_2) | instid1(VALU_DEP_3)
	v_cndmask_b32_e32 v106, 0, v106, vcc_lo
	v_cmp_eq_u32_e32 vcc_lo, 0, v32
	v_add_nc_u32_e32 v32, 0xffffff89, v32
	v_cndmask_b32_e64 v106, v106, 0x77, vcc_lo
	v_cndmask_b32_e32 v104, v107, v104, vcc_lo
	s_delay_alu instid0(VALU_DEP_3) | instskip(NEXT) | instid1(VALU_DEP_3)
	v_cndmask_b32_e64 v32, v32, 0xffffff8a, vcc_lo
	v_lshl_add_u32 v107, 0x100000, v106, -1
	s_delay_alu instid0(VALU_DEP_3) | instskip(SKIP_1) | instid1(VALU_DEP_4)
	v_lshrrev_b32_e32 v108, v106, v104
	v_lshlrev_b32_e64 v110, v106, 0x80000
	v_add_nc_u32_e32 v106, v106, v32
	s_delay_alu instid0(VALU_DEP_4) | instskip(NEXT) | instid1(VALU_DEP_4)
	v_and_b32_e32 v104, v107, v104
	v_bfe_u32 v109, v108, 20, 1
	s_delay_alu instid0(VALU_DEP_2) | instskip(NEXT) | instid1(VALU_DEP_2)
	v_cmp_eq_u32_e64 s13, v104, v110
	v_add_nc_u32_e32 v107, -1, v109
	s_delay_alu instid0(VALU_DEP_1) | instskip(SKIP_2) | instid1(VALU_DEP_2)
	v_cndmask_b32_e64 v104, 0, v107, s13
	v_lshrrev_b32_e32 v107, 23, v108
	s_mov_b32 s13, exec_lo
	v_add_nc_u32_e32 v104, v104, v108
	s_delay_alu instid0(VALU_DEP_2) | instskip(NEXT) | instid1(VALU_DEP_2)
	v_xor_b32_e32 v107, 1, v107
	v_and_b32_e32 v32, 0xfffff, v104
	s_delay_alu instid0(VALU_DEP_1) | instskip(NEXT) | instid1(VALU_DEP_3)
	v_add_nc_u32_e32 v104, v32, v108
                                        ; implicit-def: $vgpr32
	v_cmpx_ne_u32_e64 v106, v107
	s_xor_b32 s13, exec_lo, s13
; %bb.9435:                             ;   in Loop: Header=BB6_9353 Depth=3
	s_delay_alu instid0(VALU_DEP_2) | instskip(SKIP_2) | instid1(VALU_DEP_2)
	v_cmp_lt_u32_e32 vcc_lo, 0xffffff, v104
	v_sub_nc_u32_e32 v32, v106, v107
	v_cndmask_b32_e64 v106, 0, 1, vcc_lo
	v_add_co_ci_u32_e32 v32, vcc_lo, 0, v32, vcc_lo
	s_delay_alu instid0(VALU_DEP_2)
	v_lshrrev_b32_e32 v104, v106, v104
; %bb.9436:                             ;   in Loop: Header=BB6_9353 Depth=3
	s_and_not1_saveexec_b32 s13, s13
; %bb.9437:                             ;   in Loop: Header=BB6_9353 Depth=3
	s_delay_alu instid0(VALU_DEP_1)
	v_bfe_u32 v32, v104, 23, 1
; %bb.9438:                             ;   in Loop: Header=BB6_9353 Depth=3
	s_or_b32 exec_lo, exec_lo, s13
	v_lshrrev_b32_e32 v104, 20, v104
	s_delay_alu instid0(VALU_DEP_2) | instskip(SKIP_2) | instid1(VALU_DEP_2)
	v_cmp_gt_i32_e32 vcc_lo, 16, v32
	v_lshrrev_b32_e32 v105, 24, v105
	v_min_i32_e32 v106, 15, v32
	v_dual_cndmask_b32 v104, 7, v104 :: v_dual_and_b32 v105, 0x80, v105
	s_delay_alu instid0(VALU_DEP_2) | instskip(NEXT) | instid1(VALU_DEP_2)
	v_lshlrev_b32_e32 v106, 3, v106
	v_and_b32_e32 v107, 7, v104
	v_or_b32_e32 v32, v32, v104
	s_delay_alu instid0(VALU_DEP_2) | instskip(NEXT) | instid1(VALU_DEP_2)
	v_or3_b32 v104, v106, v105, v107
	v_cmp_ne_u32_e32 vcc_lo, 0, v32
	s_delay_alu instid0(VALU_DEP_2)
	v_cndmask_b32_e32 v32, 0, v104, vcc_lo
.LBB6_9439:                             ;   in Loop: Header=BB6_9353 Depth=3
	s_or_b32 exec_lo, exec_lo, s34
.LBB6_9440:                             ;   in Loop: Header=BB6_9353 Depth=3
	s_delay_alu instid0(SALU_CYCLE_1) | instskip(NEXT) | instid1(SALU_CYCLE_1)
	s_or_b32 exec_lo, exec_lo, s31
	s_and_not1_b32 vcc_lo, exec_lo, s17
	s_cbranch_vccnz .LBB6_9450
; %bb.9441:                             ;   in Loop: Header=BB6_9353 Depth=3
	v_and_b32_e32 v105, 0xff, v95
	s_mov_b32 s13, 0
	s_mov_b32 s34, exec_lo
                                        ; implicit-def: $sgpr31
	s_delay_alu instid0(VALU_DEP_1)
	v_cmpx_lt_i16_e32 0x7f, v105
	s_xor_b32 s34, exec_lo, s34
	s_cbranch_execnz .LBB6_10327
; %bb.9442:                             ;   in Loop: Header=BB6_9353 Depth=3
	s_or_saveexec_b32 s34, s34
	v_mov_b32_e32 v104, s31
	s_xor_b32 exec_lo, exec_lo, s34
	s_cbranch_execnz .LBB6_10330
.LBB6_9443:                             ;   in Loop: Header=BB6_9353 Depth=3
	s_or_b32 exec_lo, exec_lo, s34
	s_and_saveexec_b32 s31, s13
	s_cbranch_execz .LBB6_9445
.LBB6_9444:                             ;   in Loop: Header=BB6_9353 Depth=3
	v_lshrrev_b16 v107, 3, v95
	v_lshlrev_b32_e32 v108, 24, v95
	s_delay_alu instid0(VALU_DEP_2) | instskip(NEXT) | instid1(VALU_DEP_1)
	v_and_b32_e32 v107, 15, v107
	v_cmp_eq_u32_e32 vcc_lo, 0, v107
	v_and_b32_e32 v104, 7, v95
	s_delay_alu instid0(VALU_DEP_1) | instskip(NEXT) | instid1(VALU_DEP_1)
	v_clz_i32_u32_e32 v105, v104
	v_min_u32_e32 v105, 32, v105
	s_delay_alu instid0(VALU_DEP_1) | instskip(SKIP_1) | instid1(VALU_DEP_1)
	v_subrev_nc_u32_e32 v106, 28, v105
	v_sub_nc_u32_e32 v105, 29, v105
	v_dual_cndmask_b32 v105, v107, v105 :: v_dual_lshlrev_b32 v106, v106, v95
	s_delay_alu instid0(VALU_DEP_1) | instskip(NEXT) | instid1(VALU_DEP_2)
	v_and_b32_e32 v106, 7, v106
	v_lshl_add_u32 v105, v105, 23, 0x3b800000
	s_delay_alu instid0(VALU_DEP_2) | instskip(SKIP_1) | instid1(VALU_DEP_2)
	v_cndmask_b32_e32 v104, v104, v106, vcc_lo
	v_and_b32_e32 v106, 0x80000000, v108
	v_lshlrev_b32_e32 v104, 20, v104
	s_delay_alu instid0(VALU_DEP_1)
	v_or3_b32 v104, v106, v105, v104
.LBB6_9445:                             ;   in Loop: Header=BB6_9353 Depth=3
	s_or_b32 exec_lo, exec_lo, s31
	s_waitcnt vmcnt(28) lgkmcnt(28)
	v_and_b32_e32 v106, 0xff, v35
	s_mov_b32 s13, 0
	s_mov_b32 s34, exec_lo
                                        ; implicit-def: $sgpr31
	s_delay_alu instid0(VALU_DEP_1)
	v_cmpx_lt_i16_e32 0x7f, v106
	s_xor_b32 s34, exec_lo, s34
	s_cbranch_execnz .LBB6_10331
; %bb.9446:                             ;   in Loop: Header=BB6_9353 Depth=3
	s_or_saveexec_b32 s34, s34
	v_mov_b32_e32 v105, s31
	s_xor_b32 exec_lo, exec_lo, s34
	s_cbranch_execnz .LBB6_10334
.LBB6_9447:                             ;   in Loop: Header=BB6_9353 Depth=3
	s_or_b32 exec_lo, exec_lo, s34
	s_and_saveexec_b32 s31, s13
	s_cbranch_execz .LBB6_9449
.LBB6_9448:                             ;   in Loop: Header=BB6_9353 Depth=3
	v_lshrrev_b16 v108, 3, v35
	v_lshlrev_b32_e32 v109, 24, v35
	s_delay_alu instid0(VALU_DEP_2) | instskip(NEXT) | instid1(VALU_DEP_1)
	v_and_b32_e32 v108, 15, v108
	v_cmp_eq_u32_e32 vcc_lo, 0, v108
	v_and_b32_e32 v105, 7, v35
	s_delay_alu instid0(VALU_DEP_1) | instskip(NEXT) | instid1(VALU_DEP_1)
	v_clz_i32_u32_e32 v106, v105
	v_min_u32_e32 v106, 32, v106
	s_delay_alu instid0(VALU_DEP_1) | instskip(SKIP_1) | instid1(VALU_DEP_1)
	v_subrev_nc_u32_e32 v107, 28, v106
	v_sub_nc_u32_e32 v106, 29, v106
	v_dual_cndmask_b32 v106, v108, v106 :: v_dual_lshlrev_b32 v107, v107, v35
	s_delay_alu instid0(VALU_DEP_1) | instskip(NEXT) | instid1(VALU_DEP_2)
	v_and_b32_e32 v107, 7, v107
	v_lshl_add_u32 v106, v106, 23, 0x3b800000
	s_delay_alu instid0(VALU_DEP_2) | instskip(SKIP_1) | instid1(VALU_DEP_2)
	v_cndmask_b32_e32 v105, v105, v107, vcc_lo
	v_and_b32_e32 v107, 0x80000000, v109
	v_lshlrev_b32_e32 v105, 20, v105
	s_delay_alu instid0(VALU_DEP_1)
	v_or3_b32 v105, v107, v106, v105
.LBB6_9449:                             ;   in Loop: Header=BB6_9353 Depth=3
	s_or_b32 exec_lo, exec_lo, s31
	s_delay_alu instid0(VALU_DEP_1) | instskip(SKIP_1) | instid1(VALU_DEP_1)
	v_dual_max_f32 v105, v105, v105 :: v_dual_max_f32 v104, v104, v104
	s_mov_b32 s13, 0
	v_max_f32_e32 v104, v104, v105
	s_branch .LBB6_9451
.LBB6_9450:                             ;   in Loop: Header=BB6_9353 Depth=3
	s_mov_b32 s13, -1
                                        ; implicit-def: $vgpr104
.LBB6_9451:                             ;   in Loop: Header=BB6_9353 Depth=3
	s_delay_alu instid0(SALU_CYCLE_1)
	s_and_b32 vcc_lo, exec_lo, s13
	s_cbranch_vccz .LBB6_9461
; %bb.9452:                             ;   in Loop: Header=BB6_9353 Depth=3
	v_and_b32_e32 v105, 0xff, v95
	s_mov_b32 s13, 0
	s_mov_b32 s34, exec_lo
                                        ; implicit-def: $sgpr31
	s_delay_alu instid0(VALU_DEP_1)
	v_cmpx_lt_i16_e32 0x7f, v105
	s_xor_b32 s34, exec_lo, s34
	s_cbranch_execnz .LBB6_10335
; %bb.9453:                             ;   in Loop: Header=BB6_9353 Depth=3
	s_or_saveexec_b32 s34, s34
	v_mov_b32_e32 v104, s31
	s_xor_b32 exec_lo, exec_lo, s34
	s_cbranch_execnz .LBB6_10338
.LBB6_9454:                             ;   in Loop: Header=BB6_9353 Depth=3
	s_or_b32 exec_lo, exec_lo, s34
	s_and_saveexec_b32 s31, s13
	s_cbranch_execz .LBB6_9456
.LBB6_9455:                             ;   in Loop: Header=BB6_9353 Depth=3
	v_lshrrev_b16 v107, 3, v95
	s_delay_alu instid0(VALU_DEP_1) | instskip(NEXT) | instid1(VALU_DEP_1)
	v_and_b32_e32 v107, 15, v107
	v_cmp_eq_u32_e32 vcc_lo, 0, v107
	v_and_b32_e32 v104, 7, v95
	s_delay_alu instid0(VALU_DEP_1) | instskip(NEXT) | instid1(VALU_DEP_1)
	v_clz_i32_u32_e32 v105, v104
	v_min_u32_e32 v105, 32, v105
	s_delay_alu instid0(VALU_DEP_1) | instskip(SKIP_1) | instid1(VALU_DEP_1)
	v_subrev_nc_u32_e32 v106, 28, v105
	v_sub_nc_u32_e32 v105, 29, v105
	v_dual_cndmask_b32 v105, v107, v105 :: v_dual_lshlrev_b32 v106, v106, v95
	v_lshlrev_b32_e32 v95, 24, v95
	s_delay_alu instid0(VALU_DEP_2) | instskip(NEXT) | instid1(VALU_DEP_3)
	v_and_b32_e32 v106, 7, v106
	v_lshl_add_u32 v105, v105, 23, 0x3b800000
	s_delay_alu instid0(VALU_DEP_2) | instskip(NEXT) | instid1(VALU_DEP_1)
	v_dual_cndmask_b32 v104, v104, v106 :: v_dual_and_b32 v95, 0x80000000, v95
	v_lshlrev_b32_e32 v104, 20, v104
	s_delay_alu instid0(VALU_DEP_1)
	v_or3_b32 v104, v95, v105, v104
.LBB6_9456:                             ;   in Loop: Header=BB6_9353 Depth=3
	s_or_b32 exec_lo, exec_lo, s31
	s_waitcnt vmcnt(28) lgkmcnt(28)
	v_and_b32_e32 v105, 0xff, v35
	s_mov_b32 s13, 0
	s_mov_b32 s34, exec_lo
                                        ; implicit-def: $sgpr31
	s_delay_alu instid0(VALU_DEP_1)
	v_cmpx_lt_i16_e32 0x7f, v105
	s_xor_b32 s34, exec_lo, s34
	s_cbranch_execnz .LBB6_10339
; %bb.9457:                             ;   in Loop: Header=BB6_9353 Depth=3
	s_or_saveexec_b32 s34, s34
	v_mov_b32_e32 v95, s31
	s_xor_b32 exec_lo, exec_lo, s34
	s_cbranch_execnz .LBB6_10342
.LBB6_9458:                             ;   in Loop: Header=BB6_9353 Depth=3
	s_or_b32 exec_lo, exec_lo, s34
	s_and_saveexec_b32 s31, s13
	s_cbranch_execz .LBB6_9460
.LBB6_9459:                             ;   in Loop: Header=BB6_9353 Depth=3
	v_and_b32_e32 v95, 7, v35
	v_lshrrev_b16 v107, 3, v35
	s_delay_alu instid0(VALU_DEP_2) | instskip(NEXT) | instid1(VALU_DEP_2)
	v_clz_i32_u32_e32 v105, v95
	v_and_b32_e32 v107, 15, v107
	s_delay_alu instid0(VALU_DEP_2) | instskip(NEXT) | instid1(VALU_DEP_2)
	v_min_u32_e32 v105, 32, v105
	v_cmp_eq_u32_e32 vcc_lo, 0, v107
	s_delay_alu instid0(VALU_DEP_2) | instskip(SKIP_1) | instid1(VALU_DEP_1)
	v_subrev_nc_u32_e32 v106, 28, v105
	v_sub_nc_u32_e32 v105, 29, v105
	v_dual_cndmask_b32 v105, v107, v105 :: v_dual_lshlrev_b32 v106, v106, v35
	v_lshlrev_b32_e32 v35, 24, v35
	s_delay_alu instid0(VALU_DEP_2) | instskip(NEXT) | instid1(VALU_DEP_3)
	v_and_b32_e32 v106, 7, v106
	v_lshl_add_u32 v105, v105, 23, 0x3b800000
	s_delay_alu instid0(VALU_DEP_3) | instskip(NEXT) | instid1(VALU_DEP_3)
	v_and_b32_e32 v35, 0x80000000, v35
	v_cndmask_b32_e32 v95, v95, v106, vcc_lo
	s_delay_alu instid0(VALU_DEP_1) | instskip(NEXT) | instid1(VALU_DEP_1)
	v_lshlrev_b32_e32 v95, 20, v95
	v_or3_b32 v95, v35, v105, v95
.LBB6_9460:                             ;   in Loop: Header=BB6_9353 Depth=3
	s_or_b32 exec_lo, exec_lo, s31
	s_delay_alu instid0(VALU_DEP_1) | instskip(SKIP_1) | instid1(VALU_DEP_1)
	v_max_f32_e32 v35, v95, v95
	v_max_f32_e32 v95, v104, v104
	v_min_f32_e32 v104, v95, v35
.LBB6_9461:                             ;   in Loop: Header=BB6_9353 Depth=3
	s_waitcnt vmcnt(28) lgkmcnt(28)
	s_delay_alu instid0(VALU_DEP_1) | instskip(NEXT) | instid1(VALU_DEP_1)
	v_and_b32_e32 v35, 0x7f800000, v104
	v_cmp_ne_u32_e32 vcc_lo, 0x7f800000, v35
	v_mov_b32_e32 v35, 0x80
	s_and_saveexec_b32 s31, vcc_lo
	s_cbranch_execz .LBB6_9469
; %bb.9462:                             ;   in Loop: Header=BB6_9353 Depth=3
	v_mov_b32_e32 v35, 0
	s_mov_b32 s34, exec_lo
	v_cmpx_ne_u32_e32 0, v104
	s_cbranch_execz .LBB6_9468
; %bb.9463:                             ;   in Loop: Header=BB6_9353 Depth=3
	v_bfe_u32 v35, v104, 23, 8
	v_and_b32_e32 v95, 0x7fffff, v104
	s_delay_alu instid0(VALU_DEP_2) | instskip(SKIP_1) | instid1(VALU_DEP_3)
	v_sub_nc_u32_e32 v105, 0x78, v35
	v_cmp_gt_u32_e32 vcc_lo, 0x79, v35
	v_or_b32_e32 v106, 0x800000, v95
	s_delay_alu instid0(VALU_DEP_3) | instskip(SKIP_2) | instid1(VALU_DEP_3)
	v_cndmask_b32_e32 v105, 0, v105, vcc_lo
	v_cmp_eq_u32_e32 vcc_lo, 0, v35
	v_add_nc_u32_e32 v35, 0xffffff89, v35
	v_cndmask_b32_e64 v105, v105, 0x77, vcc_lo
	v_cndmask_b32_e32 v95, v106, v95, vcc_lo
	s_delay_alu instid0(VALU_DEP_3) | instskip(NEXT) | instid1(VALU_DEP_3)
	v_cndmask_b32_e64 v35, v35, 0xffffff8a, vcc_lo
	v_lshl_add_u32 v106, 0x100000, v105, -1
	s_delay_alu instid0(VALU_DEP_3) | instskip(SKIP_1) | instid1(VALU_DEP_4)
	v_lshrrev_b32_e32 v107, v105, v95
	v_lshlrev_b32_e64 v109, v105, 0x80000
	v_add_nc_u32_e32 v105, v105, v35
	s_delay_alu instid0(VALU_DEP_4) | instskip(NEXT) | instid1(VALU_DEP_4)
	v_and_b32_e32 v95, v106, v95
	v_bfe_u32 v108, v107, 20, 1
	s_delay_alu instid0(VALU_DEP_2) | instskip(NEXT) | instid1(VALU_DEP_2)
	v_cmp_eq_u32_e64 s13, v95, v109
	v_add_nc_u32_e32 v106, -1, v108
	s_delay_alu instid0(VALU_DEP_1) | instskip(SKIP_2) | instid1(VALU_DEP_2)
	v_cndmask_b32_e64 v95, 0, v106, s13
	v_lshrrev_b32_e32 v106, 23, v107
	s_mov_b32 s13, exec_lo
	v_add_nc_u32_e32 v95, v95, v107
	s_delay_alu instid0(VALU_DEP_2) | instskip(NEXT) | instid1(VALU_DEP_2)
	v_xor_b32_e32 v106, 1, v106
	v_and_b32_e32 v35, 0xfffff, v95
	s_delay_alu instid0(VALU_DEP_1) | instskip(NEXT) | instid1(VALU_DEP_3)
	v_add_nc_u32_e32 v95, v35, v107
                                        ; implicit-def: $vgpr35
	v_cmpx_ne_u32_e64 v105, v106
	s_xor_b32 s13, exec_lo, s13
; %bb.9464:                             ;   in Loop: Header=BB6_9353 Depth=3
	s_delay_alu instid0(VALU_DEP_2) | instskip(SKIP_2) | instid1(VALU_DEP_2)
	v_cmp_lt_u32_e32 vcc_lo, 0xffffff, v95
	v_sub_nc_u32_e32 v35, v105, v106
	v_cndmask_b32_e64 v105, 0, 1, vcc_lo
	v_add_co_ci_u32_e32 v35, vcc_lo, 0, v35, vcc_lo
	s_delay_alu instid0(VALU_DEP_2)
	v_lshrrev_b32_e32 v95, v105, v95
; %bb.9465:                             ;   in Loop: Header=BB6_9353 Depth=3
	s_and_not1_saveexec_b32 s13, s13
; %bb.9466:                             ;   in Loop: Header=BB6_9353 Depth=3
	s_delay_alu instid0(VALU_DEP_1)
	v_bfe_u32 v35, v95, 23, 1
; %bb.9467:                             ;   in Loop: Header=BB6_9353 Depth=3
	s_or_b32 exec_lo, exec_lo, s13
	v_lshrrev_b32_e32 v95, 20, v95
	s_delay_alu instid0(VALU_DEP_2) | instskip(SKIP_2) | instid1(VALU_DEP_2)
	v_cmp_gt_i32_e32 vcc_lo, 16, v35
	v_lshrrev_b32_e32 v104, 24, v104
	v_min_i32_e32 v105, 15, v35
	v_dual_cndmask_b32 v95, 7, v95 :: v_dual_and_b32 v104, 0x80, v104
	s_delay_alu instid0(VALU_DEP_2) | instskip(NEXT) | instid1(VALU_DEP_2)
	v_lshlrev_b32_e32 v105, 3, v105
	v_and_b32_e32 v106, 7, v95
	v_or_b32_e32 v35, v35, v95
	s_delay_alu instid0(VALU_DEP_2) | instskip(NEXT) | instid1(VALU_DEP_2)
	v_or3_b32 v95, v105, v104, v106
	v_cmp_ne_u32_e32 vcc_lo, 0, v35
	s_delay_alu instid0(VALU_DEP_2)
	v_cndmask_b32_e32 v35, 0, v95, vcc_lo
.LBB6_9468:                             ;   in Loop: Header=BB6_9353 Depth=3
	s_or_b32 exec_lo, exec_lo, s34
.LBB6_9469:                             ;   in Loop: Header=BB6_9353 Depth=3
	s_delay_alu instid0(SALU_CYCLE_1) | instskip(NEXT) | instid1(SALU_CYCLE_1)
	s_or_b32 exec_lo, exec_lo, s31
	s_and_not1_b32 vcc_lo, exec_lo, s17
	s_cbranch_vccnz .LBB6_9479
; %bb.9470:                             ;   in Loop: Header=BB6_9353 Depth=3
	v_and_b32_e32 v104, 0xff, v94
	s_mov_b32 s13, 0
	s_mov_b32 s34, exec_lo
                                        ; implicit-def: $sgpr31
	s_delay_alu instid0(VALU_DEP_1)
	v_cmpx_lt_i16_e32 0x7f, v104
	s_xor_b32 s34, exec_lo, s34
	s_cbranch_execnz .LBB6_10343
; %bb.9471:                             ;   in Loop: Header=BB6_9353 Depth=3
	s_or_saveexec_b32 s34, s34
	v_mov_b32_e32 v95, s31
	s_xor_b32 exec_lo, exec_lo, s34
	s_cbranch_execnz .LBB6_10346
.LBB6_9472:                             ;   in Loop: Header=BB6_9353 Depth=3
	s_or_b32 exec_lo, exec_lo, s34
	s_and_saveexec_b32 s31, s13
	s_cbranch_execz .LBB6_9474
.LBB6_9473:                             ;   in Loop: Header=BB6_9353 Depth=3
	v_lshrrev_b16 v106, 3, v94
	v_lshlrev_b32_e32 v107, 24, v94
	s_delay_alu instid0(VALU_DEP_2) | instskip(NEXT) | instid1(VALU_DEP_1)
	v_and_b32_e32 v106, 15, v106
	v_cmp_eq_u32_e32 vcc_lo, 0, v106
	v_and_b32_e32 v95, 7, v94
	s_delay_alu instid0(VALU_DEP_1) | instskip(NEXT) | instid1(VALU_DEP_1)
	v_clz_i32_u32_e32 v104, v95
	v_min_u32_e32 v104, 32, v104
	s_delay_alu instid0(VALU_DEP_1) | instskip(SKIP_1) | instid1(VALU_DEP_1)
	v_subrev_nc_u32_e32 v105, 28, v104
	v_sub_nc_u32_e32 v104, 29, v104
	v_dual_cndmask_b32 v104, v106, v104 :: v_dual_lshlrev_b32 v105, v105, v94
	s_delay_alu instid0(VALU_DEP_1) | instskip(NEXT) | instid1(VALU_DEP_2)
	v_and_b32_e32 v105, 7, v105
	v_lshl_add_u32 v104, v104, 23, 0x3b800000
	s_delay_alu instid0(VALU_DEP_2) | instskip(SKIP_1) | instid1(VALU_DEP_2)
	v_cndmask_b32_e32 v95, v95, v105, vcc_lo
	v_and_b32_e32 v105, 0x80000000, v107
	v_lshlrev_b32_e32 v95, 20, v95
	s_delay_alu instid0(VALU_DEP_1)
	v_or3_b32 v95, v105, v104, v95
.LBB6_9474:                             ;   in Loop: Header=BB6_9353 Depth=3
	s_or_b32 exec_lo, exec_lo, s31
	s_waitcnt vmcnt(27) lgkmcnt(27)
	v_and_b32_e32 v105, 0xff, v38
	s_mov_b32 s13, 0
	s_mov_b32 s34, exec_lo
                                        ; implicit-def: $sgpr31
	s_delay_alu instid0(VALU_DEP_1)
	v_cmpx_lt_i16_e32 0x7f, v105
	s_xor_b32 s34, exec_lo, s34
	s_cbranch_execnz .LBB6_10347
; %bb.9475:                             ;   in Loop: Header=BB6_9353 Depth=3
	s_or_saveexec_b32 s34, s34
	v_mov_b32_e32 v104, s31
	s_xor_b32 exec_lo, exec_lo, s34
	s_cbranch_execnz .LBB6_10350
.LBB6_9476:                             ;   in Loop: Header=BB6_9353 Depth=3
	s_or_b32 exec_lo, exec_lo, s34
	s_and_saveexec_b32 s31, s13
	s_cbranch_execz .LBB6_9478
.LBB6_9477:                             ;   in Loop: Header=BB6_9353 Depth=3
	v_lshrrev_b16 v107, 3, v38
	v_lshlrev_b32_e32 v108, 24, v38
	s_delay_alu instid0(VALU_DEP_2) | instskip(NEXT) | instid1(VALU_DEP_1)
	v_and_b32_e32 v107, 15, v107
	v_cmp_eq_u32_e32 vcc_lo, 0, v107
	v_and_b32_e32 v104, 7, v38
	s_delay_alu instid0(VALU_DEP_1) | instskip(NEXT) | instid1(VALU_DEP_1)
	v_clz_i32_u32_e32 v105, v104
	v_min_u32_e32 v105, 32, v105
	s_delay_alu instid0(VALU_DEP_1) | instskip(SKIP_1) | instid1(VALU_DEP_1)
	v_subrev_nc_u32_e32 v106, 28, v105
	v_sub_nc_u32_e32 v105, 29, v105
	v_dual_cndmask_b32 v105, v107, v105 :: v_dual_lshlrev_b32 v106, v106, v38
	s_delay_alu instid0(VALU_DEP_1) | instskip(NEXT) | instid1(VALU_DEP_2)
	v_and_b32_e32 v106, 7, v106
	v_lshl_add_u32 v105, v105, 23, 0x3b800000
	s_delay_alu instid0(VALU_DEP_2) | instskip(SKIP_1) | instid1(VALU_DEP_2)
	v_cndmask_b32_e32 v104, v104, v106, vcc_lo
	v_and_b32_e32 v106, 0x80000000, v108
	v_lshlrev_b32_e32 v104, 20, v104
	s_delay_alu instid0(VALU_DEP_1)
	v_or3_b32 v104, v106, v105, v104
.LBB6_9478:                             ;   in Loop: Header=BB6_9353 Depth=3
	s_or_b32 exec_lo, exec_lo, s31
	s_delay_alu instid0(VALU_DEP_1) | instskip(SKIP_1) | instid1(VALU_DEP_1)
	v_dual_max_f32 v104, v104, v104 :: v_dual_max_f32 v95, v95, v95
	s_mov_b32 s13, 0
	v_max_f32_e32 v95, v95, v104
	s_branch .LBB6_9480
.LBB6_9479:                             ;   in Loop: Header=BB6_9353 Depth=3
	s_mov_b32 s13, -1
                                        ; implicit-def: $vgpr95
.LBB6_9480:                             ;   in Loop: Header=BB6_9353 Depth=3
	s_delay_alu instid0(SALU_CYCLE_1)
	s_and_b32 vcc_lo, exec_lo, s13
	s_cbranch_vccz .LBB6_9490
; %bb.9481:                             ;   in Loop: Header=BB6_9353 Depth=3
	v_and_b32_e32 v104, 0xff, v94
	s_mov_b32 s13, 0
	s_mov_b32 s34, exec_lo
                                        ; implicit-def: $sgpr31
	s_delay_alu instid0(VALU_DEP_1)
	v_cmpx_lt_i16_e32 0x7f, v104
	s_xor_b32 s34, exec_lo, s34
	s_cbranch_execnz .LBB6_10351
; %bb.9482:                             ;   in Loop: Header=BB6_9353 Depth=3
	s_or_saveexec_b32 s34, s34
	v_mov_b32_e32 v95, s31
	s_xor_b32 exec_lo, exec_lo, s34
	s_cbranch_execnz .LBB6_10354
.LBB6_9483:                             ;   in Loop: Header=BB6_9353 Depth=3
	s_or_b32 exec_lo, exec_lo, s34
	s_and_saveexec_b32 s31, s13
	s_cbranch_execz .LBB6_9485
.LBB6_9484:                             ;   in Loop: Header=BB6_9353 Depth=3
	v_lshrrev_b16 v106, 3, v94
	s_delay_alu instid0(VALU_DEP_1) | instskip(NEXT) | instid1(VALU_DEP_1)
	v_and_b32_e32 v106, 15, v106
	v_cmp_eq_u32_e32 vcc_lo, 0, v106
	v_and_b32_e32 v95, 7, v94
	s_delay_alu instid0(VALU_DEP_1) | instskip(NEXT) | instid1(VALU_DEP_1)
	v_clz_i32_u32_e32 v104, v95
	v_min_u32_e32 v104, 32, v104
	s_delay_alu instid0(VALU_DEP_1) | instskip(SKIP_1) | instid1(VALU_DEP_1)
	v_subrev_nc_u32_e32 v105, 28, v104
	v_sub_nc_u32_e32 v104, 29, v104
	v_dual_cndmask_b32 v104, v106, v104 :: v_dual_lshlrev_b32 v105, v105, v94
	v_lshlrev_b32_e32 v94, 24, v94
	s_delay_alu instid0(VALU_DEP_2) | instskip(NEXT) | instid1(VALU_DEP_3)
	v_and_b32_e32 v105, 7, v105
	v_lshl_add_u32 v104, v104, 23, 0x3b800000
	s_delay_alu instid0(VALU_DEP_2) | instskip(NEXT) | instid1(VALU_DEP_1)
	v_dual_cndmask_b32 v95, v95, v105 :: v_dual_and_b32 v94, 0x80000000, v94
	v_lshlrev_b32_e32 v95, 20, v95
	s_delay_alu instid0(VALU_DEP_1)
	v_or3_b32 v95, v94, v104, v95
.LBB6_9485:                             ;   in Loop: Header=BB6_9353 Depth=3
	s_or_b32 exec_lo, exec_lo, s31
	s_waitcnt vmcnt(27) lgkmcnt(27)
	v_and_b32_e32 v104, 0xff, v38
	s_mov_b32 s13, 0
	s_mov_b32 s34, exec_lo
                                        ; implicit-def: $sgpr31
	s_delay_alu instid0(VALU_DEP_1)
	v_cmpx_lt_i16_e32 0x7f, v104
	s_xor_b32 s34, exec_lo, s34
	s_cbranch_execnz .LBB6_10355
; %bb.9486:                             ;   in Loop: Header=BB6_9353 Depth=3
	s_or_saveexec_b32 s34, s34
	v_mov_b32_e32 v94, s31
	s_xor_b32 exec_lo, exec_lo, s34
	s_cbranch_execnz .LBB6_10358
.LBB6_9487:                             ;   in Loop: Header=BB6_9353 Depth=3
	s_or_b32 exec_lo, exec_lo, s34
	s_and_saveexec_b32 s31, s13
	s_cbranch_execz .LBB6_9489
.LBB6_9488:                             ;   in Loop: Header=BB6_9353 Depth=3
	v_and_b32_e32 v94, 7, v38
	v_lshrrev_b16 v106, 3, v38
	s_delay_alu instid0(VALU_DEP_2) | instskip(NEXT) | instid1(VALU_DEP_2)
	v_clz_i32_u32_e32 v104, v94
	v_and_b32_e32 v106, 15, v106
	s_delay_alu instid0(VALU_DEP_2) | instskip(NEXT) | instid1(VALU_DEP_2)
	v_min_u32_e32 v104, 32, v104
	v_cmp_eq_u32_e32 vcc_lo, 0, v106
	s_delay_alu instid0(VALU_DEP_2) | instskip(SKIP_1) | instid1(VALU_DEP_1)
	v_subrev_nc_u32_e32 v105, 28, v104
	v_sub_nc_u32_e32 v104, 29, v104
	v_dual_cndmask_b32 v104, v106, v104 :: v_dual_lshlrev_b32 v105, v105, v38
	v_lshlrev_b32_e32 v38, 24, v38
	s_delay_alu instid0(VALU_DEP_2) | instskip(NEXT) | instid1(VALU_DEP_3)
	v_and_b32_e32 v105, 7, v105
	v_lshl_add_u32 v104, v104, 23, 0x3b800000
	s_delay_alu instid0(VALU_DEP_3) | instskip(NEXT) | instid1(VALU_DEP_3)
	v_and_b32_e32 v38, 0x80000000, v38
	v_cndmask_b32_e32 v94, v94, v105, vcc_lo
	s_delay_alu instid0(VALU_DEP_1) | instskip(NEXT) | instid1(VALU_DEP_1)
	v_lshlrev_b32_e32 v94, 20, v94
	v_or3_b32 v94, v38, v104, v94
.LBB6_9489:                             ;   in Loop: Header=BB6_9353 Depth=3
	s_or_b32 exec_lo, exec_lo, s31
	s_delay_alu instid0(VALU_DEP_1) | instskip(SKIP_1) | instid1(VALU_DEP_1)
	v_max_f32_e32 v38, v94, v94
	v_max_f32_e32 v94, v95, v95
	v_min_f32_e32 v95, v94, v38
.LBB6_9490:                             ;   in Loop: Header=BB6_9353 Depth=3
	s_waitcnt vmcnt(27) lgkmcnt(27)
	s_delay_alu instid0(VALU_DEP_1) | instskip(NEXT) | instid1(VALU_DEP_1)
	v_and_b32_e32 v38, 0x7f800000, v95
	v_cmp_ne_u32_e32 vcc_lo, 0x7f800000, v38
	v_mov_b32_e32 v38, 0x80
	s_and_saveexec_b32 s31, vcc_lo
	s_cbranch_execz .LBB6_9498
; %bb.9491:                             ;   in Loop: Header=BB6_9353 Depth=3
	v_mov_b32_e32 v38, 0
	s_mov_b32 s34, exec_lo
	v_cmpx_ne_u32_e32 0, v95
	s_cbranch_execz .LBB6_9497
; %bb.9492:                             ;   in Loop: Header=BB6_9353 Depth=3
	v_bfe_u32 v38, v95, 23, 8
	v_and_b32_e32 v94, 0x7fffff, v95
	s_delay_alu instid0(VALU_DEP_2) | instskip(SKIP_1) | instid1(VALU_DEP_3)
	v_sub_nc_u32_e32 v104, 0x78, v38
	v_cmp_gt_u32_e32 vcc_lo, 0x79, v38
	v_or_b32_e32 v105, 0x800000, v94
	s_delay_alu instid0(VALU_DEP_3) | instskip(SKIP_2) | instid1(VALU_DEP_3)
	v_cndmask_b32_e32 v104, 0, v104, vcc_lo
	v_cmp_eq_u32_e32 vcc_lo, 0, v38
	v_add_nc_u32_e32 v38, 0xffffff89, v38
	v_cndmask_b32_e64 v104, v104, 0x77, vcc_lo
	v_cndmask_b32_e32 v94, v105, v94, vcc_lo
	s_delay_alu instid0(VALU_DEP_3) | instskip(NEXT) | instid1(VALU_DEP_3)
	v_cndmask_b32_e64 v38, v38, 0xffffff8a, vcc_lo
	v_lshl_add_u32 v105, 0x100000, v104, -1
	s_delay_alu instid0(VALU_DEP_3) | instskip(SKIP_1) | instid1(VALU_DEP_4)
	v_lshrrev_b32_e32 v106, v104, v94
	v_lshlrev_b32_e64 v108, v104, 0x80000
	v_add_nc_u32_e32 v104, v104, v38
	s_delay_alu instid0(VALU_DEP_4) | instskip(NEXT) | instid1(VALU_DEP_4)
	v_and_b32_e32 v94, v105, v94
	v_bfe_u32 v107, v106, 20, 1
	s_delay_alu instid0(VALU_DEP_2) | instskip(NEXT) | instid1(VALU_DEP_2)
	v_cmp_eq_u32_e64 s13, v94, v108
	v_add_nc_u32_e32 v105, -1, v107
	s_delay_alu instid0(VALU_DEP_1) | instskip(SKIP_2) | instid1(VALU_DEP_2)
	v_cndmask_b32_e64 v94, 0, v105, s13
	v_lshrrev_b32_e32 v105, 23, v106
	s_mov_b32 s13, exec_lo
	v_add_nc_u32_e32 v94, v94, v106
	s_delay_alu instid0(VALU_DEP_2) | instskip(NEXT) | instid1(VALU_DEP_2)
	v_xor_b32_e32 v105, 1, v105
	v_and_b32_e32 v38, 0xfffff, v94
	s_delay_alu instid0(VALU_DEP_1) | instskip(NEXT) | instid1(VALU_DEP_3)
	v_add_nc_u32_e32 v94, v38, v106
                                        ; implicit-def: $vgpr38
	v_cmpx_ne_u32_e64 v104, v105
	s_xor_b32 s13, exec_lo, s13
; %bb.9493:                             ;   in Loop: Header=BB6_9353 Depth=3
	s_delay_alu instid0(VALU_DEP_2) | instskip(SKIP_2) | instid1(VALU_DEP_2)
	v_cmp_lt_u32_e32 vcc_lo, 0xffffff, v94
	v_sub_nc_u32_e32 v38, v104, v105
	v_cndmask_b32_e64 v104, 0, 1, vcc_lo
	v_add_co_ci_u32_e32 v38, vcc_lo, 0, v38, vcc_lo
	s_delay_alu instid0(VALU_DEP_2)
	v_lshrrev_b32_e32 v94, v104, v94
; %bb.9494:                             ;   in Loop: Header=BB6_9353 Depth=3
	s_and_not1_saveexec_b32 s13, s13
; %bb.9495:                             ;   in Loop: Header=BB6_9353 Depth=3
	s_delay_alu instid0(VALU_DEP_1)
	v_bfe_u32 v38, v94, 23, 1
; %bb.9496:                             ;   in Loop: Header=BB6_9353 Depth=3
	s_or_b32 exec_lo, exec_lo, s13
	v_lshrrev_b32_e32 v94, 20, v94
	s_delay_alu instid0(VALU_DEP_2) | instskip(SKIP_2) | instid1(VALU_DEP_2)
	v_cmp_gt_i32_e32 vcc_lo, 16, v38
	v_lshrrev_b32_e32 v95, 24, v95
	v_min_i32_e32 v104, 15, v38
	v_dual_cndmask_b32 v94, 7, v94 :: v_dual_and_b32 v95, 0x80, v95
	s_delay_alu instid0(VALU_DEP_2) | instskip(NEXT) | instid1(VALU_DEP_2)
	v_lshlrev_b32_e32 v104, 3, v104
	v_and_b32_e32 v105, 7, v94
	v_or_b32_e32 v38, v38, v94
	s_delay_alu instid0(VALU_DEP_2) | instskip(NEXT) | instid1(VALU_DEP_2)
	v_or3_b32 v94, v104, v95, v105
	v_cmp_ne_u32_e32 vcc_lo, 0, v38
	s_delay_alu instid0(VALU_DEP_2)
	v_cndmask_b32_e32 v38, 0, v94, vcc_lo
.LBB6_9497:                             ;   in Loop: Header=BB6_9353 Depth=3
	s_or_b32 exec_lo, exec_lo, s34
.LBB6_9498:                             ;   in Loop: Header=BB6_9353 Depth=3
	s_delay_alu instid0(SALU_CYCLE_1) | instskip(NEXT) | instid1(SALU_CYCLE_1)
	s_or_b32 exec_lo, exec_lo, s31
	s_and_not1_b32 vcc_lo, exec_lo, s17
	s_cbranch_vccnz .LBB6_9508
; %bb.9499:                             ;   in Loop: Header=BB6_9353 Depth=3
	v_and_b32_e32 v95, 0xff, v93
	s_mov_b32 s13, 0
	s_mov_b32 s34, exec_lo
                                        ; implicit-def: $sgpr31
	s_delay_alu instid0(VALU_DEP_1)
	v_cmpx_lt_i16_e32 0x7f, v95
	s_xor_b32 s34, exec_lo, s34
	s_cbranch_execnz .LBB6_10359
; %bb.9500:                             ;   in Loop: Header=BB6_9353 Depth=3
	s_or_saveexec_b32 s34, s34
	v_mov_b32_e32 v94, s31
	s_xor_b32 exec_lo, exec_lo, s34
	s_cbranch_execnz .LBB6_10362
.LBB6_9501:                             ;   in Loop: Header=BB6_9353 Depth=3
	s_or_b32 exec_lo, exec_lo, s34
	s_and_saveexec_b32 s31, s13
	s_cbranch_execz .LBB6_9503
.LBB6_9502:                             ;   in Loop: Header=BB6_9353 Depth=3
	v_lshrrev_b16 v105, 3, v93
	v_lshlrev_b32_e32 v106, 24, v93
	s_delay_alu instid0(VALU_DEP_2) | instskip(NEXT) | instid1(VALU_DEP_1)
	v_and_b32_e32 v105, 15, v105
	v_cmp_eq_u32_e32 vcc_lo, 0, v105
	v_and_b32_e32 v94, 7, v93
	s_delay_alu instid0(VALU_DEP_1) | instskip(NEXT) | instid1(VALU_DEP_1)
	v_clz_i32_u32_e32 v95, v94
	v_min_u32_e32 v95, 32, v95
	s_delay_alu instid0(VALU_DEP_1) | instskip(SKIP_1) | instid1(VALU_DEP_1)
	v_subrev_nc_u32_e32 v104, 28, v95
	v_sub_nc_u32_e32 v95, 29, v95
	v_dual_cndmask_b32 v95, v105, v95 :: v_dual_lshlrev_b32 v104, v104, v93
	s_delay_alu instid0(VALU_DEP_1) | instskip(NEXT) | instid1(VALU_DEP_2)
	v_and_b32_e32 v104, 7, v104
	v_lshl_add_u32 v95, v95, 23, 0x3b800000
	s_delay_alu instid0(VALU_DEP_2) | instskip(SKIP_1) | instid1(VALU_DEP_2)
	v_cndmask_b32_e32 v94, v94, v104, vcc_lo
	v_and_b32_e32 v104, 0x80000000, v106
	v_lshlrev_b32_e32 v94, 20, v94
	s_delay_alu instid0(VALU_DEP_1)
	v_or3_b32 v94, v104, v95, v94
.LBB6_9503:                             ;   in Loop: Header=BB6_9353 Depth=3
	s_or_b32 exec_lo, exec_lo, s31
	s_waitcnt vmcnt(26) lgkmcnt(26)
	v_and_b32_e32 v104, 0xff, v49
	s_mov_b32 s13, 0
	s_mov_b32 s34, exec_lo
                                        ; implicit-def: $sgpr31
	s_delay_alu instid0(VALU_DEP_1)
	v_cmpx_lt_i16_e32 0x7f, v104
	s_xor_b32 s34, exec_lo, s34
	s_cbranch_execnz .LBB6_10363
; %bb.9504:                             ;   in Loop: Header=BB6_9353 Depth=3
	s_or_saveexec_b32 s34, s34
	v_mov_b32_e32 v95, s31
	s_xor_b32 exec_lo, exec_lo, s34
	s_cbranch_execnz .LBB6_10366
.LBB6_9505:                             ;   in Loop: Header=BB6_9353 Depth=3
	s_or_b32 exec_lo, exec_lo, s34
	s_and_saveexec_b32 s31, s13
	s_cbranch_execz .LBB6_9507
.LBB6_9506:                             ;   in Loop: Header=BB6_9353 Depth=3
	v_lshrrev_b16 v106, 3, v49
	v_lshlrev_b32_e32 v107, 24, v49
	s_delay_alu instid0(VALU_DEP_2) | instskip(NEXT) | instid1(VALU_DEP_1)
	v_and_b32_e32 v106, 15, v106
	v_cmp_eq_u32_e32 vcc_lo, 0, v106
	v_and_b32_e32 v95, 7, v49
	s_delay_alu instid0(VALU_DEP_1) | instskip(NEXT) | instid1(VALU_DEP_1)
	v_clz_i32_u32_e32 v104, v95
	v_min_u32_e32 v104, 32, v104
	s_delay_alu instid0(VALU_DEP_1) | instskip(SKIP_1) | instid1(VALU_DEP_1)
	v_subrev_nc_u32_e32 v105, 28, v104
	v_sub_nc_u32_e32 v104, 29, v104
	v_dual_cndmask_b32 v104, v106, v104 :: v_dual_lshlrev_b32 v105, v105, v49
	s_delay_alu instid0(VALU_DEP_1) | instskip(NEXT) | instid1(VALU_DEP_2)
	v_and_b32_e32 v105, 7, v105
	v_lshl_add_u32 v104, v104, 23, 0x3b800000
	s_delay_alu instid0(VALU_DEP_2) | instskip(SKIP_1) | instid1(VALU_DEP_2)
	v_cndmask_b32_e32 v95, v95, v105, vcc_lo
	v_and_b32_e32 v105, 0x80000000, v107
	v_lshlrev_b32_e32 v95, 20, v95
	s_delay_alu instid0(VALU_DEP_1)
	v_or3_b32 v95, v105, v104, v95
.LBB6_9507:                             ;   in Loop: Header=BB6_9353 Depth=3
	s_or_b32 exec_lo, exec_lo, s31
	s_delay_alu instid0(VALU_DEP_1) | instskip(SKIP_1) | instid1(VALU_DEP_1)
	v_dual_max_f32 v95, v95, v95 :: v_dual_max_f32 v94, v94, v94
	s_mov_b32 s13, 0
	v_max_f32_e32 v94, v94, v95
	s_branch .LBB6_9509
.LBB6_9508:                             ;   in Loop: Header=BB6_9353 Depth=3
	s_mov_b32 s13, -1
                                        ; implicit-def: $vgpr94
.LBB6_9509:                             ;   in Loop: Header=BB6_9353 Depth=3
	s_delay_alu instid0(SALU_CYCLE_1)
	s_and_b32 vcc_lo, exec_lo, s13
	s_cbranch_vccz .LBB6_9519
; %bb.9510:                             ;   in Loop: Header=BB6_9353 Depth=3
	v_and_b32_e32 v95, 0xff, v93
	s_mov_b32 s13, 0
	s_mov_b32 s34, exec_lo
                                        ; implicit-def: $sgpr31
	s_delay_alu instid0(VALU_DEP_1)
	v_cmpx_lt_i16_e32 0x7f, v95
	s_xor_b32 s34, exec_lo, s34
	s_cbranch_execnz .LBB6_10367
; %bb.9511:                             ;   in Loop: Header=BB6_9353 Depth=3
	s_or_saveexec_b32 s34, s34
	v_mov_b32_e32 v94, s31
	s_xor_b32 exec_lo, exec_lo, s34
	s_cbranch_execnz .LBB6_10370
.LBB6_9512:                             ;   in Loop: Header=BB6_9353 Depth=3
	s_or_b32 exec_lo, exec_lo, s34
	s_and_saveexec_b32 s31, s13
	s_cbranch_execz .LBB6_9514
.LBB6_9513:                             ;   in Loop: Header=BB6_9353 Depth=3
	v_lshrrev_b16 v105, 3, v93
	s_delay_alu instid0(VALU_DEP_1) | instskip(NEXT) | instid1(VALU_DEP_1)
	v_and_b32_e32 v105, 15, v105
	v_cmp_eq_u32_e32 vcc_lo, 0, v105
	v_and_b32_e32 v94, 7, v93
	s_delay_alu instid0(VALU_DEP_1) | instskip(NEXT) | instid1(VALU_DEP_1)
	v_clz_i32_u32_e32 v95, v94
	v_min_u32_e32 v95, 32, v95
	s_delay_alu instid0(VALU_DEP_1) | instskip(SKIP_1) | instid1(VALU_DEP_1)
	v_subrev_nc_u32_e32 v104, 28, v95
	v_sub_nc_u32_e32 v95, 29, v95
	v_dual_cndmask_b32 v95, v105, v95 :: v_dual_lshlrev_b32 v104, v104, v93
	v_lshlrev_b32_e32 v93, 24, v93
	s_delay_alu instid0(VALU_DEP_2) | instskip(NEXT) | instid1(VALU_DEP_3)
	v_and_b32_e32 v104, 7, v104
	v_lshl_add_u32 v95, v95, 23, 0x3b800000
	s_delay_alu instid0(VALU_DEP_2) | instskip(NEXT) | instid1(VALU_DEP_1)
	v_dual_cndmask_b32 v94, v94, v104 :: v_dual_and_b32 v93, 0x80000000, v93
	v_lshlrev_b32_e32 v94, 20, v94
	s_delay_alu instid0(VALU_DEP_1)
	v_or3_b32 v94, v93, v95, v94
.LBB6_9514:                             ;   in Loop: Header=BB6_9353 Depth=3
	s_or_b32 exec_lo, exec_lo, s31
	s_waitcnt vmcnt(26) lgkmcnt(26)
	v_and_b32_e32 v95, 0xff, v49
	s_mov_b32 s13, 0
	s_mov_b32 s34, exec_lo
                                        ; implicit-def: $sgpr31
	s_delay_alu instid0(VALU_DEP_1)
	v_cmpx_lt_i16_e32 0x7f, v95
	s_xor_b32 s34, exec_lo, s34
	s_cbranch_execnz .LBB6_10371
; %bb.9515:                             ;   in Loop: Header=BB6_9353 Depth=3
	s_or_saveexec_b32 s34, s34
	v_mov_b32_e32 v93, s31
	s_xor_b32 exec_lo, exec_lo, s34
	s_cbranch_execnz .LBB6_10374
.LBB6_9516:                             ;   in Loop: Header=BB6_9353 Depth=3
	s_or_b32 exec_lo, exec_lo, s34
	s_and_saveexec_b32 s31, s13
	s_cbranch_execz .LBB6_9518
.LBB6_9517:                             ;   in Loop: Header=BB6_9353 Depth=3
	v_and_b32_e32 v93, 7, v49
	v_lshrrev_b16 v105, 3, v49
	s_delay_alu instid0(VALU_DEP_2) | instskip(NEXT) | instid1(VALU_DEP_2)
	v_clz_i32_u32_e32 v95, v93
	v_and_b32_e32 v105, 15, v105
	s_delay_alu instid0(VALU_DEP_2) | instskip(NEXT) | instid1(VALU_DEP_2)
	v_min_u32_e32 v95, 32, v95
	v_cmp_eq_u32_e32 vcc_lo, 0, v105
	s_delay_alu instid0(VALU_DEP_2) | instskip(SKIP_1) | instid1(VALU_DEP_1)
	v_subrev_nc_u32_e32 v104, 28, v95
	v_sub_nc_u32_e32 v95, 29, v95
	v_dual_cndmask_b32 v95, v105, v95 :: v_dual_lshlrev_b32 v104, v104, v49
	v_lshlrev_b32_e32 v49, 24, v49
	s_delay_alu instid0(VALU_DEP_2) | instskip(NEXT) | instid1(VALU_DEP_3)
	v_and_b32_e32 v104, 7, v104
	v_lshl_add_u32 v95, v95, 23, 0x3b800000
	s_delay_alu instid0(VALU_DEP_3) | instskip(NEXT) | instid1(VALU_DEP_3)
	v_and_b32_e32 v49, 0x80000000, v49
	v_cndmask_b32_e32 v93, v93, v104, vcc_lo
	s_delay_alu instid0(VALU_DEP_1) | instskip(NEXT) | instid1(VALU_DEP_1)
	v_lshlrev_b32_e32 v93, 20, v93
	v_or3_b32 v93, v49, v95, v93
.LBB6_9518:                             ;   in Loop: Header=BB6_9353 Depth=3
	s_or_b32 exec_lo, exec_lo, s31
	s_delay_alu instid0(VALU_DEP_1) | instskip(SKIP_1) | instid1(VALU_DEP_1)
	v_max_f32_e32 v49, v93, v93
	v_max_f32_e32 v93, v94, v94
	v_min_f32_e32 v94, v93, v49
.LBB6_9519:                             ;   in Loop: Header=BB6_9353 Depth=3
	s_waitcnt vmcnt(26) lgkmcnt(26)
	s_delay_alu instid0(VALU_DEP_1) | instskip(NEXT) | instid1(VALU_DEP_1)
	v_and_b32_e32 v49, 0x7f800000, v94
	v_cmp_ne_u32_e32 vcc_lo, 0x7f800000, v49
	v_mov_b32_e32 v49, 0x80
	s_and_saveexec_b32 s31, vcc_lo
	s_cbranch_execz .LBB6_9527
; %bb.9520:                             ;   in Loop: Header=BB6_9353 Depth=3
	v_mov_b32_e32 v49, 0
	s_mov_b32 s34, exec_lo
	v_cmpx_ne_u32_e32 0, v94
	s_cbranch_execz .LBB6_9526
; %bb.9521:                             ;   in Loop: Header=BB6_9353 Depth=3
	v_bfe_u32 v49, v94, 23, 8
	v_and_b32_e32 v93, 0x7fffff, v94
	s_delay_alu instid0(VALU_DEP_2) | instskip(SKIP_1) | instid1(VALU_DEP_3)
	v_sub_nc_u32_e32 v95, 0x78, v49
	v_cmp_gt_u32_e32 vcc_lo, 0x79, v49
	v_or_b32_e32 v104, 0x800000, v93
	s_delay_alu instid0(VALU_DEP_3) | instskip(SKIP_2) | instid1(VALU_DEP_3)
	v_cndmask_b32_e32 v95, 0, v95, vcc_lo
	v_cmp_eq_u32_e32 vcc_lo, 0, v49
	v_add_nc_u32_e32 v49, 0xffffff89, v49
	v_cndmask_b32_e64 v95, v95, 0x77, vcc_lo
	v_cndmask_b32_e32 v93, v104, v93, vcc_lo
	s_delay_alu instid0(VALU_DEP_3) | instskip(NEXT) | instid1(VALU_DEP_3)
	v_cndmask_b32_e64 v49, v49, 0xffffff8a, vcc_lo
	v_lshl_add_u32 v104, 0x100000, v95, -1
	s_delay_alu instid0(VALU_DEP_3) | instskip(SKIP_1) | instid1(VALU_DEP_4)
	v_lshrrev_b32_e32 v105, v95, v93
	v_lshlrev_b32_e64 v107, v95, 0x80000
	v_add_nc_u32_e32 v95, v95, v49
	s_delay_alu instid0(VALU_DEP_4) | instskip(NEXT) | instid1(VALU_DEP_4)
	v_and_b32_e32 v93, v104, v93
	v_bfe_u32 v106, v105, 20, 1
	s_delay_alu instid0(VALU_DEP_2) | instskip(NEXT) | instid1(VALU_DEP_2)
	v_cmp_eq_u32_e64 s13, v93, v107
	v_add_nc_u32_e32 v104, -1, v106
	s_delay_alu instid0(VALU_DEP_1) | instskip(SKIP_2) | instid1(VALU_DEP_2)
	v_cndmask_b32_e64 v93, 0, v104, s13
	v_lshrrev_b32_e32 v104, 23, v105
	s_mov_b32 s13, exec_lo
	v_add_nc_u32_e32 v93, v93, v105
	s_delay_alu instid0(VALU_DEP_2) | instskip(NEXT) | instid1(VALU_DEP_2)
	v_xor_b32_e32 v104, 1, v104
	v_and_b32_e32 v49, 0xfffff, v93
	s_delay_alu instid0(VALU_DEP_1) | instskip(NEXT) | instid1(VALU_DEP_3)
	v_add_nc_u32_e32 v93, v49, v105
                                        ; implicit-def: $vgpr49
	v_cmpx_ne_u32_e64 v95, v104
	s_xor_b32 s13, exec_lo, s13
; %bb.9522:                             ;   in Loop: Header=BB6_9353 Depth=3
	s_delay_alu instid0(VALU_DEP_2) | instskip(SKIP_2) | instid1(VALU_DEP_2)
	v_cmp_lt_u32_e32 vcc_lo, 0xffffff, v93
	v_sub_nc_u32_e32 v49, v95, v104
	v_cndmask_b32_e64 v95, 0, 1, vcc_lo
	v_add_co_ci_u32_e32 v49, vcc_lo, 0, v49, vcc_lo
	s_delay_alu instid0(VALU_DEP_2)
	v_lshrrev_b32_e32 v93, v95, v93
; %bb.9523:                             ;   in Loop: Header=BB6_9353 Depth=3
	s_and_not1_saveexec_b32 s13, s13
; %bb.9524:                             ;   in Loop: Header=BB6_9353 Depth=3
	s_delay_alu instid0(VALU_DEP_1)
	v_bfe_u32 v49, v93, 23, 1
; %bb.9525:                             ;   in Loop: Header=BB6_9353 Depth=3
	s_or_b32 exec_lo, exec_lo, s13
	v_lshrrev_b32_e32 v93, 20, v93
	s_delay_alu instid0(VALU_DEP_2) | instskip(SKIP_2) | instid1(VALU_DEP_2)
	v_cmp_gt_i32_e32 vcc_lo, 16, v49
	v_lshrrev_b32_e32 v94, 24, v94
	v_min_i32_e32 v95, 15, v49
	v_dual_cndmask_b32 v93, 7, v93 :: v_dual_and_b32 v94, 0x80, v94
	s_delay_alu instid0(VALU_DEP_2) | instskip(NEXT) | instid1(VALU_DEP_2)
	v_lshlrev_b32_e32 v95, 3, v95
	v_and_b32_e32 v104, 7, v93
	v_or_b32_e32 v49, v49, v93
	s_delay_alu instid0(VALU_DEP_2) | instskip(NEXT) | instid1(VALU_DEP_2)
	v_or3_b32 v93, v95, v94, v104
	v_cmp_ne_u32_e32 vcc_lo, 0, v49
	s_delay_alu instid0(VALU_DEP_2)
	v_cndmask_b32_e32 v49, 0, v93, vcc_lo
.LBB6_9526:                             ;   in Loop: Header=BB6_9353 Depth=3
	s_or_b32 exec_lo, exec_lo, s34
.LBB6_9527:                             ;   in Loop: Header=BB6_9353 Depth=3
	s_delay_alu instid0(SALU_CYCLE_1) | instskip(NEXT) | instid1(SALU_CYCLE_1)
	s_or_b32 exec_lo, exec_lo, s31
	s_and_not1_b32 vcc_lo, exec_lo, s17
	s_cbranch_vccnz .LBB6_9537
; %bb.9528:                             ;   in Loop: Header=BB6_9353 Depth=3
	v_and_b32_e32 v94, 0xff, v92
	s_mov_b32 s13, 0
	s_mov_b32 s34, exec_lo
                                        ; implicit-def: $sgpr31
	s_delay_alu instid0(VALU_DEP_1)
	v_cmpx_lt_i16_e32 0x7f, v94
	s_xor_b32 s34, exec_lo, s34
	s_cbranch_execnz .LBB6_10375
; %bb.9529:                             ;   in Loop: Header=BB6_9353 Depth=3
	s_or_saveexec_b32 s34, s34
	v_mov_b32_e32 v93, s31
	s_xor_b32 exec_lo, exec_lo, s34
	s_cbranch_execnz .LBB6_10378
.LBB6_9530:                             ;   in Loop: Header=BB6_9353 Depth=3
	s_or_b32 exec_lo, exec_lo, s34
	s_and_saveexec_b32 s31, s13
	s_cbranch_execz .LBB6_9532
.LBB6_9531:                             ;   in Loop: Header=BB6_9353 Depth=3
	v_lshrrev_b16 v104, 3, v92
	v_lshlrev_b32_e32 v105, 24, v92
	s_delay_alu instid0(VALU_DEP_2) | instskip(NEXT) | instid1(VALU_DEP_1)
	v_and_b32_e32 v104, 15, v104
	v_cmp_eq_u32_e32 vcc_lo, 0, v104
	v_and_b32_e32 v93, 7, v92
	s_delay_alu instid0(VALU_DEP_1) | instskip(NEXT) | instid1(VALU_DEP_1)
	v_clz_i32_u32_e32 v94, v93
	v_min_u32_e32 v94, 32, v94
	s_delay_alu instid0(VALU_DEP_1) | instskip(SKIP_1) | instid1(VALU_DEP_1)
	v_subrev_nc_u32_e32 v95, 28, v94
	v_sub_nc_u32_e32 v94, 29, v94
	v_dual_cndmask_b32 v94, v104, v94 :: v_dual_lshlrev_b32 v95, v95, v92
	s_delay_alu instid0(VALU_DEP_1) | instskip(NEXT) | instid1(VALU_DEP_2)
	v_and_b32_e32 v95, 7, v95
	v_lshl_add_u32 v94, v94, 23, 0x3b800000
	s_delay_alu instid0(VALU_DEP_2) | instskip(SKIP_1) | instid1(VALU_DEP_2)
	v_cndmask_b32_e32 v93, v93, v95, vcc_lo
	v_and_b32_e32 v95, 0x80000000, v105
	v_lshlrev_b32_e32 v93, 20, v93
	s_delay_alu instid0(VALU_DEP_1)
	v_or3_b32 v93, v95, v94, v93
.LBB6_9532:                             ;   in Loop: Header=BB6_9353 Depth=3
	s_or_b32 exec_lo, exec_lo, s31
	s_waitcnt vmcnt(25) lgkmcnt(25)
	v_and_b32_e32 v95, 0xff, v101
	s_mov_b32 s13, 0
	s_mov_b32 s34, exec_lo
                                        ; implicit-def: $sgpr31
	s_delay_alu instid0(VALU_DEP_1)
	v_cmpx_lt_i16_e32 0x7f, v95
	s_xor_b32 s34, exec_lo, s34
	s_cbranch_execnz .LBB6_10379
; %bb.9533:                             ;   in Loop: Header=BB6_9353 Depth=3
	s_or_saveexec_b32 s34, s34
	v_mov_b32_e32 v94, s31
	s_xor_b32 exec_lo, exec_lo, s34
	s_cbranch_execnz .LBB6_10382
.LBB6_9534:                             ;   in Loop: Header=BB6_9353 Depth=3
	s_or_b32 exec_lo, exec_lo, s34
	s_and_saveexec_b32 s31, s13
	s_cbranch_execz .LBB6_9536
.LBB6_9535:                             ;   in Loop: Header=BB6_9353 Depth=3
	v_lshrrev_b16 v105, 3, v101
	v_lshlrev_b32_e32 v106, 24, v101
	s_delay_alu instid0(VALU_DEP_2) | instskip(NEXT) | instid1(VALU_DEP_1)
	v_and_b32_e32 v105, 15, v105
	v_cmp_eq_u32_e32 vcc_lo, 0, v105
	v_and_b32_e32 v94, 7, v101
	s_delay_alu instid0(VALU_DEP_1) | instskip(NEXT) | instid1(VALU_DEP_1)
	v_clz_i32_u32_e32 v95, v94
	v_min_u32_e32 v95, 32, v95
	s_delay_alu instid0(VALU_DEP_1) | instskip(SKIP_1) | instid1(VALU_DEP_1)
	v_subrev_nc_u32_e32 v104, 28, v95
	v_sub_nc_u32_e32 v95, 29, v95
	v_dual_cndmask_b32 v95, v105, v95 :: v_dual_lshlrev_b32 v104, v104, v101
	s_delay_alu instid0(VALU_DEP_1) | instskip(NEXT) | instid1(VALU_DEP_2)
	v_and_b32_e32 v104, 7, v104
	v_lshl_add_u32 v95, v95, 23, 0x3b800000
	s_delay_alu instid0(VALU_DEP_2) | instskip(SKIP_1) | instid1(VALU_DEP_2)
	v_cndmask_b32_e32 v94, v94, v104, vcc_lo
	v_and_b32_e32 v104, 0x80000000, v106
	v_lshlrev_b32_e32 v94, 20, v94
	s_delay_alu instid0(VALU_DEP_1)
	v_or3_b32 v94, v104, v95, v94
.LBB6_9536:                             ;   in Loop: Header=BB6_9353 Depth=3
	s_or_b32 exec_lo, exec_lo, s31
	s_delay_alu instid0(VALU_DEP_1) | instskip(SKIP_1) | instid1(VALU_DEP_1)
	v_dual_max_f32 v94, v94, v94 :: v_dual_max_f32 v93, v93, v93
	s_mov_b32 s13, 0
	v_max_f32_e32 v93, v93, v94
	s_branch .LBB6_9538
.LBB6_9537:                             ;   in Loop: Header=BB6_9353 Depth=3
	s_mov_b32 s13, -1
                                        ; implicit-def: $vgpr93
.LBB6_9538:                             ;   in Loop: Header=BB6_9353 Depth=3
	s_delay_alu instid0(SALU_CYCLE_1)
	s_and_b32 vcc_lo, exec_lo, s13
	s_cbranch_vccz .LBB6_9548
; %bb.9539:                             ;   in Loop: Header=BB6_9353 Depth=3
	v_and_b32_e32 v94, 0xff, v92
	s_mov_b32 s13, 0
	s_mov_b32 s34, exec_lo
                                        ; implicit-def: $sgpr31
	s_delay_alu instid0(VALU_DEP_1)
	v_cmpx_lt_i16_e32 0x7f, v94
	s_xor_b32 s34, exec_lo, s34
	s_cbranch_execnz .LBB6_10383
; %bb.9540:                             ;   in Loop: Header=BB6_9353 Depth=3
	s_or_saveexec_b32 s34, s34
	v_mov_b32_e32 v93, s31
	s_xor_b32 exec_lo, exec_lo, s34
	s_cbranch_execnz .LBB6_10386
.LBB6_9541:                             ;   in Loop: Header=BB6_9353 Depth=3
	s_or_b32 exec_lo, exec_lo, s34
	s_and_saveexec_b32 s31, s13
	s_cbranch_execz .LBB6_9543
.LBB6_9542:                             ;   in Loop: Header=BB6_9353 Depth=3
	v_lshrrev_b16 v104, 3, v92
	s_delay_alu instid0(VALU_DEP_1) | instskip(NEXT) | instid1(VALU_DEP_1)
	v_and_b32_e32 v104, 15, v104
	v_cmp_eq_u32_e32 vcc_lo, 0, v104
	v_and_b32_e32 v93, 7, v92
	s_delay_alu instid0(VALU_DEP_1) | instskip(NEXT) | instid1(VALU_DEP_1)
	v_clz_i32_u32_e32 v94, v93
	v_min_u32_e32 v94, 32, v94
	s_delay_alu instid0(VALU_DEP_1) | instskip(SKIP_1) | instid1(VALU_DEP_1)
	v_subrev_nc_u32_e32 v95, 28, v94
	v_sub_nc_u32_e32 v94, 29, v94
	v_dual_cndmask_b32 v94, v104, v94 :: v_dual_lshlrev_b32 v95, v95, v92
	v_lshlrev_b32_e32 v92, 24, v92
	s_delay_alu instid0(VALU_DEP_2) | instskip(NEXT) | instid1(VALU_DEP_3)
	v_and_b32_e32 v95, 7, v95
	v_lshl_add_u32 v94, v94, 23, 0x3b800000
	s_delay_alu instid0(VALU_DEP_2) | instskip(NEXT) | instid1(VALU_DEP_1)
	v_dual_cndmask_b32 v93, v93, v95 :: v_dual_and_b32 v92, 0x80000000, v92
	v_lshlrev_b32_e32 v93, 20, v93
	s_delay_alu instid0(VALU_DEP_1)
	v_or3_b32 v93, v92, v94, v93
.LBB6_9543:                             ;   in Loop: Header=BB6_9353 Depth=3
	s_or_b32 exec_lo, exec_lo, s31
	s_waitcnt vmcnt(25) lgkmcnt(25)
	v_and_b32_e32 v94, 0xff, v101
	s_mov_b32 s13, 0
	s_mov_b32 s34, exec_lo
                                        ; implicit-def: $sgpr31
	s_delay_alu instid0(VALU_DEP_1)
	v_cmpx_lt_i16_e32 0x7f, v94
	s_xor_b32 s34, exec_lo, s34
	s_cbranch_execnz .LBB6_10387
; %bb.9544:                             ;   in Loop: Header=BB6_9353 Depth=3
	s_or_saveexec_b32 s34, s34
	v_mov_b32_e32 v92, s31
	s_xor_b32 exec_lo, exec_lo, s34
	s_cbranch_execnz .LBB6_10390
.LBB6_9545:                             ;   in Loop: Header=BB6_9353 Depth=3
	s_or_b32 exec_lo, exec_lo, s34
	s_and_saveexec_b32 s31, s13
	s_cbranch_execz .LBB6_9547
.LBB6_9546:                             ;   in Loop: Header=BB6_9353 Depth=3
	v_and_b32_e32 v92, 7, v101
	v_lshrrev_b16 v104, 3, v101
	s_delay_alu instid0(VALU_DEP_2) | instskip(NEXT) | instid1(VALU_DEP_2)
	v_clz_i32_u32_e32 v94, v92
	v_and_b32_e32 v104, 15, v104
	s_delay_alu instid0(VALU_DEP_2) | instskip(NEXT) | instid1(VALU_DEP_2)
	v_min_u32_e32 v94, 32, v94
	v_cmp_eq_u32_e32 vcc_lo, 0, v104
	s_delay_alu instid0(VALU_DEP_2) | instskip(SKIP_1) | instid1(VALU_DEP_1)
	v_subrev_nc_u32_e32 v95, 28, v94
	v_sub_nc_u32_e32 v94, 29, v94
	v_dual_cndmask_b32 v94, v104, v94 :: v_dual_lshlrev_b32 v95, v95, v101
	s_delay_alu instid0(VALU_DEP_1) | instskip(SKIP_1) | instid1(VALU_DEP_3)
	v_and_b32_e32 v95, 7, v95
	v_lshlrev_b32_e32 v101, 24, v101
	v_lshl_add_u32 v94, v94, 23, 0x3b800000
	s_delay_alu instid0(VALU_DEP_2) | instskip(NEXT) | instid1(VALU_DEP_1)
	v_dual_cndmask_b32 v92, v92, v95 :: v_dual_and_b32 v101, 0x80000000, v101
	v_lshlrev_b32_e32 v92, 20, v92
	s_delay_alu instid0(VALU_DEP_1)
	v_or3_b32 v92, v101, v94, v92
.LBB6_9547:                             ;   in Loop: Header=BB6_9353 Depth=3
	s_or_b32 exec_lo, exec_lo, s31
	s_delay_alu instid0(VALU_DEP_1) | instskip(NEXT) | instid1(VALU_DEP_1)
	v_dual_max_f32 v101, v92, v92 :: v_dual_max_f32 v92, v93, v93
	v_min_f32_e32 v93, v92, v101
.LBB6_9548:                             ;   in Loop: Header=BB6_9353 Depth=3
	s_waitcnt vmcnt(25) lgkmcnt(25)
	s_delay_alu instid0(VALU_DEP_1) | instskip(NEXT) | instid1(VALU_DEP_1)
	v_and_b32_e32 v101, 0x7f800000, v93
	v_cmp_ne_u32_e32 vcc_lo, 0x7f800000, v101
	v_mov_b32_e32 v101, 0x80
	s_and_saveexec_b32 s31, vcc_lo
	s_cbranch_execz .LBB6_9556
; %bb.9549:                             ;   in Loop: Header=BB6_9353 Depth=3
	v_mov_b32_e32 v101, 0
	s_mov_b32 s34, exec_lo
	v_cmpx_ne_u32_e32 0, v93
	s_cbranch_execz .LBB6_9555
; %bb.9550:                             ;   in Loop: Header=BB6_9353 Depth=3
	v_bfe_u32 v101, v93, 23, 8
	v_and_b32_e32 v92, 0x7fffff, v93
	s_delay_alu instid0(VALU_DEP_2) | instskip(SKIP_1) | instid1(VALU_DEP_3)
	v_sub_nc_u32_e32 v94, 0x78, v101
	v_cmp_gt_u32_e32 vcc_lo, 0x79, v101
	v_or_b32_e32 v95, 0x800000, v92
	s_delay_alu instid0(VALU_DEP_3) | instskip(SKIP_2) | instid1(VALU_DEP_3)
	v_cndmask_b32_e32 v94, 0, v94, vcc_lo
	v_cmp_eq_u32_e32 vcc_lo, 0, v101
	v_add_nc_u32_e32 v101, 0xffffff89, v101
	v_cndmask_b32_e64 v94, v94, 0x77, vcc_lo
	v_cndmask_b32_e32 v92, v95, v92, vcc_lo
	s_delay_alu instid0(VALU_DEP_3) | instskip(NEXT) | instid1(VALU_DEP_3)
	v_cndmask_b32_e64 v101, v101, 0xffffff8a, vcc_lo
	v_lshl_add_u32 v95, 0x100000, v94, -1
	s_delay_alu instid0(VALU_DEP_3) | instskip(SKIP_1) | instid1(VALU_DEP_4)
	v_lshrrev_b32_e32 v104, v94, v92
	v_lshlrev_b32_e64 v106, v94, 0x80000
	v_add_nc_u32_e32 v94, v94, v101
	s_delay_alu instid0(VALU_DEP_4) | instskip(NEXT) | instid1(VALU_DEP_4)
	v_and_b32_e32 v92, v95, v92
	v_bfe_u32 v105, v104, 20, 1
	s_delay_alu instid0(VALU_DEP_2) | instskip(NEXT) | instid1(VALU_DEP_2)
	v_cmp_eq_u32_e64 s13, v92, v106
	v_add_nc_u32_e32 v95, -1, v105
	s_delay_alu instid0(VALU_DEP_1) | instskip(SKIP_2) | instid1(VALU_DEP_2)
	v_cndmask_b32_e64 v92, 0, v95, s13
	v_lshrrev_b32_e32 v95, 23, v104
	s_mov_b32 s13, exec_lo
	v_add_nc_u32_e32 v92, v92, v104
	s_delay_alu instid0(VALU_DEP_2) | instskip(NEXT) | instid1(VALU_DEP_2)
	v_xor_b32_e32 v95, 1, v95
	v_and_b32_e32 v101, 0xfffff, v92
	s_delay_alu instid0(VALU_DEP_1) | instskip(NEXT) | instid1(VALU_DEP_3)
	v_add_nc_u32_e32 v92, v101, v104
                                        ; implicit-def: $vgpr101
	v_cmpx_ne_u32_e64 v94, v95
	s_xor_b32 s13, exec_lo, s13
; %bb.9551:                             ;   in Loop: Header=BB6_9353 Depth=3
	s_delay_alu instid0(VALU_DEP_2) | instskip(SKIP_2) | instid1(VALU_DEP_2)
	v_cmp_lt_u32_e32 vcc_lo, 0xffffff, v92
	v_sub_nc_u32_e32 v101, v94, v95
	v_cndmask_b32_e64 v94, 0, 1, vcc_lo
	v_add_co_ci_u32_e32 v101, vcc_lo, 0, v101, vcc_lo
	s_delay_alu instid0(VALU_DEP_2)
	v_lshrrev_b32_e32 v92, v94, v92
; %bb.9552:                             ;   in Loop: Header=BB6_9353 Depth=3
	s_and_not1_saveexec_b32 s13, s13
; %bb.9553:                             ;   in Loop: Header=BB6_9353 Depth=3
	s_delay_alu instid0(VALU_DEP_1)
	v_bfe_u32 v101, v92, 23, 1
; %bb.9554:                             ;   in Loop: Header=BB6_9353 Depth=3
	s_or_b32 exec_lo, exec_lo, s13
	v_lshrrev_b32_e32 v92, 20, v92
	s_delay_alu instid0(VALU_DEP_2) | instskip(SKIP_2) | instid1(VALU_DEP_2)
	v_cmp_gt_i32_e32 vcc_lo, 16, v101
	v_lshrrev_b32_e32 v93, 24, v93
	v_min_i32_e32 v94, 15, v101
	v_dual_cndmask_b32 v92, 7, v92 :: v_dual_and_b32 v93, 0x80, v93
	s_delay_alu instid0(VALU_DEP_1) | instskip(SKIP_1) | instid1(VALU_DEP_2)
	v_or_b32_e32 v101, v101, v92
	v_and_b32_e32 v95, 7, v92
	v_cmp_ne_u32_e32 vcc_lo, 0, v101
	v_lshlrev_b32_e32 v94, 3, v94
	s_delay_alu instid0(VALU_DEP_1) | instskip(NEXT) | instid1(VALU_DEP_1)
	v_or3_b32 v92, v94, v93, v95
	v_cndmask_b32_e32 v101, 0, v92, vcc_lo
.LBB6_9555:                             ;   in Loop: Header=BB6_9353 Depth=3
	s_or_b32 exec_lo, exec_lo, s34
.LBB6_9556:                             ;   in Loop: Header=BB6_9353 Depth=3
	s_delay_alu instid0(SALU_CYCLE_1) | instskip(NEXT) | instid1(SALU_CYCLE_1)
	s_or_b32 exec_lo, exec_lo, s31
	s_and_not1_b32 vcc_lo, exec_lo, s17
	s_cbranch_vccnz .LBB6_9566
; %bb.9557:                             ;   in Loop: Header=BB6_9353 Depth=3
	v_and_b32_e32 v93, 0xff, v91
	s_mov_b32 s13, 0
	s_mov_b32 s34, exec_lo
                                        ; implicit-def: $sgpr31
	s_delay_alu instid0(VALU_DEP_1)
	v_cmpx_lt_i16_e32 0x7f, v93
	s_xor_b32 s34, exec_lo, s34
	s_cbranch_execnz .LBB6_10391
; %bb.9558:                             ;   in Loop: Header=BB6_9353 Depth=3
	s_or_saveexec_b32 s34, s34
	v_mov_b32_e32 v92, s31
	s_xor_b32 exec_lo, exec_lo, s34
	s_cbranch_execnz .LBB6_10394
.LBB6_9559:                             ;   in Loop: Header=BB6_9353 Depth=3
	s_or_b32 exec_lo, exec_lo, s34
	s_and_saveexec_b32 s31, s13
	s_cbranch_execz .LBB6_9561
.LBB6_9560:                             ;   in Loop: Header=BB6_9353 Depth=3
	v_lshrrev_b16 v95, 3, v91
	v_lshlrev_b32_e32 v104, 24, v91
	s_delay_alu instid0(VALU_DEP_2) | instskip(NEXT) | instid1(VALU_DEP_1)
	v_and_b32_e32 v95, 15, v95
	v_cmp_eq_u32_e32 vcc_lo, 0, v95
	v_and_b32_e32 v92, 7, v91
	s_delay_alu instid0(VALU_DEP_1) | instskip(NEXT) | instid1(VALU_DEP_1)
	v_clz_i32_u32_e32 v93, v92
	v_min_u32_e32 v93, 32, v93
	s_delay_alu instid0(VALU_DEP_1) | instskip(SKIP_1) | instid1(VALU_DEP_1)
	v_subrev_nc_u32_e32 v94, 28, v93
	v_sub_nc_u32_e32 v93, 29, v93
	v_dual_cndmask_b32 v93, v95, v93 :: v_dual_lshlrev_b32 v94, v94, v91
	s_delay_alu instid0(VALU_DEP_1) | instskip(NEXT) | instid1(VALU_DEP_2)
	v_and_b32_e32 v94, 7, v94
	v_lshl_add_u32 v93, v93, 23, 0x3b800000
	s_delay_alu instid0(VALU_DEP_2) | instskip(SKIP_1) | instid1(VALU_DEP_2)
	v_cndmask_b32_e32 v92, v92, v94, vcc_lo
	v_and_b32_e32 v94, 0x80000000, v104
	v_lshlrev_b32_e32 v92, 20, v92
	s_delay_alu instid0(VALU_DEP_1)
	v_or3_b32 v92, v94, v93, v92
.LBB6_9561:                             ;   in Loop: Header=BB6_9353 Depth=3
	s_or_b32 exec_lo, exec_lo, s31
	s_waitcnt vmcnt(24) lgkmcnt(24)
	v_and_b32_e32 v94, 0xff, v113
	s_mov_b32 s13, 0
	s_mov_b32 s34, exec_lo
                                        ; implicit-def: $sgpr31
	s_delay_alu instid0(VALU_DEP_1)
	v_cmpx_lt_i16_e32 0x7f, v94
	s_xor_b32 s34, exec_lo, s34
	s_cbranch_execnz .LBB6_10395
; %bb.9562:                             ;   in Loop: Header=BB6_9353 Depth=3
	s_or_saveexec_b32 s34, s34
	v_mov_b32_e32 v93, s31
	s_xor_b32 exec_lo, exec_lo, s34
	s_cbranch_execnz .LBB6_10398
.LBB6_9563:                             ;   in Loop: Header=BB6_9353 Depth=3
	s_or_b32 exec_lo, exec_lo, s34
	s_and_saveexec_b32 s31, s13
	s_cbranch_execz .LBB6_9565
.LBB6_9564:                             ;   in Loop: Header=BB6_9353 Depth=3
	v_lshrrev_b16 v104, 3, v113
	v_lshlrev_b32_e32 v105, 24, v113
	s_delay_alu instid0(VALU_DEP_2) | instskip(NEXT) | instid1(VALU_DEP_1)
	v_and_b32_e32 v104, 15, v104
	v_cmp_eq_u32_e32 vcc_lo, 0, v104
	v_and_b32_e32 v93, 7, v113
	s_delay_alu instid0(VALU_DEP_1) | instskip(NEXT) | instid1(VALU_DEP_1)
	v_clz_i32_u32_e32 v94, v93
	v_min_u32_e32 v94, 32, v94
	s_delay_alu instid0(VALU_DEP_1) | instskip(SKIP_1) | instid1(VALU_DEP_1)
	v_subrev_nc_u32_e32 v95, 28, v94
	v_sub_nc_u32_e32 v94, 29, v94
	v_dual_cndmask_b32 v94, v104, v94 :: v_dual_lshlrev_b32 v95, v95, v113
	s_delay_alu instid0(VALU_DEP_1) | instskip(NEXT) | instid1(VALU_DEP_2)
	v_and_b32_e32 v95, 7, v95
	v_lshl_add_u32 v94, v94, 23, 0x3b800000
	s_delay_alu instid0(VALU_DEP_2) | instskip(SKIP_1) | instid1(VALU_DEP_2)
	v_cndmask_b32_e32 v93, v93, v95, vcc_lo
	v_and_b32_e32 v95, 0x80000000, v105
	v_lshlrev_b32_e32 v93, 20, v93
	s_delay_alu instid0(VALU_DEP_1)
	v_or3_b32 v93, v95, v94, v93
.LBB6_9565:                             ;   in Loop: Header=BB6_9353 Depth=3
	s_or_b32 exec_lo, exec_lo, s31
	s_delay_alu instid0(VALU_DEP_1) | instskip(SKIP_1) | instid1(VALU_DEP_1)
	v_dual_max_f32 v93, v93, v93 :: v_dual_max_f32 v92, v92, v92
	s_mov_b32 s13, 0
	v_max_f32_e32 v92, v92, v93
	s_branch .LBB6_9567
.LBB6_9566:                             ;   in Loop: Header=BB6_9353 Depth=3
	s_mov_b32 s13, -1
                                        ; implicit-def: $vgpr92
.LBB6_9567:                             ;   in Loop: Header=BB6_9353 Depth=3
	s_delay_alu instid0(SALU_CYCLE_1)
	s_and_b32 vcc_lo, exec_lo, s13
	s_cbranch_vccz .LBB6_9577
; %bb.9568:                             ;   in Loop: Header=BB6_9353 Depth=3
	v_and_b32_e32 v93, 0xff, v91
	s_mov_b32 s13, 0
	s_mov_b32 s34, exec_lo
                                        ; implicit-def: $sgpr31
	s_delay_alu instid0(VALU_DEP_1)
	v_cmpx_lt_i16_e32 0x7f, v93
	s_xor_b32 s34, exec_lo, s34
	s_cbranch_execnz .LBB6_10399
; %bb.9569:                             ;   in Loop: Header=BB6_9353 Depth=3
	s_or_saveexec_b32 s34, s34
	v_mov_b32_e32 v92, s31
	s_xor_b32 exec_lo, exec_lo, s34
	s_cbranch_execnz .LBB6_10402
.LBB6_9570:                             ;   in Loop: Header=BB6_9353 Depth=3
	s_or_b32 exec_lo, exec_lo, s34
	s_and_saveexec_b32 s31, s13
	s_cbranch_execz .LBB6_9572
.LBB6_9571:                             ;   in Loop: Header=BB6_9353 Depth=3
	v_lshrrev_b16 v95, 3, v91
	s_delay_alu instid0(VALU_DEP_1) | instskip(NEXT) | instid1(VALU_DEP_1)
	v_and_b32_e32 v95, 15, v95
	v_cmp_eq_u32_e32 vcc_lo, 0, v95
	v_and_b32_e32 v92, 7, v91
	s_delay_alu instid0(VALU_DEP_1) | instskip(NEXT) | instid1(VALU_DEP_1)
	v_clz_i32_u32_e32 v93, v92
	v_min_u32_e32 v93, 32, v93
	s_delay_alu instid0(VALU_DEP_1) | instskip(SKIP_1) | instid1(VALU_DEP_1)
	v_subrev_nc_u32_e32 v94, 28, v93
	v_sub_nc_u32_e32 v93, 29, v93
	v_dual_cndmask_b32 v93, v95, v93 :: v_dual_lshlrev_b32 v94, v94, v91
	v_lshlrev_b32_e32 v91, 24, v91
	s_delay_alu instid0(VALU_DEP_2) | instskip(NEXT) | instid1(VALU_DEP_3)
	v_and_b32_e32 v94, 7, v94
	v_lshl_add_u32 v93, v93, 23, 0x3b800000
	s_delay_alu instid0(VALU_DEP_2) | instskip(NEXT) | instid1(VALU_DEP_1)
	v_dual_cndmask_b32 v92, v92, v94 :: v_dual_and_b32 v91, 0x80000000, v91
	v_lshlrev_b32_e32 v92, 20, v92
	s_delay_alu instid0(VALU_DEP_1)
	v_or3_b32 v92, v91, v93, v92
.LBB6_9572:                             ;   in Loop: Header=BB6_9353 Depth=3
	s_or_b32 exec_lo, exec_lo, s31
	s_waitcnt vmcnt(24) lgkmcnt(24)
	v_and_b32_e32 v93, 0xff, v113
	s_mov_b32 s13, 0
	s_mov_b32 s34, exec_lo
                                        ; implicit-def: $sgpr31
	s_delay_alu instid0(VALU_DEP_1)
	v_cmpx_lt_i16_e32 0x7f, v93
	s_xor_b32 s34, exec_lo, s34
	s_cbranch_execnz .LBB6_10403
; %bb.9573:                             ;   in Loop: Header=BB6_9353 Depth=3
	s_or_saveexec_b32 s34, s34
	v_mov_b32_e32 v91, s31
	s_xor_b32 exec_lo, exec_lo, s34
	s_cbranch_execnz .LBB6_10406
.LBB6_9574:                             ;   in Loop: Header=BB6_9353 Depth=3
	s_or_b32 exec_lo, exec_lo, s34
	s_and_saveexec_b32 s31, s13
	s_cbranch_execz .LBB6_9576
.LBB6_9575:                             ;   in Loop: Header=BB6_9353 Depth=3
	v_and_b32_e32 v91, 7, v113
	v_lshrrev_b16 v95, 3, v113
	s_delay_alu instid0(VALU_DEP_2) | instskip(NEXT) | instid1(VALU_DEP_2)
	v_clz_i32_u32_e32 v93, v91
	v_and_b32_e32 v95, 15, v95
	s_delay_alu instid0(VALU_DEP_2) | instskip(NEXT) | instid1(VALU_DEP_2)
	v_min_u32_e32 v93, 32, v93
	v_cmp_eq_u32_e32 vcc_lo, 0, v95
	s_delay_alu instid0(VALU_DEP_2) | instskip(SKIP_1) | instid1(VALU_DEP_2)
	v_subrev_nc_u32_e32 v94, 28, v93
	v_sub_nc_u32_e32 v93, 29, v93
	v_lshlrev_b32_e32 v94, v94, v113
	v_lshlrev_b32_e32 v113, 24, v113
	s_delay_alu instid0(VALU_DEP_2) | instskip(NEXT) | instid1(VALU_DEP_2)
	v_dual_cndmask_b32 v93, v95, v93 :: v_dual_and_b32 v94, 7, v94
	v_and_b32_e32 v113, 0x80000000, v113
	s_delay_alu instid0(VALU_DEP_2) | instskip(NEXT) | instid1(VALU_DEP_3)
	v_lshl_add_u32 v93, v93, 23, 0x3b800000
	v_cndmask_b32_e32 v91, v91, v94, vcc_lo
	s_delay_alu instid0(VALU_DEP_1) | instskip(NEXT) | instid1(VALU_DEP_1)
	v_lshlrev_b32_e32 v91, 20, v91
	v_or3_b32 v91, v113, v93, v91
.LBB6_9576:                             ;   in Loop: Header=BB6_9353 Depth=3
	s_or_b32 exec_lo, exec_lo, s31
	s_delay_alu instid0(VALU_DEP_1) | instskip(SKIP_1) | instid1(VALU_DEP_1)
	v_max_f32_e32 v113, v91, v91
	v_max_f32_e32 v91, v92, v92
	v_min_f32_e32 v92, v91, v113
.LBB6_9577:                             ;   in Loop: Header=BB6_9353 Depth=3
	s_waitcnt vmcnt(24) lgkmcnt(24)
	s_delay_alu instid0(VALU_DEP_1) | instskip(NEXT) | instid1(VALU_DEP_1)
	v_and_b32_e32 v113, 0x7f800000, v92
	v_cmp_ne_u32_e32 vcc_lo, 0x7f800000, v113
	v_mov_b32_e32 v113, 0x80
	s_and_saveexec_b32 s31, vcc_lo
	s_cbranch_execz .LBB6_9585
; %bb.9578:                             ;   in Loop: Header=BB6_9353 Depth=3
	v_mov_b32_e32 v113, 0
	s_mov_b32 s34, exec_lo
	v_cmpx_ne_u32_e32 0, v92
	s_cbranch_execz .LBB6_9584
; %bb.9579:                             ;   in Loop: Header=BB6_9353 Depth=3
	v_bfe_u32 v113, v92, 23, 8
	v_and_b32_e32 v91, 0x7fffff, v92
	s_delay_alu instid0(VALU_DEP_2) | instskip(SKIP_1) | instid1(VALU_DEP_3)
	v_sub_nc_u32_e32 v93, 0x78, v113
	v_cmp_gt_u32_e32 vcc_lo, 0x79, v113
	v_or_b32_e32 v94, 0x800000, v91
	s_delay_alu instid0(VALU_DEP_3) | instskip(SKIP_2) | instid1(VALU_DEP_3)
	v_cndmask_b32_e32 v93, 0, v93, vcc_lo
	v_cmp_eq_u32_e32 vcc_lo, 0, v113
	v_add_nc_u32_e32 v113, 0xffffff89, v113
	v_cndmask_b32_e64 v93, v93, 0x77, vcc_lo
	v_cndmask_b32_e32 v91, v94, v91, vcc_lo
	s_delay_alu instid0(VALU_DEP_3) | instskip(NEXT) | instid1(VALU_DEP_3)
	v_cndmask_b32_e64 v113, v113, 0xffffff8a, vcc_lo
	v_lshl_add_u32 v94, 0x100000, v93, -1
	s_delay_alu instid0(VALU_DEP_3) | instskip(SKIP_1) | instid1(VALU_DEP_4)
	v_lshrrev_b32_e32 v95, v93, v91
	v_lshlrev_b32_e64 v105, v93, 0x80000
	v_add_nc_u32_e32 v93, v93, v113
	s_delay_alu instid0(VALU_DEP_4) | instskip(NEXT) | instid1(VALU_DEP_4)
	v_and_b32_e32 v91, v94, v91
	v_bfe_u32 v104, v95, 20, 1
	s_delay_alu instid0(VALU_DEP_2) | instskip(NEXT) | instid1(VALU_DEP_2)
	v_cmp_eq_u32_e64 s13, v91, v105
	v_add_nc_u32_e32 v94, -1, v104
	s_delay_alu instid0(VALU_DEP_1) | instskip(SKIP_2) | instid1(VALU_DEP_2)
	v_cndmask_b32_e64 v91, 0, v94, s13
	v_lshrrev_b32_e32 v94, 23, v95
	s_mov_b32 s13, exec_lo
	v_add_nc_u32_e32 v91, v91, v95
	s_delay_alu instid0(VALU_DEP_2) | instskip(NEXT) | instid1(VALU_DEP_2)
	v_xor_b32_e32 v94, 1, v94
	v_and_b32_e32 v113, 0xfffff, v91
	s_delay_alu instid0(VALU_DEP_1) | instskip(NEXT) | instid1(VALU_DEP_3)
	v_add_nc_u32_e32 v91, v113, v95
                                        ; implicit-def: $vgpr113
	v_cmpx_ne_u32_e64 v93, v94
	s_xor_b32 s13, exec_lo, s13
; %bb.9580:                             ;   in Loop: Header=BB6_9353 Depth=3
	s_delay_alu instid0(VALU_DEP_2) | instskip(SKIP_2) | instid1(VALU_DEP_2)
	v_cmp_lt_u32_e32 vcc_lo, 0xffffff, v91
	v_sub_nc_u32_e32 v113, v93, v94
	v_cndmask_b32_e64 v93, 0, 1, vcc_lo
	v_add_co_ci_u32_e32 v113, vcc_lo, 0, v113, vcc_lo
	s_delay_alu instid0(VALU_DEP_2)
	v_lshrrev_b32_e32 v91, v93, v91
; %bb.9581:                             ;   in Loop: Header=BB6_9353 Depth=3
	s_and_not1_saveexec_b32 s13, s13
; %bb.9582:                             ;   in Loop: Header=BB6_9353 Depth=3
	s_delay_alu instid0(VALU_DEP_1)
	v_bfe_u32 v113, v91, 23, 1
; %bb.9583:                             ;   in Loop: Header=BB6_9353 Depth=3
	s_or_b32 exec_lo, exec_lo, s13
	v_lshrrev_b32_e32 v91, 20, v91
	s_delay_alu instid0(VALU_DEP_2) | instskip(SKIP_2) | instid1(VALU_DEP_2)
	v_cmp_gt_i32_e32 vcc_lo, 16, v113
	v_lshrrev_b32_e32 v92, 24, v92
	v_min_i32_e32 v93, 15, v113
	v_dual_cndmask_b32 v91, 7, v91 :: v_dual_and_b32 v92, 0x80, v92
	s_delay_alu instid0(VALU_DEP_2) | instskip(NEXT) | instid1(VALU_DEP_2)
	v_lshlrev_b32_e32 v93, 3, v93
	v_and_b32_e32 v94, 7, v91
	v_or_b32_e32 v113, v113, v91
	s_delay_alu instid0(VALU_DEP_2) | instskip(NEXT) | instid1(VALU_DEP_2)
	v_or3_b32 v91, v93, v92, v94
	v_cmp_ne_u32_e32 vcc_lo, 0, v113
	s_delay_alu instid0(VALU_DEP_2)
	v_cndmask_b32_e32 v113, 0, v91, vcc_lo
.LBB6_9584:                             ;   in Loop: Header=BB6_9353 Depth=3
	s_or_b32 exec_lo, exec_lo, s34
.LBB6_9585:                             ;   in Loop: Header=BB6_9353 Depth=3
	s_delay_alu instid0(SALU_CYCLE_1) | instskip(NEXT) | instid1(SALU_CYCLE_1)
	s_or_b32 exec_lo, exec_lo, s31
	s_and_not1_b32 vcc_lo, exec_lo, s17
	s_cbranch_vccnz .LBB6_9595
; %bb.9586:                             ;   in Loop: Header=BB6_9353 Depth=3
	v_and_b32_e32 v92, 0xff, v90
	s_mov_b32 s13, 0
	s_mov_b32 s34, exec_lo
                                        ; implicit-def: $sgpr31
	s_delay_alu instid0(VALU_DEP_1)
	v_cmpx_lt_i16_e32 0x7f, v92
	s_xor_b32 s34, exec_lo, s34
	s_cbranch_execnz .LBB6_10407
; %bb.9587:                             ;   in Loop: Header=BB6_9353 Depth=3
	s_or_saveexec_b32 s34, s34
	v_mov_b32_e32 v91, s31
	s_xor_b32 exec_lo, exec_lo, s34
	s_cbranch_execnz .LBB6_10410
.LBB6_9588:                             ;   in Loop: Header=BB6_9353 Depth=3
	s_or_b32 exec_lo, exec_lo, s34
	s_and_saveexec_b32 s31, s13
	s_cbranch_execz .LBB6_9590
.LBB6_9589:                             ;   in Loop: Header=BB6_9353 Depth=3
	v_lshrrev_b16 v94, 3, v90
	v_lshlrev_b32_e32 v95, 24, v90
	s_delay_alu instid0(VALU_DEP_2) | instskip(NEXT) | instid1(VALU_DEP_1)
	v_and_b32_e32 v94, 15, v94
	v_cmp_eq_u32_e32 vcc_lo, 0, v94
	v_and_b32_e32 v91, 7, v90
	s_delay_alu instid0(VALU_DEP_1) | instskip(NEXT) | instid1(VALU_DEP_1)
	v_clz_i32_u32_e32 v92, v91
	v_min_u32_e32 v92, 32, v92
	s_delay_alu instid0(VALU_DEP_1) | instskip(SKIP_1) | instid1(VALU_DEP_1)
	v_subrev_nc_u32_e32 v93, 28, v92
	v_sub_nc_u32_e32 v92, 29, v92
	v_dual_cndmask_b32 v92, v94, v92 :: v_dual_lshlrev_b32 v93, v93, v90
	s_delay_alu instid0(VALU_DEP_1) | instskip(NEXT) | instid1(VALU_DEP_2)
	v_and_b32_e32 v93, 7, v93
	v_lshl_add_u32 v92, v92, 23, 0x3b800000
	s_delay_alu instid0(VALU_DEP_2) | instskip(SKIP_1) | instid1(VALU_DEP_2)
	v_cndmask_b32_e32 v91, v91, v93, vcc_lo
	v_and_b32_e32 v93, 0x80000000, v95
	v_lshlrev_b32_e32 v91, 20, v91
	s_delay_alu instid0(VALU_DEP_1)
	v_or3_b32 v91, v93, v92, v91
.LBB6_9590:                             ;   in Loop: Header=BB6_9353 Depth=3
	s_or_b32 exec_lo, exec_lo, s31
	s_waitcnt vmcnt(23) lgkmcnt(23)
	v_and_b32_e32 v93, 0xff, v116
	s_mov_b32 s13, 0
	s_mov_b32 s34, exec_lo
                                        ; implicit-def: $sgpr31
	s_delay_alu instid0(VALU_DEP_1)
	v_cmpx_lt_i16_e32 0x7f, v93
	s_xor_b32 s34, exec_lo, s34
	s_cbranch_execnz .LBB6_10411
; %bb.9591:                             ;   in Loop: Header=BB6_9353 Depth=3
	s_or_saveexec_b32 s34, s34
	v_mov_b32_e32 v92, s31
	s_xor_b32 exec_lo, exec_lo, s34
	s_cbranch_execnz .LBB6_10414
.LBB6_9592:                             ;   in Loop: Header=BB6_9353 Depth=3
	s_or_b32 exec_lo, exec_lo, s34
	s_and_saveexec_b32 s31, s13
	s_cbranch_execz .LBB6_9594
.LBB6_9593:                             ;   in Loop: Header=BB6_9353 Depth=3
	v_lshrrev_b16 v95, 3, v116
	v_lshlrev_b32_e32 v104, 24, v116
	s_delay_alu instid0(VALU_DEP_2) | instskip(NEXT) | instid1(VALU_DEP_1)
	v_and_b32_e32 v95, 15, v95
	v_cmp_eq_u32_e32 vcc_lo, 0, v95
	v_and_b32_e32 v92, 7, v116
	s_delay_alu instid0(VALU_DEP_1) | instskip(NEXT) | instid1(VALU_DEP_1)
	v_clz_i32_u32_e32 v93, v92
	v_min_u32_e32 v93, 32, v93
	s_delay_alu instid0(VALU_DEP_1) | instskip(SKIP_1) | instid1(VALU_DEP_1)
	v_subrev_nc_u32_e32 v94, 28, v93
	v_sub_nc_u32_e32 v93, 29, v93
	v_dual_cndmask_b32 v93, v95, v93 :: v_dual_lshlrev_b32 v94, v94, v116
	s_delay_alu instid0(VALU_DEP_1) | instskip(NEXT) | instid1(VALU_DEP_2)
	v_and_b32_e32 v94, 7, v94
	v_lshl_add_u32 v93, v93, 23, 0x3b800000
	s_delay_alu instid0(VALU_DEP_2) | instskip(SKIP_1) | instid1(VALU_DEP_2)
	v_cndmask_b32_e32 v92, v92, v94, vcc_lo
	v_and_b32_e32 v94, 0x80000000, v104
	v_lshlrev_b32_e32 v92, 20, v92
	s_delay_alu instid0(VALU_DEP_1)
	v_or3_b32 v92, v94, v93, v92
.LBB6_9594:                             ;   in Loop: Header=BB6_9353 Depth=3
	s_or_b32 exec_lo, exec_lo, s31
	s_delay_alu instid0(VALU_DEP_1) | instskip(SKIP_1) | instid1(VALU_DEP_1)
	v_dual_max_f32 v92, v92, v92 :: v_dual_max_f32 v91, v91, v91
	s_mov_b32 s13, 0
	v_max_f32_e32 v91, v91, v92
	s_branch .LBB6_9596
.LBB6_9595:                             ;   in Loop: Header=BB6_9353 Depth=3
	s_mov_b32 s13, -1
                                        ; implicit-def: $vgpr91
.LBB6_9596:                             ;   in Loop: Header=BB6_9353 Depth=3
	s_delay_alu instid0(SALU_CYCLE_1)
	s_and_b32 vcc_lo, exec_lo, s13
	s_cbranch_vccz .LBB6_9606
; %bb.9597:                             ;   in Loop: Header=BB6_9353 Depth=3
	v_and_b32_e32 v92, 0xff, v90
	s_mov_b32 s13, 0
	s_mov_b32 s34, exec_lo
                                        ; implicit-def: $sgpr31
	s_delay_alu instid0(VALU_DEP_1)
	v_cmpx_lt_i16_e32 0x7f, v92
	s_xor_b32 s34, exec_lo, s34
	s_cbranch_execnz .LBB6_10415
; %bb.9598:                             ;   in Loop: Header=BB6_9353 Depth=3
	s_or_saveexec_b32 s34, s34
	v_mov_b32_e32 v91, s31
	s_xor_b32 exec_lo, exec_lo, s34
	s_cbranch_execnz .LBB6_10418
.LBB6_9599:                             ;   in Loop: Header=BB6_9353 Depth=3
	s_or_b32 exec_lo, exec_lo, s34
	s_and_saveexec_b32 s31, s13
	s_cbranch_execz .LBB6_9601
.LBB6_9600:                             ;   in Loop: Header=BB6_9353 Depth=3
	v_lshrrev_b16 v94, 3, v90
	s_delay_alu instid0(VALU_DEP_1) | instskip(NEXT) | instid1(VALU_DEP_1)
	v_and_b32_e32 v94, 15, v94
	v_cmp_eq_u32_e32 vcc_lo, 0, v94
	v_and_b32_e32 v91, 7, v90
	s_delay_alu instid0(VALU_DEP_1) | instskip(NEXT) | instid1(VALU_DEP_1)
	v_clz_i32_u32_e32 v92, v91
	v_min_u32_e32 v92, 32, v92
	s_delay_alu instid0(VALU_DEP_1) | instskip(SKIP_1) | instid1(VALU_DEP_1)
	v_subrev_nc_u32_e32 v93, 28, v92
	v_sub_nc_u32_e32 v92, 29, v92
	v_dual_cndmask_b32 v92, v94, v92 :: v_dual_lshlrev_b32 v93, v93, v90
	v_lshlrev_b32_e32 v90, 24, v90
	s_delay_alu instid0(VALU_DEP_2) | instskip(NEXT) | instid1(VALU_DEP_3)
	v_and_b32_e32 v93, 7, v93
	v_lshl_add_u32 v92, v92, 23, 0x3b800000
	s_delay_alu instid0(VALU_DEP_2) | instskip(NEXT) | instid1(VALU_DEP_1)
	v_dual_cndmask_b32 v91, v91, v93 :: v_dual_and_b32 v90, 0x80000000, v90
	v_lshlrev_b32_e32 v91, 20, v91
	s_delay_alu instid0(VALU_DEP_1)
	v_or3_b32 v91, v90, v92, v91
.LBB6_9601:                             ;   in Loop: Header=BB6_9353 Depth=3
	s_or_b32 exec_lo, exec_lo, s31
	s_waitcnt vmcnt(23) lgkmcnt(23)
	v_and_b32_e32 v92, 0xff, v116
	s_mov_b32 s13, 0
	s_mov_b32 s34, exec_lo
                                        ; implicit-def: $sgpr31
	s_delay_alu instid0(VALU_DEP_1)
	v_cmpx_lt_i16_e32 0x7f, v92
	s_xor_b32 s34, exec_lo, s34
	s_cbranch_execnz .LBB6_10419
; %bb.9602:                             ;   in Loop: Header=BB6_9353 Depth=3
	s_or_saveexec_b32 s34, s34
	v_mov_b32_e32 v90, s31
	s_xor_b32 exec_lo, exec_lo, s34
	s_cbranch_execnz .LBB6_10422
.LBB6_9603:                             ;   in Loop: Header=BB6_9353 Depth=3
	s_or_b32 exec_lo, exec_lo, s34
	s_and_saveexec_b32 s31, s13
	s_cbranch_execz .LBB6_9605
.LBB6_9604:                             ;   in Loop: Header=BB6_9353 Depth=3
	v_and_b32_e32 v90, 7, v116
	v_lshrrev_b16 v94, 3, v116
	s_delay_alu instid0(VALU_DEP_2) | instskip(NEXT) | instid1(VALU_DEP_2)
	v_clz_i32_u32_e32 v92, v90
	v_and_b32_e32 v94, 15, v94
	s_delay_alu instid0(VALU_DEP_2) | instskip(NEXT) | instid1(VALU_DEP_2)
	v_min_u32_e32 v92, 32, v92
	v_cmp_eq_u32_e32 vcc_lo, 0, v94
	s_delay_alu instid0(VALU_DEP_2) | instskip(SKIP_1) | instid1(VALU_DEP_2)
	v_subrev_nc_u32_e32 v93, 28, v92
	v_sub_nc_u32_e32 v92, 29, v92
	v_lshlrev_b32_e32 v93, v93, v116
	v_lshlrev_b32_e32 v116, 24, v116
	s_delay_alu instid0(VALU_DEP_2) | instskip(NEXT) | instid1(VALU_DEP_2)
	v_dual_cndmask_b32 v92, v94, v92 :: v_dual_and_b32 v93, 7, v93
	v_and_b32_e32 v116, 0x80000000, v116
	s_delay_alu instid0(VALU_DEP_2) | instskip(NEXT) | instid1(VALU_DEP_3)
	v_lshl_add_u32 v92, v92, 23, 0x3b800000
	v_cndmask_b32_e32 v90, v90, v93, vcc_lo
	s_delay_alu instid0(VALU_DEP_1) | instskip(NEXT) | instid1(VALU_DEP_1)
	v_lshlrev_b32_e32 v90, 20, v90
	v_or3_b32 v90, v116, v92, v90
.LBB6_9605:                             ;   in Loop: Header=BB6_9353 Depth=3
	s_or_b32 exec_lo, exec_lo, s31
	s_delay_alu instid0(VALU_DEP_1) | instskip(SKIP_1) | instid1(VALU_DEP_1)
	v_max_f32_e32 v116, v90, v90
	v_max_f32_e32 v90, v91, v91
	v_min_f32_e32 v91, v90, v116
.LBB6_9606:                             ;   in Loop: Header=BB6_9353 Depth=3
	s_waitcnt vmcnt(23) lgkmcnt(23)
	s_delay_alu instid0(VALU_DEP_1) | instskip(NEXT) | instid1(VALU_DEP_1)
	v_and_b32_e32 v116, 0x7f800000, v91
	v_cmp_ne_u32_e32 vcc_lo, 0x7f800000, v116
	v_mov_b32_e32 v116, 0x80
	s_and_saveexec_b32 s31, vcc_lo
	s_cbranch_execz .LBB6_9614
; %bb.9607:                             ;   in Loop: Header=BB6_9353 Depth=3
	v_mov_b32_e32 v116, 0
	s_mov_b32 s34, exec_lo
	v_cmpx_ne_u32_e32 0, v91
	s_cbranch_execz .LBB6_9613
; %bb.9608:                             ;   in Loop: Header=BB6_9353 Depth=3
	v_bfe_u32 v116, v91, 23, 8
	v_and_b32_e32 v90, 0x7fffff, v91
	s_delay_alu instid0(VALU_DEP_2) | instskip(SKIP_1) | instid1(VALU_DEP_3)
	v_sub_nc_u32_e32 v92, 0x78, v116
	v_cmp_gt_u32_e32 vcc_lo, 0x79, v116
	v_or_b32_e32 v93, 0x800000, v90
	s_delay_alu instid0(VALU_DEP_3) | instskip(SKIP_2) | instid1(VALU_DEP_3)
	v_cndmask_b32_e32 v92, 0, v92, vcc_lo
	v_cmp_eq_u32_e32 vcc_lo, 0, v116
	v_add_nc_u32_e32 v116, 0xffffff89, v116
	v_cndmask_b32_e64 v92, v92, 0x77, vcc_lo
	v_cndmask_b32_e32 v90, v93, v90, vcc_lo
	s_delay_alu instid0(VALU_DEP_3) | instskip(NEXT) | instid1(VALU_DEP_3)
	v_cndmask_b32_e64 v116, v116, 0xffffff8a, vcc_lo
	v_lshl_add_u32 v93, 0x100000, v92, -1
	s_delay_alu instid0(VALU_DEP_3) | instskip(SKIP_1) | instid1(VALU_DEP_4)
	v_lshrrev_b32_e32 v94, v92, v90
	v_lshlrev_b32_e64 v104, v92, 0x80000
	v_add_nc_u32_e32 v92, v92, v116
	s_delay_alu instid0(VALU_DEP_4) | instskip(NEXT) | instid1(VALU_DEP_4)
	v_and_b32_e32 v90, v93, v90
	v_bfe_u32 v95, v94, 20, 1
	s_delay_alu instid0(VALU_DEP_2) | instskip(NEXT) | instid1(VALU_DEP_2)
	v_cmp_eq_u32_e64 s13, v90, v104
	v_add_nc_u32_e32 v93, -1, v95
	s_delay_alu instid0(VALU_DEP_1) | instskip(SKIP_2) | instid1(VALU_DEP_2)
	v_cndmask_b32_e64 v90, 0, v93, s13
	v_lshrrev_b32_e32 v93, 23, v94
	s_mov_b32 s13, exec_lo
	v_add_nc_u32_e32 v90, v90, v94
	s_delay_alu instid0(VALU_DEP_2) | instskip(NEXT) | instid1(VALU_DEP_2)
	v_xor_b32_e32 v93, 1, v93
	v_and_b32_e32 v116, 0xfffff, v90
	s_delay_alu instid0(VALU_DEP_1) | instskip(NEXT) | instid1(VALU_DEP_3)
	v_add_nc_u32_e32 v90, v116, v94
                                        ; implicit-def: $vgpr116
	v_cmpx_ne_u32_e64 v92, v93
	s_xor_b32 s13, exec_lo, s13
; %bb.9609:                             ;   in Loop: Header=BB6_9353 Depth=3
	s_delay_alu instid0(VALU_DEP_2) | instskip(SKIP_2) | instid1(VALU_DEP_2)
	v_cmp_lt_u32_e32 vcc_lo, 0xffffff, v90
	v_sub_nc_u32_e32 v116, v92, v93
	v_cndmask_b32_e64 v92, 0, 1, vcc_lo
	v_add_co_ci_u32_e32 v116, vcc_lo, 0, v116, vcc_lo
	s_delay_alu instid0(VALU_DEP_2)
	v_lshrrev_b32_e32 v90, v92, v90
; %bb.9610:                             ;   in Loop: Header=BB6_9353 Depth=3
	s_and_not1_saveexec_b32 s13, s13
; %bb.9611:                             ;   in Loop: Header=BB6_9353 Depth=3
	s_delay_alu instid0(VALU_DEP_1)
	v_bfe_u32 v116, v90, 23, 1
; %bb.9612:                             ;   in Loop: Header=BB6_9353 Depth=3
	s_or_b32 exec_lo, exec_lo, s13
	v_lshrrev_b32_e32 v90, 20, v90
	s_delay_alu instid0(VALU_DEP_2) | instskip(SKIP_2) | instid1(VALU_DEP_2)
	v_cmp_gt_i32_e32 vcc_lo, 16, v116
	v_lshrrev_b32_e32 v91, 24, v91
	v_min_i32_e32 v92, 15, v116
	v_dual_cndmask_b32 v90, 7, v90 :: v_dual_and_b32 v91, 0x80, v91
	s_delay_alu instid0(VALU_DEP_2) | instskip(NEXT) | instid1(VALU_DEP_2)
	v_lshlrev_b32_e32 v92, 3, v92
	v_and_b32_e32 v93, 7, v90
	v_or_b32_e32 v116, v116, v90
	s_delay_alu instid0(VALU_DEP_2) | instskip(NEXT) | instid1(VALU_DEP_2)
	v_or3_b32 v90, v92, v91, v93
	v_cmp_ne_u32_e32 vcc_lo, 0, v116
	s_delay_alu instid0(VALU_DEP_2)
	v_cndmask_b32_e32 v116, 0, v90, vcc_lo
.LBB6_9613:                             ;   in Loop: Header=BB6_9353 Depth=3
	s_or_b32 exec_lo, exec_lo, s34
.LBB6_9614:                             ;   in Loop: Header=BB6_9353 Depth=3
	s_delay_alu instid0(SALU_CYCLE_1) | instskip(NEXT) | instid1(SALU_CYCLE_1)
	s_or_b32 exec_lo, exec_lo, s31
	s_and_not1_b32 vcc_lo, exec_lo, s17
	s_cbranch_vccnz .LBB6_9624
; %bb.9615:                             ;   in Loop: Header=BB6_9353 Depth=3
	v_and_b32_e32 v91, 0xff, v89
	s_mov_b32 s13, 0
	s_mov_b32 s34, exec_lo
                                        ; implicit-def: $sgpr31
	s_delay_alu instid0(VALU_DEP_1)
	v_cmpx_lt_i16_e32 0x7f, v91
	s_xor_b32 s34, exec_lo, s34
	s_cbranch_execnz .LBB6_10423
; %bb.9616:                             ;   in Loop: Header=BB6_9353 Depth=3
	s_or_saveexec_b32 s34, s34
	v_mov_b32_e32 v90, s31
	s_xor_b32 exec_lo, exec_lo, s34
	s_cbranch_execnz .LBB6_10426
.LBB6_9617:                             ;   in Loop: Header=BB6_9353 Depth=3
	s_or_b32 exec_lo, exec_lo, s34
	s_and_saveexec_b32 s31, s13
	s_cbranch_execz .LBB6_9619
.LBB6_9618:                             ;   in Loop: Header=BB6_9353 Depth=3
	v_lshrrev_b16 v93, 3, v89
	v_lshlrev_b32_e32 v94, 24, v89
	s_delay_alu instid0(VALU_DEP_2) | instskip(NEXT) | instid1(VALU_DEP_1)
	v_and_b32_e32 v93, 15, v93
	v_cmp_eq_u32_e32 vcc_lo, 0, v93
	v_and_b32_e32 v90, 7, v89
	s_delay_alu instid0(VALU_DEP_1) | instskip(NEXT) | instid1(VALU_DEP_1)
	v_clz_i32_u32_e32 v91, v90
	v_min_u32_e32 v91, 32, v91
	s_delay_alu instid0(VALU_DEP_1) | instskip(SKIP_1) | instid1(VALU_DEP_1)
	v_subrev_nc_u32_e32 v92, 28, v91
	v_sub_nc_u32_e32 v91, 29, v91
	v_dual_cndmask_b32 v91, v93, v91 :: v_dual_lshlrev_b32 v92, v92, v89
	s_delay_alu instid0(VALU_DEP_1) | instskip(NEXT) | instid1(VALU_DEP_2)
	v_and_b32_e32 v92, 7, v92
	v_lshl_add_u32 v91, v91, 23, 0x3b800000
	s_delay_alu instid0(VALU_DEP_2) | instskip(SKIP_1) | instid1(VALU_DEP_2)
	v_cndmask_b32_e32 v90, v90, v92, vcc_lo
	v_and_b32_e32 v92, 0x80000000, v94
	v_lshlrev_b32_e32 v90, 20, v90
	s_delay_alu instid0(VALU_DEP_1)
	v_or3_b32 v90, v92, v91, v90
.LBB6_9619:                             ;   in Loop: Header=BB6_9353 Depth=3
	s_or_b32 exec_lo, exec_lo, s31
	s_waitcnt vmcnt(22) lgkmcnt(22)
	v_and_b32_e32 v92, 0xff, v40
	s_mov_b32 s13, 0
	s_mov_b32 s34, exec_lo
                                        ; implicit-def: $sgpr31
	s_delay_alu instid0(VALU_DEP_1)
	v_cmpx_lt_i16_e32 0x7f, v92
	s_xor_b32 s34, exec_lo, s34
	s_cbranch_execnz .LBB6_10427
; %bb.9620:                             ;   in Loop: Header=BB6_9353 Depth=3
	s_or_saveexec_b32 s34, s34
	v_mov_b32_e32 v91, s31
	s_xor_b32 exec_lo, exec_lo, s34
	s_cbranch_execnz .LBB6_10430
.LBB6_9621:                             ;   in Loop: Header=BB6_9353 Depth=3
	s_or_b32 exec_lo, exec_lo, s34
	s_and_saveexec_b32 s31, s13
	s_cbranch_execz .LBB6_9623
.LBB6_9622:                             ;   in Loop: Header=BB6_9353 Depth=3
	v_and_b32_e32 v91, 7, v40
	v_lshrrev_b16 v94, 3, v40
	v_lshlrev_b32_e32 v95, 24, v40
	s_delay_alu instid0(VALU_DEP_3) | instskip(NEXT) | instid1(VALU_DEP_1)
	v_clz_i32_u32_e32 v92, v91
	v_min_u32_e32 v92, 32, v92
	s_delay_alu instid0(VALU_DEP_1) | instskip(SKIP_1) | instid1(VALU_DEP_2)
	v_subrev_nc_u32_e32 v93, 28, v92
	v_sub_nc_u32_e32 v92, 29, v92
	v_lshlrev_b32_e32 v93, v93, v40
	s_delay_alu instid0(VALU_DEP_1) | instskip(SKIP_1) | instid1(VALU_DEP_1)
	v_and_b32_e32 v93, 7, v93
	v_and_b32_e32 v94, 15, v94
	v_cmp_eq_u32_e32 vcc_lo, 0, v94
	s_delay_alu instid0(VALU_DEP_3) | instskip(SKIP_1) | instid1(VALU_DEP_2)
	v_dual_cndmask_b32 v91, v91, v93 :: v_dual_cndmask_b32 v92, v94, v92
	v_and_b32_e32 v93, 0x80000000, v95
	v_lshlrev_b32_e32 v91, 20, v91
	s_delay_alu instid0(VALU_DEP_3) | instskip(NEXT) | instid1(VALU_DEP_1)
	v_lshl_add_u32 v92, v92, 23, 0x3b800000
	v_or3_b32 v91, v93, v92, v91
.LBB6_9623:                             ;   in Loop: Header=BB6_9353 Depth=3
	s_or_b32 exec_lo, exec_lo, s31
	s_delay_alu instid0(VALU_DEP_1) | instskip(SKIP_1) | instid1(VALU_DEP_1)
	v_dual_max_f32 v91, v91, v91 :: v_dual_max_f32 v90, v90, v90
	s_mov_b32 s13, 0
	v_max_f32_e32 v90, v90, v91
	s_branch .LBB6_9625
.LBB6_9624:                             ;   in Loop: Header=BB6_9353 Depth=3
	s_mov_b32 s13, -1
                                        ; implicit-def: $vgpr90
.LBB6_9625:                             ;   in Loop: Header=BB6_9353 Depth=3
	s_delay_alu instid0(SALU_CYCLE_1)
	s_and_b32 vcc_lo, exec_lo, s13
	s_cbranch_vccz .LBB6_9635
; %bb.9626:                             ;   in Loop: Header=BB6_9353 Depth=3
	v_and_b32_e32 v91, 0xff, v89
	s_mov_b32 s13, 0
	s_mov_b32 s34, exec_lo
                                        ; implicit-def: $sgpr31
	s_delay_alu instid0(VALU_DEP_1)
	v_cmpx_lt_i16_e32 0x7f, v91
	s_xor_b32 s34, exec_lo, s34
	s_cbranch_execnz .LBB6_10431
; %bb.9627:                             ;   in Loop: Header=BB6_9353 Depth=3
	s_or_saveexec_b32 s34, s34
	v_mov_b32_e32 v90, s31
	s_xor_b32 exec_lo, exec_lo, s34
	s_cbranch_execnz .LBB6_10434
.LBB6_9628:                             ;   in Loop: Header=BB6_9353 Depth=3
	s_or_b32 exec_lo, exec_lo, s34
	s_and_saveexec_b32 s31, s13
	s_cbranch_execz .LBB6_9630
.LBB6_9629:                             ;   in Loop: Header=BB6_9353 Depth=3
	v_lshrrev_b16 v93, 3, v89
	s_delay_alu instid0(VALU_DEP_1) | instskip(NEXT) | instid1(VALU_DEP_1)
	v_and_b32_e32 v93, 15, v93
	v_cmp_eq_u32_e32 vcc_lo, 0, v93
	v_and_b32_e32 v90, 7, v89
	s_delay_alu instid0(VALU_DEP_1) | instskip(NEXT) | instid1(VALU_DEP_1)
	v_clz_i32_u32_e32 v91, v90
	v_min_u32_e32 v91, 32, v91
	s_delay_alu instid0(VALU_DEP_1) | instskip(SKIP_1) | instid1(VALU_DEP_1)
	v_subrev_nc_u32_e32 v92, 28, v91
	v_sub_nc_u32_e32 v91, 29, v91
	v_dual_cndmask_b32 v91, v93, v91 :: v_dual_lshlrev_b32 v92, v92, v89
	v_lshlrev_b32_e32 v89, 24, v89
	s_delay_alu instid0(VALU_DEP_2) | instskip(NEXT) | instid1(VALU_DEP_3)
	v_and_b32_e32 v92, 7, v92
	v_lshl_add_u32 v91, v91, 23, 0x3b800000
	s_delay_alu instid0(VALU_DEP_2) | instskip(NEXT) | instid1(VALU_DEP_1)
	v_dual_cndmask_b32 v90, v90, v92 :: v_dual_and_b32 v89, 0x80000000, v89
	v_lshlrev_b32_e32 v90, 20, v90
	s_delay_alu instid0(VALU_DEP_1)
	v_or3_b32 v90, v89, v91, v90
.LBB6_9630:                             ;   in Loop: Header=BB6_9353 Depth=3
	s_or_b32 exec_lo, exec_lo, s31
	s_waitcnt vmcnt(22) lgkmcnt(22)
	v_and_b32_e32 v91, 0xff, v40
	s_mov_b32 s13, 0
	s_mov_b32 s34, exec_lo
                                        ; implicit-def: $sgpr31
	s_delay_alu instid0(VALU_DEP_1)
	v_cmpx_lt_i16_e32 0x7f, v91
	s_xor_b32 s34, exec_lo, s34
	s_cbranch_execnz .LBB6_10435
; %bb.9631:                             ;   in Loop: Header=BB6_9353 Depth=3
	s_or_saveexec_b32 s34, s34
	v_mov_b32_e32 v89, s31
	s_xor_b32 exec_lo, exec_lo, s34
	s_cbranch_execnz .LBB6_10438
.LBB6_9632:                             ;   in Loop: Header=BB6_9353 Depth=3
	s_or_b32 exec_lo, exec_lo, s34
	s_and_saveexec_b32 s31, s13
	s_cbranch_execz .LBB6_9634
.LBB6_9633:                             ;   in Loop: Header=BB6_9353 Depth=3
	v_and_b32_e32 v89, 7, v40
	v_lshrrev_b16 v93, 3, v40
	s_delay_alu instid0(VALU_DEP_2) | instskip(NEXT) | instid1(VALU_DEP_2)
	v_clz_i32_u32_e32 v91, v89
	v_and_b32_e32 v93, 15, v93
	s_delay_alu instid0(VALU_DEP_2) | instskip(NEXT) | instid1(VALU_DEP_2)
	v_min_u32_e32 v91, 32, v91
	v_cmp_eq_u32_e32 vcc_lo, 0, v93
	s_delay_alu instid0(VALU_DEP_2) | instskip(SKIP_1) | instid1(VALU_DEP_1)
	v_subrev_nc_u32_e32 v92, 28, v91
	v_sub_nc_u32_e32 v91, 29, v91
	v_dual_cndmask_b32 v91, v93, v91 :: v_dual_lshlrev_b32 v92, v92, v40
	v_lshlrev_b32_e32 v40, 24, v40
	s_delay_alu instid0(VALU_DEP_2) | instskip(NEXT) | instid1(VALU_DEP_3)
	v_and_b32_e32 v92, 7, v92
	v_lshl_add_u32 v91, v91, 23, 0x3b800000
	s_delay_alu instid0(VALU_DEP_3) | instskip(NEXT) | instid1(VALU_DEP_3)
	v_and_b32_e32 v40, 0x80000000, v40
	v_cndmask_b32_e32 v89, v89, v92, vcc_lo
	s_delay_alu instid0(VALU_DEP_1) | instskip(NEXT) | instid1(VALU_DEP_1)
	v_lshlrev_b32_e32 v89, 20, v89
	v_or3_b32 v89, v40, v91, v89
.LBB6_9634:                             ;   in Loop: Header=BB6_9353 Depth=3
	s_or_b32 exec_lo, exec_lo, s31
	s_delay_alu instid0(VALU_DEP_1) | instskip(NEXT) | instid1(VALU_DEP_1)
	v_dual_max_f32 v40, v89, v89 :: v_dual_max_f32 v89, v90, v90
	v_min_f32_e32 v90, v89, v40
.LBB6_9635:                             ;   in Loop: Header=BB6_9353 Depth=3
	s_waitcnt vmcnt(22) lgkmcnt(22)
	s_delay_alu instid0(VALU_DEP_1) | instskip(NEXT) | instid1(VALU_DEP_1)
	v_and_b32_e32 v40, 0x7f800000, v90
	v_cmp_ne_u32_e32 vcc_lo, 0x7f800000, v40
	v_mov_b32_e32 v40, 0x80
	s_and_saveexec_b32 s31, vcc_lo
	s_cbranch_execz .LBB6_9643
; %bb.9636:                             ;   in Loop: Header=BB6_9353 Depth=3
	v_mov_b32_e32 v40, 0
	s_mov_b32 s34, exec_lo
	v_cmpx_ne_u32_e32 0, v90
	s_cbranch_execz .LBB6_9642
; %bb.9637:                             ;   in Loop: Header=BB6_9353 Depth=3
	v_bfe_u32 v40, v90, 23, 8
	v_and_b32_e32 v89, 0x7fffff, v90
	s_delay_alu instid0(VALU_DEP_2) | instskip(SKIP_1) | instid1(VALU_DEP_3)
	v_sub_nc_u32_e32 v91, 0x78, v40
	v_cmp_gt_u32_e32 vcc_lo, 0x79, v40
	v_or_b32_e32 v92, 0x800000, v89
	s_delay_alu instid0(VALU_DEP_3) | instskip(SKIP_2) | instid1(VALU_DEP_3)
	v_cndmask_b32_e32 v91, 0, v91, vcc_lo
	v_cmp_eq_u32_e32 vcc_lo, 0, v40
	v_add_nc_u32_e32 v40, 0xffffff89, v40
	v_cndmask_b32_e64 v91, v91, 0x77, vcc_lo
	v_cndmask_b32_e32 v89, v92, v89, vcc_lo
	s_delay_alu instid0(VALU_DEP_3) | instskip(NEXT) | instid1(VALU_DEP_3)
	v_cndmask_b32_e64 v40, v40, 0xffffff8a, vcc_lo
	v_lshl_add_u32 v92, 0x100000, v91, -1
	s_delay_alu instid0(VALU_DEP_3) | instskip(SKIP_1) | instid1(VALU_DEP_4)
	v_lshrrev_b32_e32 v93, v91, v89
	v_lshlrev_b32_e64 v95, v91, 0x80000
	v_add_nc_u32_e32 v91, v91, v40
	s_delay_alu instid0(VALU_DEP_4) | instskip(NEXT) | instid1(VALU_DEP_4)
	v_and_b32_e32 v89, v92, v89
	v_bfe_u32 v94, v93, 20, 1
	s_delay_alu instid0(VALU_DEP_2) | instskip(NEXT) | instid1(VALU_DEP_2)
	v_cmp_eq_u32_e64 s13, v89, v95
	v_add_nc_u32_e32 v92, -1, v94
	s_delay_alu instid0(VALU_DEP_1) | instskip(SKIP_2) | instid1(VALU_DEP_2)
	v_cndmask_b32_e64 v89, 0, v92, s13
	v_lshrrev_b32_e32 v92, 23, v93
	s_mov_b32 s13, exec_lo
	v_add_nc_u32_e32 v89, v89, v93
	s_delay_alu instid0(VALU_DEP_2) | instskip(NEXT) | instid1(VALU_DEP_2)
	v_xor_b32_e32 v92, 1, v92
	v_and_b32_e32 v40, 0xfffff, v89
	s_delay_alu instid0(VALU_DEP_1) | instskip(NEXT) | instid1(VALU_DEP_3)
	v_add_nc_u32_e32 v89, v40, v93
                                        ; implicit-def: $vgpr40
	v_cmpx_ne_u32_e64 v91, v92
	s_xor_b32 s13, exec_lo, s13
; %bb.9638:                             ;   in Loop: Header=BB6_9353 Depth=3
	s_delay_alu instid0(VALU_DEP_2) | instskip(SKIP_2) | instid1(VALU_DEP_2)
	v_cmp_lt_u32_e32 vcc_lo, 0xffffff, v89
	v_sub_nc_u32_e32 v40, v91, v92
	v_cndmask_b32_e64 v91, 0, 1, vcc_lo
	v_add_co_ci_u32_e32 v40, vcc_lo, 0, v40, vcc_lo
	s_delay_alu instid0(VALU_DEP_2)
	v_lshrrev_b32_e32 v89, v91, v89
; %bb.9639:                             ;   in Loop: Header=BB6_9353 Depth=3
	s_and_not1_saveexec_b32 s13, s13
; %bb.9640:                             ;   in Loop: Header=BB6_9353 Depth=3
	s_delay_alu instid0(VALU_DEP_1)
	v_bfe_u32 v40, v89, 23, 1
; %bb.9641:                             ;   in Loop: Header=BB6_9353 Depth=3
	s_or_b32 exec_lo, exec_lo, s13
	v_lshrrev_b32_e32 v89, 20, v89
	s_delay_alu instid0(VALU_DEP_2) | instskip(SKIP_2) | instid1(VALU_DEP_2)
	v_cmp_gt_i32_e32 vcc_lo, 16, v40
	v_lshrrev_b32_e32 v90, 24, v90
	v_min_i32_e32 v91, 15, v40
	v_dual_cndmask_b32 v89, 7, v89 :: v_dual_and_b32 v90, 0x80, v90
	s_delay_alu instid0(VALU_DEP_1) | instskip(SKIP_1) | instid1(VALU_DEP_2)
	v_or_b32_e32 v40, v40, v89
	v_and_b32_e32 v92, 7, v89
	v_cmp_ne_u32_e32 vcc_lo, 0, v40
	v_lshlrev_b32_e32 v91, 3, v91
	s_delay_alu instid0(VALU_DEP_1) | instskip(NEXT) | instid1(VALU_DEP_1)
	v_or3_b32 v89, v91, v90, v92
	v_cndmask_b32_e32 v40, 0, v89, vcc_lo
.LBB6_9642:                             ;   in Loop: Header=BB6_9353 Depth=3
	s_or_b32 exec_lo, exec_lo, s34
.LBB6_9643:                             ;   in Loop: Header=BB6_9353 Depth=3
	s_delay_alu instid0(SALU_CYCLE_1) | instskip(NEXT) | instid1(SALU_CYCLE_1)
	s_or_b32 exec_lo, exec_lo, s31
	s_and_not1_b32 vcc_lo, exec_lo, s17
	s_cbranch_vccnz .LBB6_9653
; %bb.9644:                             ;   in Loop: Header=BB6_9353 Depth=3
	v_and_b32_e32 v90, 0xff, v88
	s_mov_b32 s13, 0
	s_mov_b32 s34, exec_lo
                                        ; implicit-def: $sgpr31
	s_delay_alu instid0(VALU_DEP_1)
	v_cmpx_lt_i16_e32 0x7f, v90
	s_xor_b32 s34, exec_lo, s34
	s_cbranch_execnz .LBB6_10439
; %bb.9645:                             ;   in Loop: Header=BB6_9353 Depth=3
	s_or_saveexec_b32 s34, s34
	v_mov_b32_e32 v89, s31
	s_xor_b32 exec_lo, exec_lo, s34
	s_cbranch_execnz .LBB6_10442
.LBB6_9646:                             ;   in Loop: Header=BB6_9353 Depth=3
	s_or_b32 exec_lo, exec_lo, s34
	s_and_saveexec_b32 s31, s13
	s_cbranch_execz .LBB6_9648
.LBB6_9647:                             ;   in Loop: Header=BB6_9353 Depth=3
	v_lshrrev_b16 v92, 3, v88
	v_lshlrev_b32_e32 v93, 24, v88
	s_delay_alu instid0(VALU_DEP_2) | instskip(NEXT) | instid1(VALU_DEP_1)
	v_and_b32_e32 v92, 15, v92
	v_cmp_eq_u32_e32 vcc_lo, 0, v92
	v_and_b32_e32 v89, 7, v88
	s_delay_alu instid0(VALU_DEP_1) | instskip(NEXT) | instid1(VALU_DEP_1)
	v_clz_i32_u32_e32 v90, v89
	v_min_u32_e32 v90, 32, v90
	s_delay_alu instid0(VALU_DEP_1) | instskip(SKIP_1) | instid1(VALU_DEP_1)
	v_subrev_nc_u32_e32 v91, 28, v90
	v_sub_nc_u32_e32 v90, 29, v90
	v_dual_cndmask_b32 v90, v92, v90 :: v_dual_lshlrev_b32 v91, v91, v88
	s_delay_alu instid0(VALU_DEP_1) | instskip(NEXT) | instid1(VALU_DEP_2)
	v_and_b32_e32 v91, 7, v91
	v_lshl_add_u32 v90, v90, 23, 0x3b800000
	s_delay_alu instid0(VALU_DEP_2) | instskip(SKIP_1) | instid1(VALU_DEP_2)
	v_cndmask_b32_e32 v89, v89, v91, vcc_lo
	v_and_b32_e32 v91, 0x80000000, v93
	v_lshlrev_b32_e32 v89, 20, v89
	s_delay_alu instid0(VALU_DEP_1)
	v_or3_b32 v89, v91, v90, v89
.LBB6_9648:                             ;   in Loop: Header=BB6_9353 Depth=3
	s_or_b32 exec_lo, exec_lo, s31
	s_waitcnt vmcnt(21) lgkmcnt(21)
	v_and_b32_e32 v91, 0xff, v43
	s_mov_b32 s13, 0
	s_mov_b32 s34, exec_lo
                                        ; implicit-def: $sgpr31
	s_delay_alu instid0(VALU_DEP_1)
	v_cmpx_lt_i16_e32 0x7f, v91
	s_xor_b32 s34, exec_lo, s34
	s_cbranch_execnz .LBB6_10443
; %bb.9649:                             ;   in Loop: Header=BB6_9353 Depth=3
	s_or_saveexec_b32 s34, s34
	v_mov_b32_e32 v90, s31
	s_xor_b32 exec_lo, exec_lo, s34
	s_cbranch_execnz .LBB6_10446
.LBB6_9650:                             ;   in Loop: Header=BB6_9353 Depth=3
	s_or_b32 exec_lo, exec_lo, s34
	s_and_saveexec_b32 s31, s13
	s_cbranch_execz .LBB6_9652
.LBB6_9651:                             ;   in Loop: Header=BB6_9353 Depth=3
	v_and_b32_e32 v90, 7, v43
	v_lshrrev_b16 v93, 3, v43
	v_lshlrev_b32_e32 v94, 24, v43
	s_delay_alu instid0(VALU_DEP_3) | instskip(NEXT) | instid1(VALU_DEP_1)
	v_clz_i32_u32_e32 v91, v90
	v_min_u32_e32 v91, 32, v91
	s_delay_alu instid0(VALU_DEP_1) | instskip(SKIP_1) | instid1(VALU_DEP_2)
	v_subrev_nc_u32_e32 v92, 28, v91
	v_sub_nc_u32_e32 v91, 29, v91
	v_lshlrev_b32_e32 v92, v92, v43
	s_delay_alu instid0(VALU_DEP_1) | instskip(SKIP_1) | instid1(VALU_DEP_1)
	v_and_b32_e32 v92, 7, v92
	v_and_b32_e32 v93, 15, v93
	v_cmp_eq_u32_e32 vcc_lo, 0, v93
	s_delay_alu instid0(VALU_DEP_3) | instskip(SKIP_1) | instid1(VALU_DEP_2)
	v_dual_cndmask_b32 v90, v90, v92 :: v_dual_cndmask_b32 v91, v93, v91
	v_and_b32_e32 v92, 0x80000000, v94
	v_lshlrev_b32_e32 v90, 20, v90
	s_delay_alu instid0(VALU_DEP_3) | instskip(NEXT) | instid1(VALU_DEP_1)
	v_lshl_add_u32 v91, v91, 23, 0x3b800000
	v_or3_b32 v90, v92, v91, v90
.LBB6_9652:                             ;   in Loop: Header=BB6_9353 Depth=3
	s_or_b32 exec_lo, exec_lo, s31
	s_delay_alu instid0(VALU_DEP_1) | instskip(SKIP_1) | instid1(VALU_DEP_1)
	v_dual_max_f32 v90, v90, v90 :: v_dual_max_f32 v89, v89, v89
	s_mov_b32 s13, 0
	v_max_f32_e32 v89, v89, v90
	s_branch .LBB6_9654
.LBB6_9653:                             ;   in Loop: Header=BB6_9353 Depth=3
	s_mov_b32 s13, -1
                                        ; implicit-def: $vgpr89
.LBB6_9654:                             ;   in Loop: Header=BB6_9353 Depth=3
	s_delay_alu instid0(SALU_CYCLE_1)
	s_and_b32 vcc_lo, exec_lo, s13
	s_cbranch_vccz .LBB6_9664
; %bb.9655:                             ;   in Loop: Header=BB6_9353 Depth=3
	v_and_b32_e32 v90, 0xff, v88
	s_mov_b32 s13, 0
	s_mov_b32 s34, exec_lo
                                        ; implicit-def: $sgpr31
	s_delay_alu instid0(VALU_DEP_1)
	v_cmpx_lt_i16_e32 0x7f, v90
	s_xor_b32 s34, exec_lo, s34
	s_cbranch_execnz .LBB6_10447
; %bb.9656:                             ;   in Loop: Header=BB6_9353 Depth=3
	s_or_saveexec_b32 s34, s34
	v_mov_b32_e32 v89, s31
	s_xor_b32 exec_lo, exec_lo, s34
	s_cbranch_execnz .LBB6_10450
.LBB6_9657:                             ;   in Loop: Header=BB6_9353 Depth=3
	s_or_b32 exec_lo, exec_lo, s34
	s_and_saveexec_b32 s31, s13
	s_cbranch_execz .LBB6_9659
.LBB6_9658:                             ;   in Loop: Header=BB6_9353 Depth=3
	v_lshrrev_b16 v92, 3, v88
	s_delay_alu instid0(VALU_DEP_1) | instskip(NEXT) | instid1(VALU_DEP_1)
	v_and_b32_e32 v92, 15, v92
	v_cmp_eq_u32_e32 vcc_lo, 0, v92
	v_and_b32_e32 v89, 7, v88
	s_delay_alu instid0(VALU_DEP_1) | instskip(NEXT) | instid1(VALU_DEP_1)
	v_clz_i32_u32_e32 v90, v89
	v_min_u32_e32 v90, 32, v90
	s_delay_alu instid0(VALU_DEP_1) | instskip(SKIP_1) | instid1(VALU_DEP_1)
	v_subrev_nc_u32_e32 v91, 28, v90
	v_sub_nc_u32_e32 v90, 29, v90
	v_dual_cndmask_b32 v90, v92, v90 :: v_dual_lshlrev_b32 v91, v91, v88
	v_lshlrev_b32_e32 v88, 24, v88
	s_delay_alu instid0(VALU_DEP_2) | instskip(NEXT) | instid1(VALU_DEP_3)
	v_and_b32_e32 v91, 7, v91
	v_lshl_add_u32 v90, v90, 23, 0x3b800000
	s_delay_alu instid0(VALU_DEP_2) | instskip(NEXT) | instid1(VALU_DEP_1)
	v_dual_cndmask_b32 v89, v89, v91 :: v_dual_and_b32 v88, 0x80000000, v88
	v_lshlrev_b32_e32 v89, 20, v89
	s_delay_alu instid0(VALU_DEP_1)
	v_or3_b32 v89, v88, v90, v89
.LBB6_9659:                             ;   in Loop: Header=BB6_9353 Depth=3
	s_or_b32 exec_lo, exec_lo, s31
	s_waitcnt vmcnt(21) lgkmcnt(21)
	v_and_b32_e32 v90, 0xff, v43
	s_mov_b32 s13, 0
	s_mov_b32 s34, exec_lo
                                        ; implicit-def: $sgpr31
	s_delay_alu instid0(VALU_DEP_1)
	v_cmpx_lt_i16_e32 0x7f, v90
	s_xor_b32 s34, exec_lo, s34
	s_cbranch_execnz .LBB6_10451
; %bb.9660:                             ;   in Loop: Header=BB6_9353 Depth=3
	s_or_saveexec_b32 s34, s34
	v_mov_b32_e32 v88, s31
	s_xor_b32 exec_lo, exec_lo, s34
	s_cbranch_execnz .LBB6_10454
.LBB6_9661:                             ;   in Loop: Header=BB6_9353 Depth=3
	s_or_b32 exec_lo, exec_lo, s34
	s_and_saveexec_b32 s31, s13
	s_cbranch_execz .LBB6_9663
.LBB6_9662:                             ;   in Loop: Header=BB6_9353 Depth=3
	v_and_b32_e32 v88, 7, v43
	v_lshrrev_b16 v92, 3, v43
	s_delay_alu instid0(VALU_DEP_2) | instskip(NEXT) | instid1(VALU_DEP_2)
	v_clz_i32_u32_e32 v90, v88
	v_and_b32_e32 v92, 15, v92
	s_delay_alu instid0(VALU_DEP_2) | instskip(NEXT) | instid1(VALU_DEP_2)
	v_min_u32_e32 v90, 32, v90
	v_cmp_eq_u32_e32 vcc_lo, 0, v92
	s_delay_alu instid0(VALU_DEP_2) | instskip(SKIP_1) | instid1(VALU_DEP_1)
	v_subrev_nc_u32_e32 v91, 28, v90
	v_sub_nc_u32_e32 v90, 29, v90
	v_dual_cndmask_b32 v90, v92, v90 :: v_dual_lshlrev_b32 v91, v91, v43
	v_lshlrev_b32_e32 v43, 24, v43
	s_delay_alu instid0(VALU_DEP_2) | instskip(NEXT) | instid1(VALU_DEP_3)
	v_and_b32_e32 v91, 7, v91
	v_lshl_add_u32 v90, v90, 23, 0x3b800000
	s_delay_alu instid0(VALU_DEP_3) | instskip(NEXT) | instid1(VALU_DEP_3)
	v_and_b32_e32 v43, 0x80000000, v43
	v_cndmask_b32_e32 v88, v88, v91, vcc_lo
	s_delay_alu instid0(VALU_DEP_1) | instskip(NEXT) | instid1(VALU_DEP_1)
	v_lshlrev_b32_e32 v88, 20, v88
	v_or3_b32 v88, v43, v90, v88
.LBB6_9663:                             ;   in Loop: Header=BB6_9353 Depth=3
	s_or_b32 exec_lo, exec_lo, s31
	s_delay_alu instid0(VALU_DEP_1) | instskip(NEXT) | instid1(VALU_DEP_1)
	v_dual_max_f32 v43, v88, v88 :: v_dual_max_f32 v88, v89, v89
	v_min_f32_e32 v89, v88, v43
.LBB6_9664:                             ;   in Loop: Header=BB6_9353 Depth=3
	s_waitcnt vmcnt(21) lgkmcnt(21)
	s_delay_alu instid0(VALU_DEP_1) | instskip(NEXT) | instid1(VALU_DEP_1)
	v_and_b32_e32 v43, 0x7f800000, v89
	v_cmp_ne_u32_e32 vcc_lo, 0x7f800000, v43
	v_mov_b32_e32 v43, 0x80
	s_and_saveexec_b32 s31, vcc_lo
	s_cbranch_execz .LBB6_9672
; %bb.9665:                             ;   in Loop: Header=BB6_9353 Depth=3
	v_mov_b32_e32 v43, 0
	s_mov_b32 s34, exec_lo
	v_cmpx_ne_u32_e32 0, v89
	s_cbranch_execz .LBB6_9671
; %bb.9666:                             ;   in Loop: Header=BB6_9353 Depth=3
	v_bfe_u32 v43, v89, 23, 8
	v_and_b32_e32 v88, 0x7fffff, v89
	s_delay_alu instid0(VALU_DEP_2) | instskip(SKIP_1) | instid1(VALU_DEP_3)
	v_sub_nc_u32_e32 v90, 0x78, v43
	v_cmp_gt_u32_e32 vcc_lo, 0x79, v43
	v_or_b32_e32 v91, 0x800000, v88
	s_delay_alu instid0(VALU_DEP_3) | instskip(SKIP_2) | instid1(VALU_DEP_3)
	v_cndmask_b32_e32 v90, 0, v90, vcc_lo
	v_cmp_eq_u32_e32 vcc_lo, 0, v43
	v_add_nc_u32_e32 v43, 0xffffff89, v43
	v_cndmask_b32_e64 v90, v90, 0x77, vcc_lo
	v_cndmask_b32_e32 v88, v91, v88, vcc_lo
	s_delay_alu instid0(VALU_DEP_3) | instskip(NEXT) | instid1(VALU_DEP_3)
	v_cndmask_b32_e64 v43, v43, 0xffffff8a, vcc_lo
	v_lshl_add_u32 v91, 0x100000, v90, -1
	s_delay_alu instid0(VALU_DEP_3) | instskip(SKIP_1) | instid1(VALU_DEP_4)
	v_lshrrev_b32_e32 v92, v90, v88
	v_lshlrev_b32_e64 v94, v90, 0x80000
	v_add_nc_u32_e32 v90, v90, v43
	s_delay_alu instid0(VALU_DEP_4) | instskip(NEXT) | instid1(VALU_DEP_4)
	v_and_b32_e32 v88, v91, v88
	v_bfe_u32 v93, v92, 20, 1
	s_delay_alu instid0(VALU_DEP_2) | instskip(NEXT) | instid1(VALU_DEP_2)
	v_cmp_eq_u32_e64 s13, v88, v94
	v_add_nc_u32_e32 v91, -1, v93
	s_delay_alu instid0(VALU_DEP_1) | instskip(SKIP_2) | instid1(VALU_DEP_2)
	v_cndmask_b32_e64 v88, 0, v91, s13
	v_lshrrev_b32_e32 v91, 23, v92
	s_mov_b32 s13, exec_lo
	v_add_nc_u32_e32 v88, v88, v92
	s_delay_alu instid0(VALU_DEP_2) | instskip(NEXT) | instid1(VALU_DEP_2)
	v_xor_b32_e32 v91, 1, v91
	v_and_b32_e32 v43, 0xfffff, v88
	s_delay_alu instid0(VALU_DEP_1) | instskip(NEXT) | instid1(VALU_DEP_3)
	v_add_nc_u32_e32 v88, v43, v92
                                        ; implicit-def: $vgpr43
	v_cmpx_ne_u32_e64 v90, v91
	s_xor_b32 s13, exec_lo, s13
; %bb.9667:                             ;   in Loop: Header=BB6_9353 Depth=3
	s_delay_alu instid0(VALU_DEP_2) | instskip(SKIP_2) | instid1(VALU_DEP_2)
	v_cmp_lt_u32_e32 vcc_lo, 0xffffff, v88
	v_sub_nc_u32_e32 v43, v90, v91
	v_cndmask_b32_e64 v90, 0, 1, vcc_lo
	v_add_co_ci_u32_e32 v43, vcc_lo, 0, v43, vcc_lo
	s_delay_alu instid0(VALU_DEP_2)
	v_lshrrev_b32_e32 v88, v90, v88
; %bb.9668:                             ;   in Loop: Header=BB6_9353 Depth=3
	s_and_not1_saveexec_b32 s13, s13
; %bb.9669:                             ;   in Loop: Header=BB6_9353 Depth=3
	s_delay_alu instid0(VALU_DEP_1)
	v_bfe_u32 v43, v88, 23, 1
; %bb.9670:                             ;   in Loop: Header=BB6_9353 Depth=3
	s_or_b32 exec_lo, exec_lo, s13
	v_lshrrev_b32_e32 v88, 20, v88
	s_delay_alu instid0(VALU_DEP_2) | instskip(SKIP_2) | instid1(VALU_DEP_2)
	v_cmp_gt_i32_e32 vcc_lo, 16, v43
	v_lshrrev_b32_e32 v89, 24, v89
	v_min_i32_e32 v90, 15, v43
	v_dual_cndmask_b32 v88, 7, v88 :: v_dual_and_b32 v89, 0x80, v89
	s_delay_alu instid0(VALU_DEP_1) | instskip(SKIP_1) | instid1(VALU_DEP_2)
	v_or_b32_e32 v43, v43, v88
	v_and_b32_e32 v91, 7, v88
	v_cmp_ne_u32_e32 vcc_lo, 0, v43
	v_lshlrev_b32_e32 v90, 3, v90
	s_delay_alu instid0(VALU_DEP_1) | instskip(NEXT) | instid1(VALU_DEP_1)
	v_or3_b32 v88, v90, v89, v91
	v_cndmask_b32_e32 v43, 0, v88, vcc_lo
.LBB6_9671:                             ;   in Loop: Header=BB6_9353 Depth=3
	s_or_b32 exec_lo, exec_lo, s34
.LBB6_9672:                             ;   in Loop: Header=BB6_9353 Depth=3
	s_delay_alu instid0(SALU_CYCLE_1) | instskip(NEXT) | instid1(SALU_CYCLE_1)
	s_or_b32 exec_lo, exec_lo, s31
	s_and_not1_b32 vcc_lo, exec_lo, s17
	s_cbranch_vccnz .LBB6_9682
; %bb.9673:                             ;   in Loop: Header=BB6_9353 Depth=3
	v_and_b32_e32 v89, 0xff, v79
	s_mov_b32 s13, 0
	s_mov_b32 s34, exec_lo
                                        ; implicit-def: $sgpr31
	s_delay_alu instid0(VALU_DEP_1)
	v_cmpx_lt_i16_e32 0x7f, v89
	s_xor_b32 s34, exec_lo, s34
	s_cbranch_execnz .LBB6_10455
; %bb.9674:                             ;   in Loop: Header=BB6_9353 Depth=3
	s_or_saveexec_b32 s34, s34
	v_mov_b32_e32 v88, s31
	s_xor_b32 exec_lo, exec_lo, s34
	s_cbranch_execnz .LBB6_10458
.LBB6_9675:                             ;   in Loop: Header=BB6_9353 Depth=3
	s_or_b32 exec_lo, exec_lo, s34
	s_and_saveexec_b32 s31, s13
	s_cbranch_execz .LBB6_9677
.LBB6_9676:                             ;   in Loop: Header=BB6_9353 Depth=3
	v_lshrrev_b16 v91, 3, v79
	v_lshlrev_b32_e32 v92, 24, v79
	s_delay_alu instid0(VALU_DEP_2) | instskip(NEXT) | instid1(VALU_DEP_1)
	v_and_b32_e32 v91, 15, v91
	v_cmp_eq_u32_e32 vcc_lo, 0, v91
	v_and_b32_e32 v88, 7, v79
	s_delay_alu instid0(VALU_DEP_1) | instskip(NEXT) | instid1(VALU_DEP_1)
	v_clz_i32_u32_e32 v89, v88
	v_min_u32_e32 v89, 32, v89
	s_delay_alu instid0(VALU_DEP_1) | instskip(SKIP_1) | instid1(VALU_DEP_1)
	v_subrev_nc_u32_e32 v90, 28, v89
	v_sub_nc_u32_e32 v89, 29, v89
	v_dual_cndmask_b32 v89, v91, v89 :: v_dual_lshlrev_b32 v90, v90, v79
	s_delay_alu instid0(VALU_DEP_1) | instskip(NEXT) | instid1(VALU_DEP_2)
	v_and_b32_e32 v90, 7, v90
	v_lshl_add_u32 v89, v89, 23, 0x3b800000
	s_delay_alu instid0(VALU_DEP_2) | instskip(SKIP_1) | instid1(VALU_DEP_2)
	v_cndmask_b32_e32 v88, v88, v90, vcc_lo
	v_and_b32_e32 v90, 0x80000000, v92
	v_lshlrev_b32_e32 v88, 20, v88
	s_delay_alu instid0(VALU_DEP_1)
	v_or3_b32 v88, v90, v89, v88
.LBB6_9677:                             ;   in Loop: Header=BB6_9353 Depth=3
	s_or_b32 exec_lo, exec_lo, s31
	s_waitcnt vmcnt(20) lgkmcnt(20)
	v_and_b32_e32 v90, 0xff, v46
	s_mov_b32 s13, 0
	s_mov_b32 s34, exec_lo
                                        ; implicit-def: $sgpr31
	s_delay_alu instid0(VALU_DEP_1)
	v_cmpx_lt_i16_e32 0x7f, v90
	s_xor_b32 s34, exec_lo, s34
	s_cbranch_execnz .LBB6_10459
; %bb.9678:                             ;   in Loop: Header=BB6_9353 Depth=3
	s_or_saveexec_b32 s34, s34
	v_mov_b32_e32 v89, s31
	s_xor_b32 exec_lo, exec_lo, s34
	s_cbranch_execnz .LBB6_10462
.LBB6_9679:                             ;   in Loop: Header=BB6_9353 Depth=3
	s_or_b32 exec_lo, exec_lo, s34
	s_and_saveexec_b32 s31, s13
	s_cbranch_execz .LBB6_9681
.LBB6_9680:                             ;   in Loop: Header=BB6_9353 Depth=3
	v_and_b32_e32 v89, 7, v46
	v_lshrrev_b16 v92, 3, v46
	v_lshlrev_b32_e32 v93, 24, v46
	s_delay_alu instid0(VALU_DEP_3) | instskip(NEXT) | instid1(VALU_DEP_1)
	v_clz_i32_u32_e32 v90, v89
	v_min_u32_e32 v90, 32, v90
	s_delay_alu instid0(VALU_DEP_1) | instskip(SKIP_1) | instid1(VALU_DEP_2)
	v_subrev_nc_u32_e32 v91, 28, v90
	v_sub_nc_u32_e32 v90, 29, v90
	v_lshlrev_b32_e32 v91, v91, v46
	s_delay_alu instid0(VALU_DEP_1) | instskip(SKIP_1) | instid1(VALU_DEP_1)
	v_and_b32_e32 v91, 7, v91
	v_and_b32_e32 v92, 15, v92
	v_cmp_eq_u32_e32 vcc_lo, 0, v92
	s_delay_alu instid0(VALU_DEP_3) | instskip(SKIP_1) | instid1(VALU_DEP_2)
	v_dual_cndmask_b32 v89, v89, v91 :: v_dual_cndmask_b32 v90, v92, v90
	v_and_b32_e32 v91, 0x80000000, v93
	v_lshlrev_b32_e32 v89, 20, v89
	s_delay_alu instid0(VALU_DEP_3) | instskip(NEXT) | instid1(VALU_DEP_1)
	v_lshl_add_u32 v90, v90, 23, 0x3b800000
	v_or3_b32 v89, v91, v90, v89
.LBB6_9681:                             ;   in Loop: Header=BB6_9353 Depth=3
	s_or_b32 exec_lo, exec_lo, s31
	s_delay_alu instid0(VALU_DEP_1) | instskip(SKIP_1) | instid1(VALU_DEP_1)
	v_dual_max_f32 v89, v89, v89 :: v_dual_max_f32 v88, v88, v88
	s_mov_b32 s13, 0
	v_max_f32_e32 v88, v88, v89
	s_branch .LBB6_9683
.LBB6_9682:                             ;   in Loop: Header=BB6_9353 Depth=3
	s_mov_b32 s13, -1
                                        ; implicit-def: $vgpr88
.LBB6_9683:                             ;   in Loop: Header=BB6_9353 Depth=3
	s_delay_alu instid0(SALU_CYCLE_1)
	s_and_b32 vcc_lo, exec_lo, s13
	s_cbranch_vccz .LBB6_9693
; %bb.9684:                             ;   in Loop: Header=BB6_9353 Depth=3
	v_and_b32_e32 v89, 0xff, v79
	s_mov_b32 s13, 0
	s_mov_b32 s34, exec_lo
                                        ; implicit-def: $sgpr31
	s_delay_alu instid0(VALU_DEP_1)
	v_cmpx_lt_i16_e32 0x7f, v89
	s_xor_b32 s34, exec_lo, s34
	s_cbranch_execnz .LBB6_10463
; %bb.9685:                             ;   in Loop: Header=BB6_9353 Depth=3
	s_or_saveexec_b32 s34, s34
	v_mov_b32_e32 v88, s31
	s_xor_b32 exec_lo, exec_lo, s34
	s_cbranch_execnz .LBB6_10466
.LBB6_9686:                             ;   in Loop: Header=BB6_9353 Depth=3
	s_or_b32 exec_lo, exec_lo, s34
	s_and_saveexec_b32 s31, s13
	s_cbranch_execz .LBB6_9688
.LBB6_9687:                             ;   in Loop: Header=BB6_9353 Depth=3
	v_lshrrev_b16 v91, 3, v79
	s_delay_alu instid0(VALU_DEP_1) | instskip(NEXT) | instid1(VALU_DEP_1)
	v_and_b32_e32 v91, 15, v91
	v_cmp_eq_u32_e32 vcc_lo, 0, v91
	v_and_b32_e32 v88, 7, v79
	s_delay_alu instid0(VALU_DEP_1) | instskip(NEXT) | instid1(VALU_DEP_1)
	v_clz_i32_u32_e32 v89, v88
	v_min_u32_e32 v89, 32, v89
	s_delay_alu instid0(VALU_DEP_1) | instskip(SKIP_1) | instid1(VALU_DEP_1)
	v_subrev_nc_u32_e32 v90, 28, v89
	v_sub_nc_u32_e32 v89, 29, v89
	v_dual_cndmask_b32 v89, v91, v89 :: v_dual_lshlrev_b32 v90, v90, v79
	v_lshlrev_b32_e32 v79, 24, v79
	s_delay_alu instid0(VALU_DEP_2) | instskip(NEXT) | instid1(VALU_DEP_3)
	v_and_b32_e32 v90, 7, v90
	v_lshl_add_u32 v89, v89, 23, 0x3b800000
	s_delay_alu instid0(VALU_DEP_2) | instskip(NEXT) | instid1(VALU_DEP_1)
	v_dual_cndmask_b32 v88, v88, v90 :: v_dual_and_b32 v79, 0x80000000, v79
	v_lshlrev_b32_e32 v88, 20, v88
	s_delay_alu instid0(VALU_DEP_1)
	v_or3_b32 v88, v79, v89, v88
.LBB6_9688:                             ;   in Loop: Header=BB6_9353 Depth=3
	s_or_b32 exec_lo, exec_lo, s31
	s_waitcnt vmcnt(20) lgkmcnt(20)
	v_and_b32_e32 v89, 0xff, v46
	s_mov_b32 s13, 0
	s_mov_b32 s34, exec_lo
                                        ; implicit-def: $sgpr31
	s_delay_alu instid0(VALU_DEP_1)
	v_cmpx_lt_i16_e32 0x7f, v89
	s_xor_b32 s34, exec_lo, s34
	s_cbranch_execnz .LBB6_10467
; %bb.9689:                             ;   in Loop: Header=BB6_9353 Depth=3
	s_or_saveexec_b32 s34, s34
	v_mov_b32_e32 v79, s31
	s_xor_b32 exec_lo, exec_lo, s34
	s_cbranch_execnz .LBB6_10470
.LBB6_9690:                             ;   in Loop: Header=BB6_9353 Depth=3
	s_or_b32 exec_lo, exec_lo, s34
	s_and_saveexec_b32 s31, s13
	s_cbranch_execz .LBB6_9692
.LBB6_9691:                             ;   in Loop: Header=BB6_9353 Depth=3
	v_and_b32_e32 v79, 7, v46
	v_lshrrev_b16 v91, 3, v46
	s_delay_alu instid0(VALU_DEP_2) | instskip(NEXT) | instid1(VALU_DEP_2)
	v_clz_i32_u32_e32 v89, v79
	v_and_b32_e32 v91, 15, v91
	s_delay_alu instid0(VALU_DEP_2) | instskip(NEXT) | instid1(VALU_DEP_2)
	v_min_u32_e32 v89, 32, v89
	v_cmp_eq_u32_e32 vcc_lo, 0, v91
	s_delay_alu instid0(VALU_DEP_2) | instskip(SKIP_1) | instid1(VALU_DEP_1)
	v_subrev_nc_u32_e32 v90, 28, v89
	v_sub_nc_u32_e32 v89, 29, v89
	v_dual_cndmask_b32 v89, v91, v89 :: v_dual_lshlrev_b32 v90, v90, v46
	v_lshlrev_b32_e32 v46, 24, v46
	s_delay_alu instid0(VALU_DEP_2) | instskip(NEXT) | instid1(VALU_DEP_3)
	v_and_b32_e32 v90, 7, v90
	v_lshl_add_u32 v89, v89, 23, 0x3b800000
	s_delay_alu instid0(VALU_DEP_3) | instskip(NEXT) | instid1(VALU_DEP_3)
	v_and_b32_e32 v46, 0x80000000, v46
	v_cndmask_b32_e32 v79, v79, v90, vcc_lo
	s_delay_alu instid0(VALU_DEP_1) | instskip(NEXT) | instid1(VALU_DEP_1)
	v_lshlrev_b32_e32 v79, 20, v79
	v_or3_b32 v79, v46, v89, v79
.LBB6_9692:                             ;   in Loop: Header=BB6_9353 Depth=3
	s_or_b32 exec_lo, exec_lo, s31
	s_delay_alu instid0(VALU_DEP_1) | instskip(NEXT) | instid1(VALU_DEP_1)
	v_dual_max_f32 v46, v79, v79 :: v_dual_max_f32 v79, v88, v88
	v_min_f32_e32 v88, v79, v46
.LBB6_9693:                             ;   in Loop: Header=BB6_9353 Depth=3
	s_waitcnt vmcnt(20) lgkmcnt(20)
	s_delay_alu instid0(VALU_DEP_1) | instskip(NEXT) | instid1(VALU_DEP_1)
	v_and_b32_e32 v46, 0x7f800000, v88
	v_cmp_ne_u32_e32 vcc_lo, 0x7f800000, v46
	v_mov_b32_e32 v46, 0x80
	s_and_saveexec_b32 s31, vcc_lo
	s_cbranch_execz .LBB6_9701
; %bb.9694:                             ;   in Loop: Header=BB6_9353 Depth=3
	v_mov_b32_e32 v46, 0
	s_mov_b32 s34, exec_lo
	v_cmpx_ne_u32_e32 0, v88
	s_cbranch_execz .LBB6_9700
; %bb.9695:                             ;   in Loop: Header=BB6_9353 Depth=3
	v_bfe_u32 v46, v88, 23, 8
	v_and_b32_e32 v79, 0x7fffff, v88
	s_delay_alu instid0(VALU_DEP_2) | instskip(SKIP_1) | instid1(VALU_DEP_3)
	v_sub_nc_u32_e32 v89, 0x78, v46
	v_cmp_gt_u32_e32 vcc_lo, 0x79, v46
	v_or_b32_e32 v90, 0x800000, v79
	s_delay_alu instid0(VALU_DEP_3) | instskip(SKIP_2) | instid1(VALU_DEP_3)
	v_cndmask_b32_e32 v89, 0, v89, vcc_lo
	v_cmp_eq_u32_e32 vcc_lo, 0, v46
	v_add_nc_u32_e32 v46, 0xffffff89, v46
	v_cndmask_b32_e64 v89, v89, 0x77, vcc_lo
	v_cndmask_b32_e32 v79, v90, v79, vcc_lo
	s_delay_alu instid0(VALU_DEP_3) | instskip(NEXT) | instid1(VALU_DEP_3)
	v_cndmask_b32_e64 v46, v46, 0xffffff8a, vcc_lo
	v_lshl_add_u32 v90, 0x100000, v89, -1
	s_delay_alu instid0(VALU_DEP_3) | instskip(SKIP_1) | instid1(VALU_DEP_4)
	v_lshrrev_b32_e32 v91, v89, v79
	v_lshlrev_b32_e64 v93, v89, 0x80000
	v_add_nc_u32_e32 v89, v89, v46
	s_delay_alu instid0(VALU_DEP_4) | instskip(NEXT) | instid1(VALU_DEP_4)
	v_and_b32_e32 v79, v90, v79
	v_bfe_u32 v92, v91, 20, 1
	s_delay_alu instid0(VALU_DEP_2) | instskip(NEXT) | instid1(VALU_DEP_2)
	v_cmp_eq_u32_e64 s13, v79, v93
	v_add_nc_u32_e32 v90, -1, v92
	s_delay_alu instid0(VALU_DEP_1) | instskip(SKIP_2) | instid1(VALU_DEP_2)
	v_cndmask_b32_e64 v79, 0, v90, s13
	v_lshrrev_b32_e32 v90, 23, v91
	s_mov_b32 s13, exec_lo
	v_add_nc_u32_e32 v79, v79, v91
	s_delay_alu instid0(VALU_DEP_2) | instskip(NEXT) | instid1(VALU_DEP_2)
	v_xor_b32_e32 v90, 1, v90
	v_and_b32_e32 v46, 0xfffff, v79
	s_delay_alu instid0(VALU_DEP_1) | instskip(NEXT) | instid1(VALU_DEP_3)
	v_add_nc_u32_e32 v79, v46, v91
                                        ; implicit-def: $vgpr46
	v_cmpx_ne_u32_e64 v89, v90
	s_xor_b32 s13, exec_lo, s13
; %bb.9696:                             ;   in Loop: Header=BB6_9353 Depth=3
	s_delay_alu instid0(VALU_DEP_2) | instskip(SKIP_2) | instid1(VALU_DEP_2)
	v_cmp_lt_u32_e32 vcc_lo, 0xffffff, v79
	v_sub_nc_u32_e32 v46, v89, v90
	v_cndmask_b32_e64 v89, 0, 1, vcc_lo
	v_add_co_ci_u32_e32 v46, vcc_lo, 0, v46, vcc_lo
	s_delay_alu instid0(VALU_DEP_2)
	v_lshrrev_b32_e32 v79, v89, v79
; %bb.9697:                             ;   in Loop: Header=BB6_9353 Depth=3
	s_and_not1_saveexec_b32 s13, s13
; %bb.9698:                             ;   in Loop: Header=BB6_9353 Depth=3
	s_delay_alu instid0(VALU_DEP_1)
	v_bfe_u32 v46, v79, 23, 1
; %bb.9699:                             ;   in Loop: Header=BB6_9353 Depth=3
	s_or_b32 exec_lo, exec_lo, s13
	v_lshrrev_b32_e32 v79, 20, v79
	s_delay_alu instid0(VALU_DEP_2) | instskip(SKIP_2) | instid1(VALU_DEP_2)
	v_cmp_gt_i32_e32 vcc_lo, 16, v46
	v_lshrrev_b32_e32 v88, 24, v88
	v_min_i32_e32 v89, 15, v46
	v_dual_cndmask_b32 v79, 7, v79 :: v_dual_and_b32 v88, 0x80, v88
	s_delay_alu instid0(VALU_DEP_1) | instskip(SKIP_1) | instid1(VALU_DEP_2)
	v_or_b32_e32 v46, v46, v79
	v_and_b32_e32 v90, 7, v79
	v_cmp_ne_u32_e32 vcc_lo, 0, v46
	v_lshlrev_b32_e32 v89, 3, v89
	s_delay_alu instid0(VALU_DEP_1) | instskip(NEXT) | instid1(VALU_DEP_1)
	v_or3_b32 v79, v89, v88, v90
	v_cndmask_b32_e32 v46, 0, v79, vcc_lo
.LBB6_9700:                             ;   in Loop: Header=BB6_9353 Depth=3
	s_or_b32 exec_lo, exec_lo, s34
.LBB6_9701:                             ;   in Loop: Header=BB6_9353 Depth=3
	s_delay_alu instid0(SALU_CYCLE_1) | instskip(NEXT) | instid1(SALU_CYCLE_1)
	s_or_b32 exec_lo, exec_lo, s31
	s_and_not1_b32 vcc_lo, exec_lo, s17
	s_cbranch_vccnz .LBB6_9711
; %bb.9702:                             ;   in Loop: Header=BB6_9353 Depth=3
	v_and_b32_e32 v88, 0xff, v78
	s_mov_b32 s13, 0
	s_mov_b32 s34, exec_lo
                                        ; implicit-def: $sgpr31
	s_delay_alu instid0(VALU_DEP_1)
	v_cmpx_lt_i16_e32 0x7f, v88
	s_xor_b32 s34, exec_lo, s34
	s_cbranch_execnz .LBB6_10471
; %bb.9703:                             ;   in Loop: Header=BB6_9353 Depth=3
	s_or_saveexec_b32 s34, s34
	v_mov_b32_e32 v79, s31
	s_xor_b32 exec_lo, exec_lo, s34
	s_cbranch_execnz .LBB6_10474
.LBB6_9704:                             ;   in Loop: Header=BB6_9353 Depth=3
	s_or_b32 exec_lo, exec_lo, s34
	s_and_saveexec_b32 s31, s13
	s_cbranch_execz .LBB6_9706
.LBB6_9705:                             ;   in Loop: Header=BB6_9353 Depth=3
	v_lshrrev_b16 v90, 3, v78
	v_lshlrev_b32_e32 v91, 24, v78
	s_delay_alu instid0(VALU_DEP_2) | instskip(NEXT) | instid1(VALU_DEP_1)
	v_and_b32_e32 v90, 15, v90
	v_cmp_eq_u32_e32 vcc_lo, 0, v90
	v_and_b32_e32 v79, 7, v78
	s_delay_alu instid0(VALU_DEP_1) | instskip(NEXT) | instid1(VALU_DEP_1)
	v_clz_i32_u32_e32 v88, v79
	v_min_u32_e32 v88, 32, v88
	s_delay_alu instid0(VALU_DEP_1) | instskip(SKIP_1) | instid1(VALU_DEP_1)
	v_subrev_nc_u32_e32 v89, 28, v88
	v_sub_nc_u32_e32 v88, 29, v88
	v_dual_cndmask_b32 v88, v90, v88 :: v_dual_lshlrev_b32 v89, v89, v78
	s_delay_alu instid0(VALU_DEP_1) | instskip(NEXT) | instid1(VALU_DEP_2)
	v_and_b32_e32 v89, 7, v89
	v_lshl_add_u32 v88, v88, 23, 0x3b800000
	s_delay_alu instid0(VALU_DEP_2) | instskip(SKIP_1) | instid1(VALU_DEP_2)
	v_cndmask_b32_e32 v79, v79, v89, vcc_lo
	v_and_b32_e32 v89, 0x80000000, v91
	v_lshlrev_b32_e32 v79, 20, v79
	s_delay_alu instid0(VALU_DEP_1)
	v_or3_b32 v79, v89, v88, v79
.LBB6_9706:                             ;   in Loop: Header=BB6_9353 Depth=3
	s_or_b32 exec_lo, exec_lo, s31
	s_waitcnt vmcnt(19) lgkmcnt(19)
	v_and_b32_e32 v89, 0xff, v57
	s_mov_b32 s13, 0
	s_mov_b32 s34, exec_lo
                                        ; implicit-def: $sgpr31
	s_delay_alu instid0(VALU_DEP_1)
	v_cmpx_lt_i16_e32 0x7f, v89
	s_xor_b32 s34, exec_lo, s34
	s_cbranch_execnz .LBB6_10475
; %bb.9707:                             ;   in Loop: Header=BB6_9353 Depth=3
	s_or_saveexec_b32 s34, s34
	v_mov_b32_e32 v88, s31
	s_xor_b32 exec_lo, exec_lo, s34
	s_cbranch_execnz .LBB6_10478
.LBB6_9708:                             ;   in Loop: Header=BB6_9353 Depth=3
	s_or_b32 exec_lo, exec_lo, s34
	s_and_saveexec_b32 s31, s13
	s_cbranch_execz .LBB6_9710
.LBB6_9709:                             ;   in Loop: Header=BB6_9353 Depth=3
	v_and_b32_e32 v88, 7, v57
	v_lshrrev_b16 v91, 3, v57
	v_lshlrev_b32_e32 v92, 24, v57
	s_delay_alu instid0(VALU_DEP_3) | instskip(NEXT) | instid1(VALU_DEP_1)
	v_clz_i32_u32_e32 v89, v88
	v_min_u32_e32 v89, 32, v89
	s_delay_alu instid0(VALU_DEP_1) | instskip(SKIP_1) | instid1(VALU_DEP_2)
	v_subrev_nc_u32_e32 v90, 28, v89
	v_sub_nc_u32_e32 v89, 29, v89
	v_lshlrev_b32_e32 v90, v90, v57
	s_delay_alu instid0(VALU_DEP_1) | instskip(SKIP_1) | instid1(VALU_DEP_1)
	v_and_b32_e32 v90, 7, v90
	v_and_b32_e32 v91, 15, v91
	v_cmp_eq_u32_e32 vcc_lo, 0, v91
	s_delay_alu instid0(VALU_DEP_3) | instskip(SKIP_1) | instid1(VALU_DEP_2)
	v_dual_cndmask_b32 v88, v88, v90 :: v_dual_cndmask_b32 v89, v91, v89
	v_and_b32_e32 v90, 0x80000000, v92
	v_lshlrev_b32_e32 v88, 20, v88
	s_delay_alu instid0(VALU_DEP_3) | instskip(NEXT) | instid1(VALU_DEP_1)
	v_lshl_add_u32 v89, v89, 23, 0x3b800000
	v_or3_b32 v88, v90, v89, v88
.LBB6_9710:                             ;   in Loop: Header=BB6_9353 Depth=3
	s_or_b32 exec_lo, exec_lo, s31
	s_delay_alu instid0(VALU_DEP_1) | instskip(SKIP_1) | instid1(VALU_DEP_1)
	v_dual_max_f32 v88, v88, v88 :: v_dual_max_f32 v79, v79, v79
	s_mov_b32 s13, 0
	v_max_f32_e32 v79, v79, v88
	s_branch .LBB6_9712
.LBB6_9711:                             ;   in Loop: Header=BB6_9353 Depth=3
	s_mov_b32 s13, -1
                                        ; implicit-def: $vgpr79
.LBB6_9712:                             ;   in Loop: Header=BB6_9353 Depth=3
	s_delay_alu instid0(SALU_CYCLE_1)
	s_and_b32 vcc_lo, exec_lo, s13
	s_cbranch_vccz .LBB6_9722
; %bb.9713:                             ;   in Loop: Header=BB6_9353 Depth=3
	v_and_b32_e32 v88, 0xff, v78
	s_mov_b32 s13, 0
	s_mov_b32 s34, exec_lo
                                        ; implicit-def: $sgpr31
	s_delay_alu instid0(VALU_DEP_1)
	v_cmpx_lt_i16_e32 0x7f, v88
	s_xor_b32 s34, exec_lo, s34
	s_cbranch_execnz .LBB6_10479
; %bb.9714:                             ;   in Loop: Header=BB6_9353 Depth=3
	s_or_saveexec_b32 s34, s34
	v_mov_b32_e32 v79, s31
	s_xor_b32 exec_lo, exec_lo, s34
	s_cbranch_execnz .LBB6_10482
.LBB6_9715:                             ;   in Loop: Header=BB6_9353 Depth=3
	s_or_b32 exec_lo, exec_lo, s34
	s_and_saveexec_b32 s31, s13
	s_cbranch_execz .LBB6_9717
.LBB6_9716:                             ;   in Loop: Header=BB6_9353 Depth=3
	v_lshrrev_b16 v90, 3, v78
	s_delay_alu instid0(VALU_DEP_1) | instskip(NEXT) | instid1(VALU_DEP_1)
	v_and_b32_e32 v90, 15, v90
	v_cmp_eq_u32_e32 vcc_lo, 0, v90
	v_and_b32_e32 v79, 7, v78
	s_delay_alu instid0(VALU_DEP_1) | instskip(NEXT) | instid1(VALU_DEP_1)
	v_clz_i32_u32_e32 v88, v79
	v_min_u32_e32 v88, 32, v88
	s_delay_alu instid0(VALU_DEP_1) | instskip(SKIP_1) | instid1(VALU_DEP_1)
	v_subrev_nc_u32_e32 v89, 28, v88
	v_sub_nc_u32_e32 v88, 29, v88
	v_dual_cndmask_b32 v88, v90, v88 :: v_dual_lshlrev_b32 v89, v89, v78
	v_lshlrev_b32_e32 v78, 24, v78
	s_delay_alu instid0(VALU_DEP_2) | instskip(NEXT) | instid1(VALU_DEP_3)
	v_and_b32_e32 v89, 7, v89
	v_lshl_add_u32 v88, v88, 23, 0x3b800000
	s_delay_alu instid0(VALU_DEP_2) | instskip(NEXT) | instid1(VALU_DEP_1)
	v_dual_cndmask_b32 v79, v79, v89 :: v_dual_and_b32 v78, 0x80000000, v78
	v_lshlrev_b32_e32 v79, 20, v79
	s_delay_alu instid0(VALU_DEP_1)
	v_or3_b32 v79, v78, v88, v79
.LBB6_9717:                             ;   in Loop: Header=BB6_9353 Depth=3
	s_or_b32 exec_lo, exec_lo, s31
	s_waitcnt vmcnt(19) lgkmcnt(19)
	v_and_b32_e32 v88, 0xff, v57
	s_mov_b32 s13, 0
	s_mov_b32 s34, exec_lo
                                        ; implicit-def: $sgpr31
	s_delay_alu instid0(VALU_DEP_1)
	v_cmpx_lt_i16_e32 0x7f, v88
	s_xor_b32 s34, exec_lo, s34
	s_cbranch_execnz .LBB6_10483
; %bb.9718:                             ;   in Loop: Header=BB6_9353 Depth=3
	s_or_saveexec_b32 s34, s34
	v_mov_b32_e32 v78, s31
	s_xor_b32 exec_lo, exec_lo, s34
	s_cbranch_execnz .LBB6_10486
.LBB6_9719:                             ;   in Loop: Header=BB6_9353 Depth=3
	s_or_b32 exec_lo, exec_lo, s34
	s_and_saveexec_b32 s31, s13
	s_cbranch_execz .LBB6_9721
.LBB6_9720:                             ;   in Loop: Header=BB6_9353 Depth=3
	v_and_b32_e32 v78, 7, v57
	v_lshrrev_b16 v90, 3, v57
	s_delay_alu instid0(VALU_DEP_2) | instskip(NEXT) | instid1(VALU_DEP_2)
	v_clz_i32_u32_e32 v88, v78
	v_and_b32_e32 v90, 15, v90
	s_delay_alu instid0(VALU_DEP_2) | instskip(NEXT) | instid1(VALU_DEP_2)
	v_min_u32_e32 v88, 32, v88
	v_cmp_eq_u32_e32 vcc_lo, 0, v90
	s_delay_alu instid0(VALU_DEP_2) | instskip(SKIP_1) | instid1(VALU_DEP_1)
	v_subrev_nc_u32_e32 v89, 28, v88
	v_sub_nc_u32_e32 v88, 29, v88
	v_dual_cndmask_b32 v88, v90, v88 :: v_dual_lshlrev_b32 v89, v89, v57
	v_lshlrev_b32_e32 v57, 24, v57
	s_delay_alu instid0(VALU_DEP_2) | instskip(NEXT) | instid1(VALU_DEP_3)
	v_and_b32_e32 v89, 7, v89
	v_lshl_add_u32 v88, v88, 23, 0x3b800000
	s_delay_alu instid0(VALU_DEP_3) | instskip(NEXT) | instid1(VALU_DEP_3)
	v_and_b32_e32 v57, 0x80000000, v57
	v_cndmask_b32_e32 v78, v78, v89, vcc_lo
	s_delay_alu instid0(VALU_DEP_1) | instskip(NEXT) | instid1(VALU_DEP_1)
	v_lshlrev_b32_e32 v78, 20, v78
	v_or3_b32 v78, v57, v88, v78
.LBB6_9721:                             ;   in Loop: Header=BB6_9353 Depth=3
	s_or_b32 exec_lo, exec_lo, s31
	s_delay_alu instid0(VALU_DEP_1) | instskip(NEXT) | instid1(VALU_DEP_1)
	v_dual_max_f32 v57, v78, v78 :: v_dual_max_f32 v78, v79, v79
	v_min_f32_e32 v79, v78, v57
.LBB6_9722:                             ;   in Loop: Header=BB6_9353 Depth=3
	s_waitcnt vmcnt(19) lgkmcnt(19)
	s_delay_alu instid0(VALU_DEP_1) | instskip(NEXT) | instid1(VALU_DEP_1)
	v_and_b32_e32 v57, 0x7f800000, v79
	v_cmp_ne_u32_e32 vcc_lo, 0x7f800000, v57
	v_mov_b32_e32 v57, 0x80
	s_and_saveexec_b32 s31, vcc_lo
	s_cbranch_execz .LBB6_9730
; %bb.9723:                             ;   in Loop: Header=BB6_9353 Depth=3
	v_mov_b32_e32 v57, 0
	s_mov_b32 s34, exec_lo
	v_cmpx_ne_u32_e32 0, v79
	s_cbranch_execz .LBB6_9729
; %bb.9724:                             ;   in Loop: Header=BB6_9353 Depth=3
	v_bfe_u32 v57, v79, 23, 8
	v_and_b32_e32 v78, 0x7fffff, v79
	s_delay_alu instid0(VALU_DEP_2) | instskip(SKIP_1) | instid1(VALU_DEP_3)
	v_sub_nc_u32_e32 v88, 0x78, v57
	v_cmp_gt_u32_e32 vcc_lo, 0x79, v57
	v_or_b32_e32 v89, 0x800000, v78
	s_delay_alu instid0(VALU_DEP_3) | instskip(SKIP_2) | instid1(VALU_DEP_3)
	v_cndmask_b32_e32 v88, 0, v88, vcc_lo
	v_cmp_eq_u32_e32 vcc_lo, 0, v57
	v_add_nc_u32_e32 v57, 0xffffff89, v57
	v_cndmask_b32_e64 v88, v88, 0x77, vcc_lo
	v_cndmask_b32_e32 v78, v89, v78, vcc_lo
	s_delay_alu instid0(VALU_DEP_3) | instskip(NEXT) | instid1(VALU_DEP_3)
	v_cndmask_b32_e64 v57, v57, 0xffffff8a, vcc_lo
	v_lshl_add_u32 v89, 0x100000, v88, -1
	s_delay_alu instid0(VALU_DEP_3) | instskip(SKIP_1) | instid1(VALU_DEP_4)
	v_lshrrev_b32_e32 v90, v88, v78
	v_lshlrev_b32_e64 v92, v88, 0x80000
	v_add_nc_u32_e32 v88, v88, v57
	s_delay_alu instid0(VALU_DEP_4) | instskip(NEXT) | instid1(VALU_DEP_4)
	v_and_b32_e32 v78, v89, v78
	v_bfe_u32 v91, v90, 20, 1
	s_delay_alu instid0(VALU_DEP_2) | instskip(NEXT) | instid1(VALU_DEP_2)
	v_cmp_eq_u32_e64 s13, v78, v92
	v_add_nc_u32_e32 v89, -1, v91
	s_delay_alu instid0(VALU_DEP_1) | instskip(SKIP_2) | instid1(VALU_DEP_2)
	v_cndmask_b32_e64 v78, 0, v89, s13
	v_lshrrev_b32_e32 v89, 23, v90
	s_mov_b32 s13, exec_lo
	v_add_nc_u32_e32 v78, v78, v90
	s_delay_alu instid0(VALU_DEP_2) | instskip(NEXT) | instid1(VALU_DEP_2)
	v_xor_b32_e32 v89, 1, v89
	v_and_b32_e32 v57, 0xfffff, v78
	s_delay_alu instid0(VALU_DEP_1) | instskip(NEXT) | instid1(VALU_DEP_3)
	v_add_nc_u32_e32 v78, v57, v90
                                        ; implicit-def: $vgpr57
	v_cmpx_ne_u32_e64 v88, v89
	s_xor_b32 s13, exec_lo, s13
; %bb.9725:                             ;   in Loop: Header=BB6_9353 Depth=3
	s_delay_alu instid0(VALU_DEP_2) | instskip(SKIP_2) | instid1(VALU_DEP_2)
	v_cmp_lt_u32_e32 vcc_lo, 0xffffff, v78
	v_sub_nc_u32_e32 v57, v88, v89
	v_cndmask_b32_e64 v88, 0, 1, vcc_lo
	v_add_co_ci_u32_e32 v57, vcc_lo, 0, v57, vcc_lo
	s_delay_alu instid0(VALU_DEP_2)
	v_lshrrev_b32_e32 v78, v88, v78
; %bb.9726:                             ;   in Loop: Header=BB6_9353 Depth=3
	s_and_not1_saveexec_b32 s13, s13
; %bb.9727:                             ;   in Loop: Header=BB6_9353 Depth=3
	s_delay_alu instid0(VALU_DEP_1)
	v_bfe_u32 v57, v78, 23, 1
; %bb.9728:                             ;   in Loop: Header=BB6_9353 Depth=3
	s_or_b32 exec_lo, exec_lo, s13
	v_lshrrev_b32_e32 v78, 20, v78
	s_delay_alu instid0(VALU_DEP_2) | instskip(SKIP_2) | instid1(VALU_DEP_2)
	v_cmp_gt_i32_e32 vcc_lo, 16, v57
	v_lshrrev_b32_e32 v79, 24, v79
	v_min_i32_e32 v88, 15, v57
	v_dual_cndmask_b32 v78, 7, v78 :: v_dual_and_b32 v79, 0x80, v79
	s_delay_alu instid0(VALU_DEP_1) | instskip(SKIP_1) | instid1(VALU_DEP_2)
	v_or_b32_e32 v57, v57, v78
	v_and_b32_e32 v89, 7, v78
	v_cmp_ne_u32_e32 vcc_lo, 0, v57
	v_lshlrev_b32_e32 v88, 3, v88
	s_delay_alu instid0(VALU_DEP_1) | instskip(NEXT) | instid1(VALU_DEP_1)
	v_or3_b32 v78, v88, v79, v89
	v_cndmask_b32_e32 v57, 0, v78, vcc_lo
.LBB6_9729:                             ;   in Loop: Header=BB6_9353 Depth=3
	s_or_b32 exec_lo, exec_lo, s34
.LBB6_9730:                             ;   in Loop: Header=BB6_9353 Depth=3
	s_delay_alu instid0(SALU_CYCLE_1) | instskip(NEXT) | instid1(SALU_CYCLE_1)
	s_or_b32 exec_lo, exec_lo, s31
	s_and_not1_b32 vcc_lo, exec_lo, s17
	s_cbranch_vccnz .LBB6_9740
; %bb.9731:                             ;   in Loop: Header=BB6_9353 Depth=3
	v_and_b32_e32 v79, 0xff, v77
	s_mov_b32 s13, 0
	s_mov_b32 s34, exec_lo
                                        ; implicit-def: $sgpr31
	s_delay_alu instid0(VALU_DEP_1)
	v_cmpx_lt_i16_e32 0x7f, v79
	s_xor_b32 s34, exec_lo, s34
	s_cbranch_execnz .LBB6_10487
; %bb.9732:                             ;   in Loop: Header=BB6_9353 Depth=3
	s_or_saveexec_b32 s34, s34
	v_mov_b32_e32 v78, s31
	s_xor_b32 exec_lo, exec_lo, s34
	s_cbranch_execnz .LBB6_10490
.LBB6_9733:                             ;   in Loop: Header=BB6_9353 Depth=3
	s_or_b32 exec_lo, exec_lo, s34
	s_and_saveexec_b32 s31, s13
	s_cbranch_execz .LBB6_9735
.LBB6_9734:                             ;   in Loop: Header=BB6_9353 Depth=3
	v_lshrrev_b16 v89, 3, v77
	v_lshlrev_b32_e32 v90, 24, v77
	s_delay_alu instid0(VALU_DEP_2) | instskip(NEXT) | instid1(VALU_DEP_1)
	v_and_b32_e32 v89, 15, v89
	v_cmp_eq_u32_e32 vcc_lo, 0, v89
	v_and_b32_e32 v78, 7, v77
	s_delay_alu instid0(VALU_DEP_1) | instskip(NEXT) | instid1(VALU_DEP_1)
	v_clz_i32_u32_e32 v79, v78
	v_min_u32_e32 v79, 32, v79
	s_delay_alu instid0(VALU_DEP_1) | instskip(SKIP_1) | instid1(VALU_DEP_1)
	v_subrev_nc_u32_e32 v88, 28, v79
	v_sub_nc_u32_e32 v79, 29, v79
	v_dual_cndmask_b32 v79, v89, v79 :: v_dual_lshlrev_b32 v88, v88, v77
	s_delay_alu instid0(VALU_DEP_1) | instskip(NEXT) | instid1(VALU_DEP_2)
	v_and_b32_e32 v88, 7, v88
	v_lshl_add_u32 v79, v79, 23, 0x3b800000
	s_delay_alu instid0(VALU_DEP_2) | instskip(SKIP_1) | instid1(VALU_DEP_2)
	v_cndmask_b32_e32 v78, v78, v88, vcc_lo
	v_and_b32_e32 v88, 0x80000000, v90
	v_lshlrev_b32_e32 v78, 20, v78
	s_delay_alu instid0(VALU_DEP_1)
	v_or3_b32 v78, v88, v79, v78
.LBB6_9735:                             ;   in Loop: Header=BB6_9353 Depth=3
	s_or_b32 exec_lo, exec_lo, s31
	s_waitcnt vmcnt(18) lgkmcnt(18)
	v_and_b32_e32 v88, 0xff, v60
	s_mov_b32 s13, 0
	s_mov_b32 s34, exec_lo
                                        ; implicit-def: $sgpr31
	s_delay_alu instid0(VALU_DEP_1)
	v_cmpx_lt_i16_e32 0x7f, v88
	s_xor_b32 s34, exec_lo, s34
	s_cbranch_execnz .LBB6_10491
; %bb.9736:                             ;   in Loop: Header=BB6_9353 Depth=3
	s_or_saveexec_b32 s34, s34
	v_mov_b32_e32 v79, s31
	s_xor_b32 exec_lo, exec_lo, s34
	s_cbranch_execnz .LBB6_10494
.LBB6_9737:                             ;   in Loop: Header=BB6_9353 Depth=3
	s_or_b32 exec_lo, exec_lo, s34
	s_and_saveexec_b32 s31, s13
	s_cbranch_execz .LBB6_9739
.LBB6_9738:                             ;   in Loop: Header=BB6_9353 Depth=3
	v_and_b32_e32 v79, 7, v60
	v_lshrrev_b16 v90, 3, v60
	v_lshlrev_b32_e32 v91, 24, v60
	s_delay_alu instid0(VALU_DEP_3) | instskip(NEXT) | instid1(VALU_DEP_1)
	v_clz_i32_u32_e32 v88, v79
	v_min_u32_e32 v88, 32, v88
	s_delay_alu instid0(VALU_DEP_1) | instskip(SKIP_1) | instid1(VALU_DEP_2)
	v_subrev_nc_u32_e32 v89, 28, v88
	v_sub_nc_u32_e32 v88, 29, v88
	v_lshlrev_b32_e32 v89, v89, v60
	s_delay_alu instid0(VALU_DEP_1) | instskip(SKIP_1) | instid1(VALU_DEP_1)
	v_and_b32_e32 v89, 7, v89
	v_and_b32_e32 v90, 15, v90
	v_cmp_eq_u32_e32 vcc_lo, 0, v90
	s_delay_alu instid0(VALU_DEP_3) | instskip(SKIP_1) | instid1(VALU_DEP_2)
	v_dual_cndmask_b32 v79, v79, v89 :: v_dual_cndmask_b32 v88, v90, v88
	v_and_b32_e32 v89, 0x80000000, v91
	v_lshlrev_b32_e32 v79, 20, v79
	s_delay_alu instid0(VALU_DEP_3) | instskip(NEXT) | instid1(VALU_DEP_1)
	v_lshl_add_u32 v88, v88, 23, 0x3b800000
	v_or3_b32 v79, v89, v88, v79
.LBB6_9739:                             ;   in Loop: Header=BB6_9353 Depth=3
	s_or_b32 exec_lo, exec_lo, s31
	s_delay_alu instid0(VALU_DEP_1) | instskip(SKIP_1) | instid1(VALU_DEP_1)
	v_dual_max_f32 v79, v79, v79 :: v_dual_max_f32 v78, v78, v78
	s_mov_b32 s13, 0
	v_max_f32_e32 v78, v78, v79
	s_branch .LBB6_9741
.LBB6_9740:                             ;   in Loop: Header=BB6_9353 Depth=3
	s_mov_b32 s13, -1
                                        ; implicit-def: $vgpr78
.LBB6_9741:                             ;   in Loop: Header=BB6_9353 Depth=3
	s_delay_alu instid0(SALU_CYCLE_1)
	s_and_b32 vcc_lo, exec_lo, s13
	s_cbranch_vccz .LBB6_9751
; %bb.9742:                             ;   in Loop: Header=BB6_9353 Depth=3
	v_and_b32_e32 v79, 0xff, v77
	s_mov_b32 s13, 0
	s_mov_b32 s34, exec_lo
                                        ; implicit-def: $sgpr31
	s_delay_alu instid0(VALU_DEP_1)
	v_cmpx_lt_i16_e32 0x7f, v79
	s_xor_b32 s34, exec_lo, s34
	s_cbranch_execnz .LBB6_10495
; %bb.9743:                             ;   in Loop: Header=BB6_9353 Depth=3
	s_or_saveexec_b32 s34, s34
	v_mov_b32_e32 v78, s31
	s_xor_b32 exec_lo, exec_lo, s34
	s_cbranch_execnz .LBB6_10498
.LBB6_9744:                             ;   in Loop: Header=BB6_9353 Depth=3
	s_or_b32 exec_lo, exec_lo, s34
	s_and_saveexec_b32 s31, s13
	s_cbranch_execz .LBB6_9746
.LBB6_9745:                             ;   in Loop: Header=BB6_9353 Depth=3
	v_lshrrev_b16 v89, 3, v77
	s_delay_alu instid0(VALU_DEP_1) | instskip(NEXT) | instid1(VALU_DEP_1)
	v_and_b32_e32 v89, 15, v89
	v_cmp_eq_u32_e32 vcc_lo, 0, v89
	v_and_b32_e32 v78, 7, v77
	s_delay_alu instid0(VALU_DEP_1) | instskip(NEXT) | instid1(VALU_DEP_1)
	v_clz_i32_u32_e32 v79, v78
	v_min_u32_e32 v79, 32, v79
	s_delay_alu instid0(VALU_DEP_1) | instskip(SKIP_1) | instid1(VALU_DEP_1)
	v_subrev_nc_u32_e32 v88, 28, v79
	v_sub_nc_u32_e32 v79, 29, v79
	v_dual_cndmask_b32 v79, v89, v79 :: v_dual_lshlrev_b32 v88, v88, v77
	v_lshlrev_b32_e32 v77, 24, v77
	s_delay_alu instid0(VALU_DEP_2) | instskip(NEXT) | instid1(VALU_DEP_3)
	v_and_b32_e32 v88, 7, v88
	v_lshl_add_u32 v79, v79, 23, 0x3b800000
	s_delay_alu instid0(VALU_DEP_2) | instskip(NEXT) | instid1(VALU_DEP_1)
	v_dual_cndmask_b32 v78, v78, v88 :: v_dual_and_b32 v77, 0x80000000, v77
	v_lshlrev_b32_e32 v78, 20, v78
	s_delay_alu instid0(VALU_DEP_1)
	v_or3_b32 v78, v77, v79, v78
.LBB6_9746:                             ;   in Loop: Header=BB6_9353 Depth=3
	s_or_b32 exec_lo, exec_lo, s31
	s_waitcnt vmcnt(18) lgkmcnt(18)
	v_and_b32_e32 v79, 0xff, v60
	s_mov_b32 s13, 0
	s_mov_b32 s34, exec_lo
                                        ; implicit-def: $sgpr31
	s_delay_alu instid0(VALU_DEP_1)
	v_cmpx_lt_i16_e32 0x7f, v79
	s_xor_b32 s34, exec_lo, s34
	s_cbranch_execnz .LBB6_10499
; %bb.9747:                             ;   in Loop: Header=BB6_9353 Depth=3
	s_or_saveexec_b32 s34, s34
	v_mov_b32_e32 v77, s31
	s_xor_b32 exec_lo, exec_lo, s34
	s_cbranch_execnz .LBB6_10502
.LBB6_9748:                             ;   in Loop: Header=BB6_9353 Depth=3
	s_or_b32 exec_lo, exec_lo, s34
	s_and_saveexec_b32 s31, s13
	s_cbranch_execz .LBB6_9750
.LBB6_9749:                             ;   in Loop: Header=BB6_9353 Depth=3
	v_and_b32_e32 v77, 7, v60
	v_lshrrev_b16 v89, 3, v60
	s_delay_alu instid0(VALU_DEP_2) | instskip(NEXT) | instid1(VALU_DEP_2)
	v_clz_i32_u32_e32 v79, v77
	v_and_b32_e32 v89, 15, v89
	s_delay_alu instid0(VALU_DEP_2) | instskip(NEXT) | instid1(VALU_DEP_2)
	v_min_u32_e32 v79, 32, v79
	v_cmp_eq_u32_e32 vcc_lo, 0, v89
	s_delay_alu instid0(VALU_DEP_2) | instskip(SKIP_1) | instid1(VALU_DEP_1)
	v_subrev_nc_u32_e32 v88, 28, v79
	v_sub_nc_u32_e32 v79, 29, v79
	v_dual_cndmask_b32 v79, v89, v79 :: v_dual_lshlrev_b32 v88, v88, v60
	v_lshlrev_b32_e32 v60, 24, v60
	s_delay_alu instid0(VALU_DEP_2) | instskip(NEXT) | instid1(VALU_DEP_3)
	v_and_b32_e32 v88, 7, v88
	v_lshl_add_u32 v79, v79, 23, 0x3b800000
	s_delay_alu instid0(VALU_DEP_3) | instskip(NEXT) | instid1(VALU_DEP_3)
	v_and_b32_e32 v60, 0x80000000, v60
	v_cndmask_b32_e32 v77, v77, v88, vcc_lo
	s_delay_alu instid0(VALU_DEP_1) | instskip(NEXT) | instid1(VALU_DEP_1)
	v_lshlrev_b32_e32 v77, 20, v77
	v_or3_b32 v77, v60, v79, v77
.LBB6_9750:                             ;   in Loop: Header=BB6_9353 Depth=3
	s_or_b32 exec_lo, exec_lo, s31
	s_delay_alu instid0(VALU_DEP_1) | instskip(NEXT) | instid1(VALU_DEP_1)
	v_dual_max_f32 v60, v77, v77 :: v_dual_max_f32 v77, v78, v78
	v_min_f32_e32 v78, v77, v60
.LBB6_9751:                             ;   in Loop: Header=BB6_9353 Depth=3
	s_waitcnt vmcnt(18) lgkmcnt(18)
	s_delay_alu instid0(VALU_DEP_1) | instskip(NEXT) | instid1(VALU_DEP_1)
	v_and_b32_e32 v60, 0x7f800000, v78
	v_cmp_ne_u32_e32 vcc_lo, 0x7f800000, v60
	v_mov_b32_e32 v60, 0x80
	s_and_saveexec_b32 s31, vcc_lo
	s_cbranch_execz .LBB6_9759
; %bb.9752:                             ;   in Loop: Header=BB6_9353 Depth=3
	v_mov_b32_e32 v60, 0
	s_mov_b32 s34, exec_lo
	v_cmpx_ne_u32_e32 0, v78
	s_cbranch_execz .LBB6_9758
; %bb.9753:                             ;   in Loop: Header=BB6_9353 Depth=3
	v_bfe_u32 v60, v78, 23, 8
	v_and_b32_e32 v77, 0x7fffff, v78
	s_delay_alu instid0(VALU_DEP_2) | instskip(SKIP_1) | instid1(VALU_DEP_3)
	v_sub_nc_u32_e32 v79, 0x78, v60
	v_cmp_gt_u32_e32 vcc_lo, 0x79, v60
	v_or_b32_e32 v88, 0x800000, v77
	s_delay_alu instid0(VALU_DEP_3) | instskip(SKIP_2) | instid1(VALU_DEP_3)
	v_cndmask_b32_e32 v79, 0, v79, vcc_lo
	v_cmp_eq_u32_e32 vcc_lo, 0, v60
	v_add_nc_u32_e32 v60, 0xffffff89, v60
	v_cndmask_b32_e64 v79, v79, 0x77, vcc_lo
	v_cndmask_b32_e32 v77, v88, v77, vcc_lo
	s_delay_alu instid0(VALU_DEP_3) | instskip(NEXT) | instid1(VALU_DEP_3)
	v_cndmask_b32_e64 v60, v60, 0xffffff8a, vcc_lo
	v_lshl_add_u32 v88, 0x100000, v79, -1
	s_delay_alu instid0(VALU_DEP_3) | instskip(SKIP_1) | instid1(VALU_DEP_4)
	v_lshrrev_b32_e32 v89, v79, v77
	v_lshlrev_b32_e64 v91, v79, 0x80000
	v_add_nc_u32_e32 v79, v79, v60
	s_delay_alu instid0(VALU_DEP_4) | instskip(NEXT) | instid1(VALU_DEP_4)
	v_and_b32_e32 v77, v88, v77
	v_bfe_u32 v90, v89, 20, 1
	s_delay_alu instid0(VALU_DEP_2) | instskip(NEXT) | instid1(VALU_DEP_2)
	v_cmp_eq_u32_e64 s13, v77, v91
	v_add_nc_u32_e32 v88, -1, v90
	s_delay_alu instid0(VALU_DEP_1) | instskip(SKIP_2) | instid1(VALU_DEP_2)
	v_cndmask_b32_e64 v77, 0, v88, s13
	v_lshrrev_b32_e32 v88, 23, v89
	s_mov_b32 s13, exec_lo
	v_add_nc_u32_e32 v77, v77, v89
	s_delay_alu instid0(VALU_DEP_2) | instskip(NEXT) | instid1(VALU_DEP_2)
	v_xor_b32_e32 v88, 1, v88
	v_and_b32_e32 v60, 0xfffff, v77
	s_delay_alu instid0(VALU_DEP_1) | instskip(NEXT) | instid1(VALU_DEP_3)
	v_add_nc_u32_e32 v77, v60, v89
                                        ; implicit-def: $vgpr60
	v_cmpx_ne_u32_e64 v79, v88
	s_xor_b32 s13, exec_lo, s13
; %bb.9754:                             ;   in Loop: Header=BB6_9353 Depth=3
	s_delay_alu instid0(VALU_DEP_2) | instskip(SKIP_2) | instid1(VALU_DEP_2)
	v_cmp_lt_u32_e32 vcc_lo, 0xffffff, v77
	v_sub_nc_u32_e32 v60, v79, v88
	v_cndmask_b32_e64 v79, 0, 1, vcc_lo
	v_add_co_ci_u32_e32 v60, vcc_lo, 0, v60, vcc_lo
	s_delay_alu instid0(VALU_DEP_2)
	v_lshrrev_b32_e32 v77, v79, v77
; %bb.9755:                             ;   in Loop: Header=BB6_9353 Depth=3
	s_and_not1_saveexec_b32 s13, s13
; %bb.9756:                             ;   in Loop: Header=BB6_9353 Depth=3
	s_delay_alu instid0(VALU_DEP_1)
	v_bfe_u32 v60, v77, 23, 1
; %bb.9757:                             ;   in Loop: Header=BB6_9353 Depth=3
	s_or_b32 exec_lo, exec_lo, s13
	v_lshrrev_b32_e32 v77, 20, v77
	s_delay_alu instid0(VALU_DEP_2) | instskip(SKIP_2) | instid1(VALU_DEP_2)
	v_cmp_gt_i32_e32 vcc_lo, 16, v60
	v_lshrrev_b32_e32 v78, 24, v78
	v_min_i32_e32 v79, 15, v60
	v_dual_cndmask_b32 v77, 7, v77 :: v_dual_and_b32 v78, 0x80, v78
	s_delay_alu instid0(VALU_DEP_1) | instskip(SKIP_1) | instid1(VALU_DEP_2)
	v_or_b32_e32 v60, v60, v77
	v_and_b32_e32 v88, 7, v77
	v_cmp_ne_u32_e32 vcc_lo, 0, v60
	v_lshlrev_b32_e32 v79, 3, v79
	s_delay_alu instid0(VALU_DEP_1) | instskip(NEXT) | instid1(VALU_DEP_1)
	v_or3_b32 v77, v79, v78, v88
	v_cndmask_b32_e32 v60, 0, v77, vcc_lo
.LBB6_9758:                             ;   in Loop: Header=BB6_9353 Depth=3
	s_or_b32 exec_lo, exec_lo, s34
.LBB6_9759:                             ;   in Loop: Header=BB6_9353 Depth=3
	s_delay_alu instid0(SALU_CYCLE_1) | instskip(NEXT) | instid1(SALU_CYCLE_1)
	s_or_b32 exec_lo, exec_lo, s31
	s_and_not1_b32 vcc_lo, exec_lo, s17
	s_cbranch_vccnz .LBB6_9769
; %bb.9760:                             ;   in Loop: Header=BB6_9353 Depth=3
	v_and_b32_e32 v78, 0xff, v76
	s_mov_b32 s13, 0
	s_mov_b32 s34, exec_lo
                                        ; implicit-def: $sgpr31
	s_delay_alu instid0(VALU_DEP_1)
	v_cmpx_lt_i16_e32 0x7f, v78
	s_xor_b32 s34, exec_lo, s34
	s_cbranch_execnz .LBB6_10503
; %bb.9761:                             ;   in Loop: Header=BB6_9353 Depth=3
	s_or_saveexec_b32 s34, s34
	v_mov_b32_e32 v77, s31
	s_xor_b32 exec_lo, exec_lo, s34
	s_cbranch_execnz .LBB6_10506
.LBB6_9762:                             ;   in Loop: Header=BB6_9353 Depth=3
	s_or_b32 exec_lo, exec_lo, s34
	s_and_saveexec_b32 s31, s13
	s_cbranch_execz .LBB6_9764
.LBB6_9763:                             ;   in Loop: Header=BB6_9353 Depth=3
	v_lshrrev_b16 v88, 3, v76
	v_lshlrev_b32_e32 v89, 24, v76
	s_delay_alu instid0(VALU_DEP_2) | instskip(NEXT) | instid1(VALU_DEP_1)
	v_and_b32_e32 v88, 15, v88
	v_cmp_eq_u32_e32 vcc_lo, 0, v88
	v_and_b32_e32 v77, 7, v76
	s_delay_alu instid0(VALU_DEP_1) | instskip(NEXT) | instid1(VALU_DEP_1)
	v_clz_i32_u32_e32 v78, v77
	v_min_u32_e32 v78, 32, v78
	s_delay_alu instid0(VALU_DEP_1) | instskip(SKIP_1) | instid1(VALU_DEP_1)
	v_subrev_nc_u32_e32 v79, 28, v78
	v_sub_nc_u32_e32 v78, 29, v78
	v_dual_cndmask_b32 v78, v88, v78 :: v_dual_lshlrev_b32 v79, v79, v76
	s_delay_alu instid0(VALU_DEP_1) | instskip(NEXT) | instid1(VALU_DEP_2)
	v_and_b32_e32 v79, 7, v79
	v_lshl_add_u32 v78, v78, 23, 0x3b800000
	s_delay_alu instid0(VALU_DEP_2) | instskip(SKIP_1) | instid1(VALU_DEP_2)
	v_cndmask_b32_e32 v77, v77, v79, vcc_lo
	v_and_b32_e32 v79, 0x80000000, v89
	v_lshlrev_b32_e32 v77, 20, v77
	s_delay_alu instid0(VALU_DEP_1)
	v_or3_b32 v77, v79, v78, v77
.LBB6_9764:                             ;   in Loop: Header=BB6_9353 Depth=3
	s_or_b32 exec_lo, exec_lo, s31
	s_waitcnt vmcnt(17) lgkmcnt(17)
	v_and_b32_e32 v79, 0xff, v63
	s_mov_b32 s13, 0
	s_mov_b32 s34, exec_lo
                                        ; implicit-def: $sgpr31
	s_delay_alu instid0(VALU_DEP_1)
	v_cmpx_lt_i16_e32 0x7f, v79
	s_xor_b32 s34, exec_lo, s34
	s_cbranch_execnz .LBB6_10507
; %bb.9765:                             ;   in Loop: Header=BB6_9353 Depth=3
	s_or_saveexec_b32 s34, s34
	v_mov_b32_e32 v78, s31
	s_xor_b32 exec_lo, exec_lo, s34
	s_cbranch_execnz .LBB6_10510
.LBB6_9766:                             ;   in Loop: Header=BB6_9353 Depth=3
	s_or_b32 exec_lo, exec_lo, s34
	s_and_saveexec_b32 s31, s13
	s_cbranch_execz .LBB6_9768
.LBB6_9767:                             ;   in Loop: Header=BB6_9353 Depth=3
	v_and_b32_e32 v78, 7, v63
	v_lshrrev_b16 v89, 3, v63
	v_lshlrev_b32_e32 v90, 24, v63
	s_delay_alu instid0(VALU_DEP_3) | instskip(NEXT) | instid1(VALU_DEP_1)
	v_clz_i32_u32_e32 v79, v78
	v_min_u32_e32 v79, 32, v79
	s_delay_alu instid0(VALU_DEP_1) | instskip(SKIP_1) | instid1(VALU_DEP_2)
	v_subrev_nc_u32_e32 v88, 28, v79
	v_sub_nc_u32_e32 v79, 29, v79
	v_lshlrev_b32_e32 v88, v88, v63
	s_delay_alu instid0(VALU_DEP_1) | instskip(SKIP_1) | instid1(VALU_DEP_1)
	v_and_b32_e32 v88, 7, v88
	v_and_b32_e32 v89, 15, v89
	v_cmp_eq_u32_e32 vcc_lo, 0, v89
	s_delay_alu instid0(VALU_DEP_3) | instskip(SKIP_1) | instid1(VALU_DEP_2)
	v_dual_cndmask_b32 v78, v78, v88 :: v_dual_cndmask_b32 v79, v89, v79
	v_and_b32_e32 v88, 0x80000000, v90
	v_lshlrev_b32_e32 v78, 20, v78
	s_delay_alu instid0(VALU_DEP_3) | instskip(NEXT) | instid1(VALU_DEP_1)
	v_lshl_add_u32 v79, v79, 23, 0x3b800000
	v_or3_b32 v78, v88, v79, v78
.LBB6_9768:                             ;   in Loop: Header=BB6_9353 Depth=3
	s_or_b32 exec_lo, exec_lo, s31
	s_delay_alu instid0(VALU_DEP_1) | instskip(SKIP_1) | instid1(VALU_DEP_1)
	v_dual_max_f32 v78, v78, v78 :: v_dual_max_f32 v77, v77, v77
	s_mov_b32 s13, 0
	v_max_f32_e32 v77, v77, v78
	s_branch .LBB6_9770
.LBB6_9769:                             ;   in Loop: Header=BB6_9353 Depth=3
	s_mov_b32 s13, -1
                                        ; implicit-def: $vgpr77
.LBB6_9770:                             ;   in Loop: Header=BB6_9353 Depth=3
	s_delay_alu instid0(SALU_CYCLE_1)
	s_and_b32 vcc_lo, exec_lo, s13
	s_cbranch_vccz .LBB6_9780
; %bb.9771:                             ;   in Loop: Header=BB6_9353 Depth=3
	v_and_b32_e32 v78, 0xff, v76
	s_mov_b32 s13, 0
	s_mov_b32 s34, exec_lo
                                        ; implicit-def: $sgpr31
	s_delay_alu instid0(VALU_DEP_1)
	v_cmpx_lt_i16_e32 0x7f, v78
	s_xor_b32 s34, exec_lo, s34
	s_cbranch_execnz .LBB6_10511
; %bb.9772:                             ;   in Loop: Header=BB6_9353 Depth=3
	s_or_saveexec_b32 s34, s34
	v_mov_b32_e32 v77, s31
	s_xor_b32 exec_lo, exec_lo, s34
	s_cbranch_execnz .LBB6_10514
.LBB6_9773:                             ;   in Loop: Header=BB6_9353 Depth=3
	s_or_b32 exec_lo, exec_lo, s34
	s_and_saveexec_b32 s31, s13
	s_cbranch_execz .LBB6_9775
.LBB6_9774:                             ;   in Loop: Header=BB6_9353 Depth=3
	v_lshrrev_b16 v88, 3, v76
	s_delay_alu instid0(VALU_DEP_1) | instskip(NEXT) | instid1(VALU_DEP_1)
	v_and_b32_e32 v88, 15, v88
	v_cmp_eq_u32_e32 vcc_lo, 0, v88
	v_and_b32_e32 v77, 7, v76
	s_delay_alu instid0(VALU_DEP_1) | instskip(NEXT) | instid1(VALU_DEP_1)
	v_clz_i32_u32_e32 v78, v77
	v_min_u32_e32 v78, 32, v78
	s_delay_alu instid0(VALU_DEP_1) | instskip(SKIP_1) | instid1(VALU_DEP_1)
	v_subrev_nc_u32_e32 v79, 28, v78
	v_sub_nc_u32_e32 v78, 29, v78
	v_dual_cndmask_b32 v78, v88, v78 :: v_dual_lshlrev_b32 v79, v79, v76
	v_lshlrev_b32_e32 v76, 24, v76
	s_delay_alu instid0(VALU_DEP_2) | instskip(NEXT) | instid1(VALU_DEP_3)
	v_and_b32_e32 v79, 7, v79
	v_lshl_add_u32 v78, v78, 23, 0x3b800000
	s_delay_alu instid0(VALU_DEP_2) | instskip(NEXT) | instid1(VALU_DEP_1)
	v_dual_cndmask_b32 v77, v77, v79 :: v_dual_and_b32 v76, 0x80000000, v76
	v_lshlrev_b32_e32 v77, 20, v77
	s_delay_alu instid0(VALU_DEP_1)
	v_or3_b32 v77, v76, v78, v77
.LBB6_9775:                             ;   in Loop: Header=BB6_9353 Depth=3
	s_or_b32 exec_lo, exec_lo, s31
	s_waitcnt vmcnt(17) lgkmcnt(17)
	v_and_b32_e32 v78, 0xff, v63
	s_mov_b32 s13, 0
	s_mov_b32 s34, exec_lo
                                        ; implicit-def: $sgpr31
	s_delay_alu instid0(VALU_DEP_1)
	v_cmpx_lt_i16_e32 0x7f, v78
	s_xor_b32 s34, exec_lo, s34
	s_cbranch_execnz .LBB6_10515
; %bb.9776:                             ;   in Loop: Header=BB6_9353 Depth=3
	s_or_saveexec_b32 s34, s34
	v_mov_b32_e32 v76, s31
	s_xor_b32 exec_lo, exec_lo, s34
	s_cbranch_execnz .LBB6_10518
.LBB6_9777:                             ;   in Loop: Header=BB6_9353 Depth=3
	s_or_b32 exec_lo, exec_lo, s34
	s_and_saveexec_b32 s31, s13
	s_cbranch_execz .LBB6_9779
.LBB6_9778:                             ;   in Loop: Header=BB6_9353 Depth=3
	v_and_b32_e32 v76, 7, v63
	v_lshrrev_b16 v88, 3, v63
	s_delay_alu instid0(VALU_DEP_2) | instskip(NEXT) | instid1(VALU_DEP_2)
	v_clz_i32_u32_e32 v78, v76
	v_and_b32_e32 v88, 15, v88
	s_delay_alu instid0(VALU_DEP_2) | instskip(NEXT) | instid1(VALU_DEP_2)
	v_min_u32_e32 v78, 32, v78
	v_cmp_eq_u32_e32 vcc_lo, 0, v88
	s_delay_alu instid0(VALU_DEP_2) | instskip(SKIP_1) | instid1(VALU_DEP_1)
	v_subrev_nc_u32_e32 v79, 28, v78
	v_sub_nc_u32_e32 v78, 29, v78
	v_dual_cndmask_b32 v78, v88, v78 :: v_dual_lshlrev_b32 v79, v79, v63
	v_lshlrev_b32_e32 v63, 24, v63
	s_delay_alu instid0(VALU_DEP_2) | instskip(NEXT) | instid1(VALU_DEP_3)
	v_and_b32_e32 v79, 7, v79
	v_lshl_add_u32 v78, v78, 23, 0x3b800000
	s_delay_alu instid0(VALU_DEP_3) | instskip(NEXT) | instid1(VALU_DEP_3)
	v_and_b32_e32 v63, 0x80000000, v63
	v_cndmask_b32_e32 v76, v76, v79, vcc_lo
	s_delay_alu instid0(VALU_DEP_1) | instskip(NEXT) | instid1(VALU_DEP_1)
	v_lshlrev_b32_e32 v76, 20, v76
	v_or3_b32 v76, v63, v78, v76
.LBB6_9779:                             ;   in Loop: Header=BB6_9353 Depth=3
	s_or_b32 exec_lo, exec_lo, s31
	s_delay_alu instid0(VALU_DEP_1) | instskip(NEXT) | instid1(VALU_DEP_1)
	v_dual_max_f32 v63, v76, v76 :: v_dual_max_f32 v76, v77, v77
	v_min_f32_e32 v77, v76, v63
.LBB6_9780:                             ;   in Loop: Header=BB6_9353 Depth=3
	s_waitcnt vmcnt(17) lgkmcnt(17)
	s_delay_alu instid0(VALU_DEP_1) | instskip(NEXT) | instid1(VALU_DEP_1)
	v_and_b32_e32 v63, 0x7f800000, v77
	v_cmp_ne_u32_e32 vcc_lo, 0x7f800000, v63
	v_mov_b32_e32 v63, 0x80
	s_and_saveexec_b32 s31, vcc_lo
	s_cbranch_execz .LBB6_9788
; %bb.9781:                             ;   in Loop: Header=BB6_9353 Depth=3
	v_mov_b32_e32 v63, 0
	s_mov_b32 s34, exec_lo
	v_cmpx_ne_u32_e32 0, v77
	s_cbranch_execz .LBB6_9787
; %bb.9782:                             ;   in Loop: Header=BB6_9353 Depth=3
	v_bfe_u32 v63, v77, 23, 8
	v_and_b32_e32 v76, 0x7fffff, v77
	s_delay_alu instid0(VALU_DEP_2) | instskip(SKIP_1) | instid1(VALU_DEP_3)
	v_sub_nc_u32_e32 v78, 0x78, v63
	v_cmp_gt_u32_e32 vcc_lo, 0x79, v63
	v_or_b32_e32 v79, 0x800000, v76
	s_delay_alu instid0(VALU_DEP_3) | instskip(SKIP_2) | instid1(VALU_DEP_3)
	v_cndmask_b32_e32 v78, 0, v78, vcc_lo
	v_cmp_eq_u32_e32 vcc_lo, 0, v63
	v_add_nc_u32_e32 v63, 0xffffff89, v63
	v_cndmask_b32_e64 v78, v78, 0x77, vcc_lo
	v_cndmask_b32_e32 v76, v79, v76, vcc_lo
	s_delay_alu instid0(VALU_DEP_3) | instskip(NEXT) | instid1(VALU_DEP_3)
	v_cndmask_b32_e64 v63, v63, 0xffffff8a, vcc_lo
	v_lshl_add_u32 v79, 0x100000, v78, -1
	s_delay_alu instid0(VALU_DEP_3) | instskip(SKIP_1) | instid1(VALU_DEP_4)
	v_lshrrev_b32_e32 v88, v78, v76
	v_lshlrev_b32_e64 v90, v78, 0x80000
	v_add_nc_u32_e32 v78, v78, v63
	s_delay_alu instid0(VALU_DEP_4) | instskip(NEXT) | instid1(VALU_DEP_4)
	v_and_b32_e32 v76, v79, v76
	v_bfe_u32 v89, v88, 20, 1
	s_delay_alu instid0(VALU_DEP_2) | instskip(NEXT) | instid1(VALU_DEP_2)
	v_cmp_eq_u32_e64 s13, v76, v90
	v_add_nc_u32_e32 v79, -1, v89
	s_delay_alu instid0(VALU_DEP_1) | instskip(SKIP_2) | instid1(VALU_DEP_2)
	v_cndmask_b32_e64 v76, 0, v79, s13
	v_lshrrev_b32_e32 v79, 23, v88
	s_mov_b32 s13, exec_lo
	v_add_nc_u32_e32 v76, v76, v88
	s_delay_alu instid0(VALU_DEP_2) | instskip(NEXT) | instid1(VALU_DEP_2)
	v_xor_b32_e32 v79, 1, v79
	v_and_b32_e32 v63, 0xfffff, v76
	s_delay_alu instid0(VALU_DEP_1) | instskip(NEXT) | instid1(VALU_DEP_3)
	v_add_nc_u32_e32 v76, v63, v88
                                        ; implicit-def: $vgpr63
	v_cmpx_ne_u32_e64 v78, v79
	s_xor_b32 s13, exec_lo, s13
; %bb.9783:                             ;   in Loop: Header=BB6_9353 Depth=3
	s_delay_alu instid0(VALU_DEP_2) | instskip(SKIP_2) | instid1(VALU_DEP_2)
	v_cmp_lt_u32_e32 vcc_lo, 0xffffff, v76
	v_sub_nc_u32_e32 v63, v78, v79
	v_cndmask_b32_e64 v78, 0, 1, vcc_lo
	v_add_co_ci_u32_e32 v63, vcc_lo, 0, v63, vcc_lo
	s_delay_alu instid0(VALU_DEP_2)
	v_lshrrev_b32_e32 v76, v78, v76
; %bb.9784:                             ;   in Loop: Header=BB6_9353 Depth=3
	s_and_not1_saveexec_b32 s13, s13
; %bb.9785:                             ;   in Loop: Header=BB6_9353 Depth=3
	s_delay_alu instid0(VALU_DEP_1)
	v_bfe_u32 v63, v76, 23, 1
; %bb.9786:                             ;   in Loop: Header=BB6_9353 Depth=3
	s_or_b32 exec_lo, exec_lo, s13
	v_lshrrev_b32_e32 v76, 20, v76
	s_delay_alu instid0(VALU_DEP_2) | instskip(SKIP_2) | instid1(VALU_DEP_2)
	v_cmp_gt_i32_e32 vcc_lo, 16, v63
	v_lshrrev_b32_e32 v77, 24, v77
	v_min_i32_e32 v78, 15, v63
	v_dual_cndmask_b32 v76, 7, v76 :: v_dual_and_b32 v77, 0x80, v77
	s_delay_alu instid0(VALU_DEP_1) | instskip(SKIP_1) | instid1(VALU_DEP_2)
	v_or_b32_e32 v63, v63, v76
	v_and_b32_e32 v79, 7, v76
	v_cmp_ne_u32_e32 vcc_lo, 0, v63
	v_lshlrev_b32_e32 v78, 3, v78
	s_delay_alu instid0(VALU_DEP_1) | instskip(NEXT) | instid1(VALU_DEP_1)
	v_or3_b32 v76, v78, v77, v79
	v_cndmask_b32_e32 v63, 0, v76, vcc_lo
.LBB6_9787:                             ;   in Loop: Header=BB6_9353 Depth=3
	s_or_b32 exec_lo, exec_lo, s34
.LBB6_9788:                             ;   in Loop: Header=BB6_9353 Depth=3
	s_delay_alu instid0(SALU_CYCLE_1) | instskip(NEXT) | instid1(SALU_CYCLE_1)
	s_or_b32 exec_lo, exec_lo, s31
	s_and_not1_b32 vcc_lo, exec_lo, s17
	s_cbranch_vccnz .LBB6_9798
; %bb.9789:                             ;   in Loop: Header=BB6_9353 Depth=3
	v_and_b32_e32 v77, 0xff, v75
	s_mov_b32 s13, 0
	s_mov_b32 s34, exec_lo
                                        ; implicit-def: $sgpr31
	s_delay_alu instid0(VALU_DEP_1)
	v_cmpx_lt_i16_e32 0x7f, v77
	s_xor_b32 s34, exec_lo, s34
	s_cbranch_execnz .LBB6_10519
; %bb.9790:                             ;   in Loop: Header=BB6_9353 Depth=3
	s_or_saveexec_b32 s34, s34
	v_mov_b32_e32 v76, s31
	s_xor_b32 exec_lo, exec_lo, s34
	s_cbranch_execnz .LBB6_10522
.LBB6_9791:                             ;   in Loop: Header=BB6_9353 Depth=3
	s_or_b32 exec_lo, exec_lo, s34
	s_and_saveexec_b32 s31, s13
	s_cbranch_execz .LBB6_9793
.LBB6_9792:                             ;   in Loop: Header=BB6_9353 Depth=3
	v_lshrrev_b16 v79, 3, v75
	v_lshlrev_b32_e32 v88, 24, v75
	s_delay_alu instid0(VALU_DEP_2) | instskip(NEXT) | instid1(VALU_DEP_1)
	v_and_b32_e32 v79, 15, v79
	v_cmp_eq_u32_e32 vcc_lo, 0, v79
	v_and_b32_e32 v76, 7, v75
	s_delay_alu instid0(VALU_DEP_1) | instskip(NEXT) | instid1(VALU_DEP_1)
	v_clz_i32_u32_e32 v77, v76
	v_min_u32_e32 v77, 32, v77
	s_delay_alu instid0(VALU_DEP_1) | instskip(SKIP_1) | instid1(VALU_DEP_1)
	v_subrev_nc_u32_e32 v78, 28, v77
	v_sub_nc_u32_e32 v77, 29, v77
	v_dual_cndmask_b32 v77, v79, v77 :: v_dual_lshlrev_b32 v78, v78, v75
	s_delay_alu instid0(VALU_DEP_1) | instskip(NEXT) | instid1(VALU_DEP_2)
	v_and_b32_e32 v78, 7, v78
	v_lshl_add_u32 v77, v77, 23, 0x3b800000
	s_delay_alu instid0(VALU_DEP_2) | instskip(SKIP_1) | instid1(VALU_DEP_2)
	v_cndmask_b32_e32 v76, v76, v78, vcc_lo
	v_and_b32_e32 v78, 0x80000000, v88
	v_lshlrev_b32_e32 v76, 20, v76
	s_delay_alu instid0(VALU_DEP_1)
	v_or3_b32 v76, v78, v77, v76
.LBB6_9793:                             ;   in Loop: Header=BB6_9353 Depth=3
	s_or_b32 exec_lo, exec_lo, s31
	s_waitcnt vmcnt(16) lgkmcnt(16)
	v_and_b32_e32 v78, 0xff, v74
	s_mov_b32 s13, 0
	s_mov_b32 s34, exec_lo
                                        ; implicit-def: $sgpr31
	s_delay_alu instid0(VALU_DEP_1)
	v_cmpx_lt_i16_e32 0x7f, v78
	s_xor_b32 s34, exec_lo, s34
	s_cbranch_execnz .LBB6_10523
; %bb.9794:                             ;   in Loop: Header=BB6_9353 Depth=3
	s_or_saveexec_b32 s34, s34
	v_mov_b32_e32 v77, s31
	s_xor_b32 exec_lo, exec_lo, s34
	s_cbranch_execnz .LBB6_10526
.LBB6_9795:                             ;   in Loop: Header=BB6_9353 Depth=3
	s_or_b32 exec_lo, exec_lo, s34
	s_and_saveexec_b32 s31, s13
	s_cbranch_execz .LBB6_9797
.LBB6_9796:                             ;   in Loop: Header=BB6_9353 Depth=3
	v_and_b32_e32 v77, 7, v74
	v_lshrrev_b16 v88, 3, v74
	v_lshlrev_b32_e32 v89, 24, v74
	s_delay_alu instid0(VALU_DEP_3) | instskip(NEXT) | instid1(VALU_DEP_1)
	v_clz_i32_u32_e32 v78, v77
	v_min_u32_e32 v78, 32, v78
	s_delay_alu instid0(VALU_DEP_1) | instskip(SKIP_1) | instid1(VALU_DEP_2)
	v_subrev_nc_u32_e32 v79, 28, v78
	v_sub_nc_u32_e32 v78, 29, v78
	v_lshlrev_b32_e32 v79, v79, v74
	s_delay_alu instid0(VALU_DEP_1) | instskip(SKIP_1) | instid1(VALU_DEP_1)
	v_and_b32_e32 v79, 7, v79
	v_and_b32_e32 v88, 15, v88
	v_cmp_eq_u32_e32 vcc_lo, 0, v88
	s_delay_alu instid0(VALU_DEP_3) | instskip(SKIP_1) | instid1(VALU_DEP_2)
	v_dual_cndmask_b32 v77, v77, v79 :: v_dual_cndmask_b32 v78, v88, v78
	v_and_b32_e32 v79, 0x80000000, v89
	v_lshlrev_b32_e32 v77, 20, v77
	s_delay_alu instid0(VALU_DEP_3) | instskip(NEXT) | instid1(VALU_DEP_1)
	v_lshl_add_u32 v78, v78, 23, 0x3b800000
	v_or3_b32 v77, v79, v78, v77
.LBB6_9797:                             ;   in Loop: Header=BB6_9353 Depth=3
	s_or_b32 exec_lo, exec_lo, s31
	s_delay_alu instid0(VALU_DEP_1) | instskip(SKIP_1) | instid1(VALU_DEP_1)
	v_dual_max_f32 v77, v77, v77 :: v_dual_max_f32 v76, v76, v76
	s_mov_b32 s13, 0
	v_max_f32_e32 v76, v76, v77
	s_branch .LBB6_9799
.LBB6_9798:                             ;   in Loop: Header=BB6_9353 Depth=3
	s_mov_b32 s13, -1
                                        ; implicit-def: $vgpr76
.LBB6_9799:                             ;   in Loop: Header=BB6_9353 Depth=3
	s_delay_alu instid0(SALU_CYCLE_1)
	s_and_b32 vcc_lo, exec_lo, s13
	s_cbranch_vccz .LBB6_9809
; %bb.9800:                             ;   in Loop: Header=BB6_9353 Depth=3
	v_and_b32_e32 v77, 0xff, v75
	s_mov_b32 s13, 0
	s_mov_b32 s34, exec_lo
                                        ; implicit-def: $sgpr31
	s_delay_alu instid0(VALU_DEP_1)
	v_cmpx_lt_i16_e32 0x7f, v77
	s_xor_b32 s34, exec_lo, s34
	s_cbranch_execnz .LBB6_10527
; %bb.9801:                             ;   in Loop: Header=BB6_9353 Depth=3
	s_or_saveexec_b32 s34, s34
	v_mov_b32_e32 v76, s31
	s_xor_b32 exec_lo, exec_lo, s34
	s_cbranch_execnz .LBB6_10530
.LBB6_9802:                             ;   in Loop: Header=BB6_9353 Depth=3
	s_or_b32 exec_lo, exec_lo, s34
	s_and_saveexec_b32 s31, s13
	s_cbranch_execz .LBB6_9804
.LBB6_9803:                             ;   in Loop: Header=BB6_9353 Depth=3
	v_lshrrev_b16 v79, 3, v75
	s_delay_alu instid0(VALU_DEP_1) | instskip(NEXT) | instid1(VALU_DEP_1)
	v_and_b32_e32 v79, 15, v79
	v_cmp_eq_u32_e32 vcc_lo, 0, v79
	v_and_b32_e32 v76, 7, v75
	s_delay_alu instid0(VALU_DEP_1) | instskip(NEXT) | instid1(VALU_DEP_1)
	v_clz_i32_u32_e32 v77, v76
	v_min_u32_e32 v77, 32, v77
	s_delay_alu instid0(VALU_DEP_1) | instskip(SKIP_1) | instid1(VALU_DEP_1)
	v_subrev_nc_u32_e32 v78, 28, v77
	v_sub_nc_u32_e32 v77, 29, v77
	v_dual_cndmask_b32 v77, v79, v77 :: v_dual_lshlrev_b32 v78, v78, v75
	v_lshlrev_b32_e32 v75, 24, v75
	s_delay_alu instid0(VALU_DEP_2) | instskip(NEXT) | instid1(VALU_DEP_3)
	v_and_b32_e32 v78, 7, v78
	v_lshl_add_u32 v77, v77, 23, 0x3b800000
	s_delay_alu instid0(VALU_DEP_2) | instskip(NEXT) | instid1(VALU_DEP_1)
	v_dual_cndmask_b32 v76, v76, v78 :: v_dual_and_b32 v75, 0x80000000, v75
	v_lshlrev_b32_e32 v76, 20, v76
	s_delay_alu instid0(VALU_DEP_1)
	v_or3_b32 v76, v75, v77, v76
.LBB6_9804:                             ;   in Loop: Header=BB6_9353 Depth=3
	s_or_b32 exec_lo, exec_lo, s31
	s_waitcnt vmcnt(16) lgkmcnt(16)
	v_and_b32_e32 v77, 0xff, v74
	s_mov_b32 s13, 0
	s_mov_b32 s34, exec_lo
                                        ; implicit-def: $sgpr31
	s_delay_alu instid0(VALU_DEP_1)
	v_cmpx_lt_i16_e32 0x7f, v77
	s_xor_b32 s34, exec_lo, s34
	s_cbranch_execnz .LBB6_10531
; %bb.9805:                             ;   in Loop: Header=BB6_9353 Depth=3
	s_or_saveexec_b32 s34, s34
	v_mov_b32_e32 v75, s31
	s_xor_b32 exec_lo, exec_lo, s34
	s_cbranch_execnz .LBB6_10534
.LBB6_9806:                             ;   in Loop: Header=BB6_9353 Depth=3
	s_or_b32 exec_lo, exec_lo, s34
	s_and_saveexec_b32 s31, s13
	s_cbranch_execz .LBB6_9808
.LBB6_9807:                             ;   in Loop: Header=BB6_9353 Depth=3
	v_and_b32_e32 v75, 7, v74
	v_lshrrev_b16 v79, 3, v74
	s_delay_alu instid0(VALU_DEP_2) | instskip(NEXT) | instid1(VALU_DEP_2)
	v_clz_i32_u32_e32 v77, v75
	v_and_b32_e32 v79, 15, v79
	s_delay_alu instid0(VALU_DEP_2) | instskip(NEXT) | instid1(VALU_DEP_2)
	v_min_u32_e32 v77, 32, v77
	v_cmp_eq_u32_e32 vcc_lo, 0, v79
	s_delay_alu instid0(VALU_DEP_2) | instskip(SKIP_1) | instid1(VALU_DEP_1)
	v_subrev_nc_u32_e32 v78, 28, v77
	v_sub_nc_u32_e32 v77, 29, v77
	v_dual_cndmask_b32 v77, v79, v77 :: v_dual_lshlrev_b32 v78, v78, v74
	v_lshlrev_b32_e32 v74, 24, v74
	s_delay_alu instid0(VALU_DEP_2) | instskip(NEXT) | instid1(VALU_DEP_3)
	v_and_b32_e32 v78, 7, v78
	v_lshl_add_u32 v77, v77, 23, 0x3b800000
	s_delay_alu instid0(VALU_DEP_3) | instskip(NEXT) | instid1(VALU_DEP_3)
	v_and_b32_e32 v74, 0x80000000, v74
	v_cndmask_b32_e32 v75, v75, v78, vcc_lo
	s_delay_alu instid0(VALU_DEP_1) | instskip(NEXT) | instid1(VALU_DEP_1)
	v_lshlrev_b32_e32 v75, 20, v75
	v_or3_b32 v75, v74, v77, v75
.LBB6_9808:                             ;   in Loop: Header=BB6_9353 Depth=3
	s_or_b32 exec_lo, exec_lo, s31
	s_delay_alu instid0(VALU_DEP_1) | instskip(NEXT) | instid1(VALU_DEP_1)
	v_dual_max_f32 v74, v75, v75 :: v_dual_max_f32 v75, v76, v76
	v_min_f32_e32 v76, v75, v74
.LBB6_9809:                             ;   in Loop: Header=BB6_9353 Depth=3
	s_waitcnt vmcnt(16) lgkmcnt(16)
	s_delay_alu instid0(VALU_DEP_1) | instskip(NEXT) | instid1(VALU_DEP_1)
	v_and_b32_e32 v74, 0x7f800000, v76
	v_cmp_ne_u32_e32 vcc_lo, 0x7f800000, v74
	v_mov_b32_e32 v74, 0x80
	s_and_saveexec_b32 s31, vcc_lo
	s_cbranch_execz .LBB6_9817
; %bb.9810:                             ;   in Loop: Header=BB6_9353 Depth=3
	v_mov_b32_e32 v74, 0
	s_mov_b32 s34, exec_lo
	v_cmpx_ne_u32_e32 0, v76
	s_cbranch_execz .LBB6_9816
; %bb.9811:                             ;   in Loop: Header=BB6_9353 Depth=3
	v_bfe_u32 v74, v76, 23, 8
	v_and_b32_e32 v75, 0x7fffff, v76
	s_delay_alu instid0(VALU_DEP_2) | instskip(SKIP_1) | instid1(VALU_DEP_3)
	v_sub_nc_u32_e32 v77, 0x78, v74
	v_cmp_gt_u32_e32 vcc_lo, 0x79, v74
	v_or_b32_e32 v78, 0x800000, v75
	s_delay_alu instid0(VALU_DEP_3) | instskip(SKIP_2) | instid1(VALU_DEP_3)
	v_cndmask_b32_e32 v77, 0, v77, vcc_lo
	v_cmp_eq_u32_e32 vcc_lo, 0, v74
	v_add_nc_u32_e32 v74, 0xffffff89, v74
	v_cndmask_b32_e64 v77, v77, 0x77, vcc_lo
	v_cndmask_b32_e32 v75, v78, v75, vcc_lo
	s_delay_alu instid0(VALU_DEP_3) | instskip(NEXT) | instid1(VALU_DEP_3)
	v_cndmask_b32_e64 v74, v74, 0xffffff8a, vcc_lo
	v_lshl_add_u32 v78, 0x100000, v77, -1
	s_delay_alu instid0(VALU_DEP_3) | instskip(SKIP_1) | instid1(VALU_DEP_4)
	v_lshrrev_b32_e32 v79, v77, v75
	v_lshlrev_b32_e64 v89, v77, 0x80000
	v_add_nc_u32_e32 v77, v77, v74
	s_delay_alu instid0(VALU_DEP_4) | instskip(NEXT) | instid1(VALU_DEP_4)
	v_and_b32_e32 v75, v78, v75
	v_bfe_u32 v88, v79, 20, 1
	s_delay_alu instid0(VALU_DEP_2) | instskip(NEXT) | instid1(VALU_DEP_2)
	v_cmp_eq_u32_e64 s13, v75, v89
	v_add_nc_u32_e32 v78, -1, v88
	s_delay_alu instid0(VALU_DEP_1) | instskip(SKIP_2) | instid1(VALU_DEP_2)
	v_cndmask_b32_e64 v75, 0, v78, s13
	v_lshrrev_b32_e32 v78, 23, v79
	s_mov_b32 s13, exec_lo
	v_add_nc_u32_e32 v75, v75, v79
	s_delay_alu instid0(VALU_DEP_2) | instskip(NEXT) | instid1(VALU_DEP_2)
	v_xor_b32_e32 v78, 1, v78
	v_and_b32_e32 v74, 0xfffff, v75
	s_delay_alu instid0(VALU_DEP_1) | instskip(NEXT) | instid1(VALU_DEP_3)
	v_add_nc_u32_e32 v75, v74, v79
                                        ; implicit-def: $vgpr74
	v_cmpx_ne_u32_e64 v77, v78
	s_xor_b32 s13, exec_lo, s13
; %bb.9812:                             ;   in Loop: Header=BB6_9353 Depth=3
	s_delay_alu instid0(VALU_DEP_2) | instskip(SKIP_2) | instid1(VALU_DEP_2)
	v_cmp_lt_u32_e32 vcc_lo, 0xffffff, v75
	v_sub_nc_u32_e32 v74, v77, v78
	v_cndmask_b32_e64 v77, 0, 1, vcc_lo
	v_add_co_ci_u32_e32 v74, vcc_lo, 0, v74, vcc_lo
	s_delay_alu instid0(VALU_DEP_2)
	v_lshrrev_b32_e32 v75, v77, v75
; %bb.9813:                             ;   in Loop: Header=BB6_9353 Depth=3
	s_and_not1_saveexec_b32 s13, s13
; %bb.9814:                             ;   in Loop: Header=BB6_9353 Depth=3
	s_delay_alu instid0(VALU_DEP_1)
	v_bfe_u32 v74, v75, 23, 1
; %bb.9815:                             ;   in Loop: Header=BB6_9353 Depth=3
	s_or_b32 exec_lo, exec_lo, s13
	v_lshrrev_b32_e32 v75, 20, v75
	s_delay_alu instid0(VALU_DEP_2) | instskip(SKIP_2) | instid1(VALU_DEP_2)
	v_cmp_gt_i32_e32 vcc_lo, 16, v74
	v_lshrrev_b32_e32 v76, 24, v76
	v_min_i32_e32 v77, 15, v74
	v_dual_cndmask_b32 v75, 7, v75 :: v_dual_and_b32 v76, 0x80, v76
	s_delay_alu instid0(VALU_DEP_1) | instskip(SKIP_1) | instid1(VALU_DEP_2)
	v_or_b32_e32 v74, v74, v75
	v_and_b32_e32 v78, 7, v75
	v_cmp_ne_u32_e32 vcc_lo, 0, v74
	v_lshlrev_b32_e32 v77, 3, v77
	s_delay_alu instid0(VALU_DEP_1) | instskip(NEXT) | instid1(VALU_DEP_1)
	v_or3_b32 v75, v77, v76, v78
	v_cndmask_b32_e32 v74, 0, v75, vcc_lo
.LBB6_9816:                             ;   in Loop: Header=BB6_9353 Depth=3
	s_or_b32 exec_lo, exec_lo, s34
.LBB6_9817:                             ;   in Loop: Header=BB6_9353 Depth=3
	s_delay_alu instid0(SALU_CYCLE_1) | instskip(NEXT) | instid1(SALU_CYCLE_1)
	s_or_b32 exec_lo, exec_lo, s31
	s_and_not1_b32 vcc_lo, exec_lo, s17
	s_cbranch_vccnz .LBB6_9827
; %bb.9818:                             ;   in Loop: Header=BB6_9353 Depth=3
	v_and_b32_e32 v76, 0xff, v73
	s_mov_b32 s13, 0
	s_mov_b32 s34, exec_lo
                                        ; implicit-def: $sgpr31
	s_delay_alu instid0(VALU_DEP_1)
	v_cmpx_lt_i16_e32 0x7f, v76
	s_xor_b32 s34, exec_lo, s34
	s_cbranch_execnz .LBB6_10535
; %bb.9819:                             ;   in Loop: Header=BB6_9353 Depth=3
	s_or_saveexec_b32 s34, s34
	v_mov_b32_e32 v75, s31
	s_xor_b32 exec_lo, exec_lo, s34
	s_cbranch_execnz .LBB6_10538
.LBB6_9820:                             ;   in Loop: Header=BB6_9353 Depth=3
	s_or_b32 exec_lo, exec_lo, s34
	s_and_saveexec_b32 s31, s13
	s_cbranch_execz .LBB6_9822
.LBB6_9821:                             ;   in Loop: Header=BB6_9353 Depth=3
	v_lshrrev_b16 v78, 3, v73
	v_lshlrev_b32_e32 v79, 24, v73
	s_delay_alu instid0(VALU_DEP_2) | instskip(NEXT) | instid1(VALU_DEP_1)
	v_and_b32_e32 v78, 15, v78
	v_cmp_eq_u32_e32 vcc_lo, 0, v78
	v_and_b32_e32 v75, 7, v73
	s_delay_alu instid0(VALU_DEP_1) | instskip(NEXT) | instid1(VALU_DEP_1)
	v_clz_i32_u32_e32 v76, v75
	v_min_u32_e32 v76, 32, v76
	s_delay_alu instid0(VALU_DEP_1) | instskip(SKIP_1) | instid1(VALU_DEP_1)
	v_subrev_nc_u32_e32 v77, 28, v76
	v_sub_nc_u32_e32 v76, 29, v76
	v_dual_cndmask_b32 v76, v78, v76 :: v_dual_lshlrev_b32 v77, v77, v73
	s_delay_alu instid0(VALU_DEP_1) | instskip(NEXT) | instid1(VALU_DEP_2)
	v_and_b32_e32 v77, 7, v77
	v_lshl_add_u32 v76, v76, 23, 0x3b800000
	s_delay_alu instid0(VALU_DEP_2) | instskip(SKIP_1) | instid1(VALU_DEP_2)
	v_cndmask_b32_e32 v75, v75, v77, vcc_lo
	v_and_b32_e32 v77, 0x80000000, v79
	v_lshlrev_b32_e32 v75, 20, v75
	s_delay_alu instid0(VALU_DEP_1)
	v_or3_b32 v75, v77, v76, v75
.LBB6_9822:                             ;   in Loop: Header=BB6_9353 Depth=3
	s_or_b32 exec_lo, exec_lo, s31
	s_waitcnt vmcnt(15) lgkmcnt(15)
	v_and_b32_e32 v77, 0xff, v72
	s_mov_b32 s13, 0
	s_mov_b32 s34, exec_lo
                                        ; implicit-def: $sgpr31
	s_delay_alu instid0(VALU_DEP_1)
	v_cmpx_lt_i16_e32 0x7f, v77
	s_xor_b32 s34, exec_lo, s34
	s_cbranch_execnz .LBB6_10539
; %bb.9823:                             ;   in Loop: Header=BB6_9353 Depth=3
	s_or_saveexec_b32 s34, s34
	v_mov_b32_e32 v76, s31
	s_xor_b32 exec_lo, exec_lo, s34
	s_cbranch_execnz .LBB6_10542
.LBB6_9824:                             ;   in Loop: Header=BB6_9353 Depth=3
	s_or_b32 exec_lo, exec_lo, s34
	s_and_saveexec_b32 s31, s13
	s_cbranch_execz .LBB6_9826
.LBB6_9825:                             ;   in Loop: Header=BB6_9353 Depth=3
	v_lshrrev_b16 v79, 3, v72
	v_lshlrev_b32_e32 v88, 24, v72
	s_delay_alu instid0(VALU_DEP_2) | instskip(NEXT) | instid1(VALU_DEP_1)
	v_and_b32_e32 v79, 15, v79
	v_cmp_eq_u32_e32 vcc_lo, 0, v79
	v_and_b32_e32 v76, 7, v72
	s_delay_alu instid0(VALU_DEP_1) | instskip(NEXT) | instid1(VALU_DEP_1)
	v_clz_i32_u32_e32 v77, v76
	v_min_u32_e32 v77, 32, v77
	s_delay_alu instid0(VALU_DEP_1) | instskip(SKIP_1) | instid1(VALU_DEP_1)
	v_subrev_nc_u32_e32 v78, 28, v77
	v_sub_nc_u32_e32 v77, 29, v77
	v_dual_cndmask_b32 v77, v79, v77 :: v_dual_lshlrev_b32 v78, v78, v72
	s_delay_alu instid0(VALU_DEP_1) | instskip(NEXT) | instid1(VALU_DEP_2)
	v_and_b32_e32 v78, 7, v78
	v_lshl_add_u32 v77, v77, 23, 0x3b800000
	s_delay_alu instid0(VALU_DEP_2) | instskip(SKIP_1) | instid1(VALU_DEP_2)
	v_cndmask_b32_e32 v76, v76, v78, vcc_lo
	v_and_b32_e32 v78, 0x80000000, v88
	v_lshlrev_b32_e32 v76, 20, v76
	s_delay_alu instid0(VALU_DEP_1)
	v_or3_b32 v76, v78, v77, v76
.LBB6_9826:                             ;   in Loop: Header=BB6_9353 Depth=3
	s_or_b32 exec_lo, exec_lo, s31
	s_delay_alu instid0(VALU_DEP_1) | instskip(SKIP_1) | instid1(VALU_DEP_1)
	v_dual_max_f32 v76, v76, v76 :: v_dual_max_f32 v75, v75, v75
	s_mov_b32 s13, 0
	v_max_f32_e32 v75, v75, v76
	s_branch .LBB6_9828
.LBB6_9827:                             ;   in Loop: Header=BB6_9353 Depth=3
	s_mov_b32 s13, -1
                                        ; implicit-def: $vgpr75
.LBB6_9828:                             ;   in Loop: Header=BB6_9353 Depth=3
	s_delay_alu instid0(SALU_CYCLE_1)
	s_and_b32 vcc_lo, exec_lo, s13
	s_cbranch_vccz .LBB6_9838
; %bb.9829:                             ;   in Loop: Header=BB6_9353 Depth=3
	v_and_b32_e32 v76, 0xff, v73
	s_mov_b32 s13, 0
	s_mov_b32 s34, exec_lo
                                        ; implicit-def: $sgpr31
	s_delay_alu instid0(VALU_DEP_1)
	v_cmpx_lt_i16_e32 0x7f, v76
	s_xor_b32 s34, exec_lo, s34
	s_cbranch_execnz .LBB6_10543
; %bb.9830:                             ;   in Loop: Header=BB6_9353 Depth=3
	s_or_saveexec_b32 s34, s34
	v_mov_b32_e32 v75, s31
	s_xor_b32 exec_lo, exec_lo, s34
	s_cbranch_execnz .LBB6_10546
.LBB6_9831:                             ;   in Loop: Header=BB6_9353 Depth=3
	s_or_b32 exec_lo, exec_lo, s34
	s_and_saveexec_b32 s31, s13
	s_cbranch_execz .LBB6_9833
.LBB6_9832:                             ;   in Loop: Header=BB6_9353 Depth=3
	v_lshrrev_b16 v78, 3, v73
	s_delay_alu instid0(VALU_DEP_1) | instskip(NEXT) | instid1(VALU_DEP_1)
	v_and_b32_e32 v78, 15, v78
	v_cmp_eq_u32_e32 vcc_lo, 0, v78
	v_and_b32_e32 v75, 7, v73
	s_delay_alu instid0(VALU_DEP_1) | instskip(NEXT) | instid1(VALU_DEP_1)
	v_clz_i32_u32_e32 v76, v75
	v_min_u32_e32 v76, 32, v76
	s_delay_alu instid0(VALU_DEP_1) | instskip(SKIP_1) | instid1(VALU_DEP_1)
	v_subrev_nc_u32_e32 v77, 28, v76
	v_sub_nc_u32_e32 v76, 29, v76
	v_dual_cndmask_b32 v76, v78, v76 :: v_dual_lshlrev_b32 v77, v77, v73
	v_lshlrev_b32_e32 v73, 24, v73
	s_delay_alu instid0(VALU_DEP_2) | instskip(NEXT) | instid1(VALU_DEP_3)
	v_and_b32_e32 v77, 7, v77
	v_lshl_add_u32 v76, v76, 23, 0x3b800000
	s_delay_alu instid0(VALU_DEP_3) | instskip(NEXT) | instid1(VALU_DEP_3)
	v_and_b32_e32 v73, 0x80000000, v73
	v_cndmask_b32_e32 v75, v75, v77, vcc_lo
	s_delay_alu instid0(VALU_DEP_1) | instskip(NEXT) | instid1(VALU_DEP_1)
	v_lshlrev_b32_e32 v75, 20, v75
	v_or3_b32 v75, v73, v76, v75
.LBB6_9833:                             ;   in Loop: Header=BB6_9353 Depth=3
	s_or_b32 exec_lo, exec_lo, s31
	s_waitcnt vmcnt(15) lgkmcnt(15)
	v_and_b32_e32 v76, 0xff, v72
	s_mov_b32 s13, 0
	s_mov_b32 s34, exec_lo
                                        ; implicit-def: $sgpr31
	s_delay_alu instid0(VALU_DEP_1)
	v_cmpx_lt_i16_e32 0x7f, v76
	s_xor_b32 s34, exec_lo, s34
	s_cbranch_execnz .LBB6_10547
; %bb.9834:                             ;   in Loop: Header=BB6_9353 Depth=3
	s_or_saveexec_b32 s34, s34
	v_mov_b32_e32 v73, s31
	s_xor_b32 exec_lo, exec_lo, s34
	s_cbranch_execnz .LBB6_10550
.LBB6_9835:                             ;   in Loop: Header=BB6_9353 Depth=3
	s_or_b32 exec_lo, exec_lo, s34
	s_and_saveexec_b32 s31, s13
	s_cbranch_execz .LBB6_9837
.LBB6_9836:                             ;   in Loop: Header=BB6_9353 Depth=3
	v_and_b32_e32 v73, 7, v72
	v_lshrrev_b16 v78, 3, v72
	s_delay_alu instid0(VALU_DEP_2) | instskip(NEXT) | instid1(VALU_DEP_1)
	v_clz_i32_u32_e32 v76, v73
	v_min_u32_e32 v76, 32, v76
	s_delay_alu instid0(VALU_DEP_1) | instskip(SKIP_1) | instid1(VALU_DEP_2)
	v_subrev_nc_u32_e32 v77, 28, v76
	v_sub_nc_u32_e32 v76, 29, v76
	v_lshlrev_b32_e32 v77, v77, v72
	v_lshlrev_b32_e32 v72, 24, v72
	s_delay_alu instid0(VALU_DEP_2) | instskip(SKIP_1) | instid1(VALU_DEP_3)
	v_and_b32_e32 v77, 7, v77
	v_and_b32_e32 v78, 15, v78
	;; [unrolled: 1-line block ×3, first 2 shown]
	s_delay_alu instid0(VALU_DEP_2) | instskip(NEXT) | instid1(VALU_DEP_4)
	v_cmp_eq_u32_e32 vcc_lo, 0, v78
	v_dual_cndmask_b32 v73, v73, v77 :: v_dual_cndmask_b32 v76, v78, v76
	s_delay_alu instid0(VALU_DEP_1) | instskip(NEXT) | instid1(VALU_DEP_2)
	v_lshlrev_b32_e32 v73, 20, v73
	v_lshl_add_u32 v76, v76, 23, 0x3b800000
	s_delay_alu instid0(VALU_DEP_1)
	v_or3_b32 v73, v72, v76, v73
.LBB6_9837:                             ;   in Loop: Header=BB6_9353 Depth=3
	s_or_b32 exec_lo, exec_lo, s31
	s_delay_alu instid0(VALU_DEP_1) | instskip(NEXT) | instid1(VALU_DEP_1)
	v_dual_max_f32 v72, v73, v73 :: v_dual_max_f32 v73, v75, v75
	v_min_f32_e32 v75, v73, v72
.LBB6_9838:                             ;   in Loop: Header=BB6_9353 Depth=3
	s_waitcnt vmcnt(15) lgkmcnt(15)
	s_delay_alu instid0(VALU_DEP_1) | instskip(NEXT) | instid1(VALU_DEP_1)
	v_and_b32_e32 v72, 0x7f800000, v75
	v_cmp_ne_u32_e32 vcc_lo, 0x7f800000, v72
	v_mov_b32_e32 v72, 0x80
	s_and_saveexec_b32 s31, vcc_lo
	s_cbranch_execz .LBB6_9846
; %bb.9839:                             ;   in Loop: Header=BB6_9353 Depth=3
	v_mov_b32_e32 v72, 0
	s_mov_b32 s34, exec_lo
	v_cmpx_ne_u32_e32 0, v75
	s_cbranch_execz .LBB6_9845
; %bb.9840:                             ;   in Loop: Header=BB6_9353 Depth=3
	v_bfe_u32 v72, v75, 23, 8
	s_delay_alu instid0(VALU_DEP_1) | instskip(SKIP_1) | instid1(VALU_DEP_2)
	v_sub_nc_u32_e32 v76, 0x78, v72
	v_cmp_gt_u32_e32 vcc_lo, 0x79, v72
	v_dual_cndmask_b32 v76, 0, v76 :: v_dual_and_b32 v73, 0x7fffff, v75
	s_delay_alu instid0(VALU_DEP_1) | instskip(SKIP_2) | instid1(VALU_DEP_4)
	v_or_b32_e32 v77, 0x800000, v73
	v_cmp_eq_u32_e32 vcc_lo, 0, v72
	v_add_nc_u32_e32 v72, 0xffffff89, v72
	v_cndmask_b32_e64 v76, v76, 0x77, vcc_lo
	s_delay_alu instid0(VALU_DEP_4) | instskip(NEXT) | instid1(VALU_DEP_3)
	v_cndmask_b32_e32 v73, v77, v73, vcc_lo
	v_cndmask_b32_e64 v72, v72, 0xffffff8a, vcc_lo
	s_delay_alu instid0(VALU_DEP_3) | instskip(NEXT) | instid1(VALU_DEP_3)
	v_lshl_add_u32 v77, 0x100000, v76, -1
	v_lshrrev_b32_e32 v78, v76, v73
	v_lshlrev_b32_e64 v88, v76, 0x80000
	s_delay_alu instid0(VALU_DEP_4) | instskip(NEXT) | instid1(VALU_DEP_4)
	v_add_nc_u32_e32 v76, v76, v72
	v_and_b32_e32 v73, v77, v73
	s_delay_alu instid0(VALU_DEP_4) | instskip(NEXT) | instid1(VALU_DEP_2)
	v_bfe_u32 v79, v78, 20, 1
	v_cmp_eq_u32_e64 s13, v73, v88
	s_delay_alu instid0(VALU_DEP_2) | instskip(NEXT) | instid1(VALU_DEP_1)
	v_add_nc_u32_e32 v77, -1, v79
	v_cndmask_b32_e64 v73, 0, v77, s13
	v_lshrrev_b32_e32 v77, 23, v78
	s_mov_b32 s13, exec_lo
	s_delay_alu instid0(VALU_DEP_2) | instskip(NEXT) | instid1(VALU_DEP_2)
	v_add_nc_u32_e32 v73, v73, v78
	v_xor_b32_e32 v77, 1, v77
	s_delay_alu instid0(VALU_DEP_2) | instskip(NEXT) | instid1(VALU_DEP_1)
	v_and_b32_e32 v72, 0xfffff, v73
	v_add_nc_u32_e32 v73, v72, v78
                                        ; implicit-def: $vgpr72
	s_delay_alu instid0(VALU_DEP_3)
	v_cmpx_ne_u32_e64 v76, v77
	s_xor_b32 s13, exec_lo, s13
; %bb.9841:                             ;   in Loop: Header=BB6_9353 Depth=3
	s_delay_alu instid0(VALU_DEP_2) | instskip(SKIP_2) | instid1(VALU_DEP_2)
	v_cmp_lt_u32_e32 vcc_lo, 0xffffff, v73
	v_sub_nc_u32_e32 v72, v76, v77
	v_cndmask_b32_e64 v76, 0, 1, vcc_lo
	v_add_co_ci_u32_e32 v72, vcc_lo, 0, v72, vcc_lo
	s_delay_alu instid0(VALU_DEP_2)
	v_lshrrev_b32_e32 v73, v76, v73
; %bb.9842:                             ;   in Loop: Header=BB6_9353 Depth=3
	s_and_not1_saveexec_b32 s13, s13
; %bb.9843:                             ;   in Loop: Header=BB6_9353 Depth=3
	s_delay_alu instid0(VALU_DEP_1)
	v_bfe_u32 v72, v73, 23, 1
; %bb.9844:                             ;   in Loop: Header=BB6_9353 Depth=3
	s_or_b32 exec_lo, exec_lo, s13
	v_lshrrev_b32_e32 v73, 20, v73
	s_delay_alu instid0(VALU_DEP_2) | instskip(SKIP_2) | instid1(VALU_DEP_2)
	v_cmp_gt_i32_e32 vcc_lo, 16, v72
	v_min_i32_e32 v76, 15, v72
	v_lshrrev_b32_e32 v75, 24, v75
	v_dual_cndmask_b32 v73, 7, v73 :: v_dual_lshlrev_b32 v76, 3, v76
	s_delay_alu instid0(VALU_DEP_1) | instskip(SKIP_1) | instid1(VALU_DEP_2)
	v_or_b32_e32 v72, v72, v73
	v_and_b32_e32 v77, 7, v73
	v_cmp_ne_u32_e32 vcc_lo, 0, v72
	v_and_b32_e32 v75, 0x80, v75
	s_delay_alu instid0(VALU_DEP_1) | instskip(NEXT) | instid1(VALU_DEP_1)
	v_or3_b32 v73, v76, v75, v77
	v_cndmask_b32_e32 v72, 0, v73, vcc_lo
.LBB6_9845:                             ;   in Loop: Header=BB6_9353 Depth=3
	s_or_b32 exec_lo, exec_lo, s34
.LBB6_9846:                             ;   in Loop: Header=BB6_9353 Depth=3
	s_delay_alu instid0(SALU_CYCLE_1) | instskip(NEXT) | instid1(SALU_CYCLE_1)
	s_or_b32 exec_lo, exec_lo, s31
	s_and_not1_b32 vcc_lo, exec_lo, s17
	s_cbranch_vccnz .LBB6_9856
; %bb.9847:                             ;   in Loop: Header=BB6_9353 Depth=3
	v_and_b32_e32 v75, 0xff, v62
	s_mov_b32 s13, 0
	s_mov_b32 s34, exec_lo
                                        ; implicit-def: $sgpr31
	s_delay_alu instid0(VALU_DEP_1)
	v_cmpx_lt_i16_e32 0x7f, v75
	s_xor_b32 s34, exec_lo, s34
	s_cbranch_execnz .LBB6_10551
; %bb.9848:                             ;   in Loop: Header=BB6_9353 Depth=3
	s_or_saveexec_b32 s34, s34
	v_mov_b32_e32 v73, s31
	s_xor_b32 exec_lo, exec_lo, s34
	s_cbranch_execnz .LBB6_10554
.LBB6_9849:                             ;   in Loop: Header=BB6_9353 Depth=3
	s_or_b32 exec_lo, exec_lo, s34
	s_and_saveexec_b32 s31, s13
	s_cbranch_execz .LBB6_9851
.LBB6_9850:                             ;   in Loop: Header=BB6_9353 Depth=3
	v_and_b32_e32 v73, 7, v62
	v_lshrrev_b16 v77, 3, v62
	s_delay_alu instid0(VALU_DEP_2) | instskip(NEXT) | instid1(VALU_DEP_2)
	v_clz_i32_u32_e32 v75, v73
	v_and_b32_e32 v77, 15, v77
	s_delay_alu instid0(VALU_DEP_2) | instskip(NEXT) | instid1(VALU_DEP_2)
	v_min_u32_e32 v75, 32, v75
	v_cmp_eq_u32_e32 vcc_lo, 0, v77
	s_delay_alu instid0(VALU_DEP_2) | instskip(SKIP_1) | instid1(VALU_DEP_1)
	v_subrev_nc_u32_e32 v76, 28, v75
	v_sub_nc_u32_e32 v75, 29, v75
	v_dual_cndmask_b32 v75, v77, v75 :: v_dual_lshlrev_b32 v76, v76, v62
	s_delay_alu instid0(VALU_DEP_1) | instskip(SKIP_1) | instid1(VALU_DEP_3)
	v_and_b32_e32 v76, 7, v76
	v_lshlrev_b32_e32 v78, 24, v62
	v_lshl_add_u32 v75, v75, 23, 0x3b800000
	s_delay_alu instid0(VALU_DEP_2) | instskip(NEXT) | instid1(VALU_DEP_1)
	v_dual_cndmask_b32 v73, v73, v76 :: v_dual_and_b32 v76, 0x80000000, v78
	v_lshlrev_b32_e32 v73, 20, v73
	s_delay_alu instid0(VALU_DEP_1)
	v_or3_b32 v73, v76, v75, v73
.LBB6_9851:                             ;   in Loop: Header=BB6_9353 Depth=3
	s_or_b32 exec_lo, exec_lo, s31
	s_waitcnt vmcnt(14) lgkmcnt(14)
	v_and_b32_e32 v76, 0xff, v61
	s_mov_b32 s13, 0
	s_mov_b32 s34, exec_lo
                                        ; implicit-def: $sgpr31
	s_delay_alu instid0(VALU_DEP_1)
	v_cmpx_lt_i16_e32 0x7f, v76
	s_xor_b32 s34, exec_lo, s34
	s_cbranch_execnz .LBB6_10555
; %bb.9852:                             ;   in Loop: Header=BB6_9353 Depth=3
	s_or_saveexec_b32 s34, s34
	v_mov_b32_e32 v75, s31
	s_xor_b32 exec_lo, exec_lo, s34
	s_cbranch_execnz .LBB6_10558
.LBB6_9853:                             ;   in Loop: Header=BB6_9353 Depth=3
	s_or_b32 exec_lo, exec_lo, s34
	s_and_saveexec_b32 s31, s13
	s_cbranch_execz .LBB6_9855
.LBB6_9854:                             ;   in Loop: Header=BB6_9353 Depth=3
	v_lshrrev_b16 v78, 3, v61
	v_lshlrev_b32_e32 v79, 24, v61
	s_delay_alu instid0(VALU_DEP_2) | instskip(NEXT) | instid1(VALU_DEP_1)
	v_and_b32_e32 v78, 15, v78
	v_cmp_eq_u32_e32 vcc_lo, 0, v78
	v_and_b32_e32 v75, 7, v61
	s_delay_alu instid0(VALU_DEP_1) | instskip(NEXT) | instid1(VALU_DEP_1)
	v_clz_i32_u32_e32 v76, v75
	v_min_u32_e32 v76, 32, v76
	s_delay_alu instid0(VALU_DEP_1) | instskip(SKIP_1) | instid1(VALU_DEP_1)
	v_subrev_nc_u32_e32 v77, 28, v76
	v_sub_nc_u32_e32 v76, 29, v76
	v_dual_cndmask_b32 v76, v78, v76 :: v_dual_lshlrev_b32 v77, v77, v61
	s_delay_alu instid0(VALU_DEP_1) | instskip(NEXT) | instid1(VALU_DEP_2)
	v_and_b32_e32 v77, 7, v77
	v_lshl_add_u32 v76, v76, 23, 0x3b800000
	s_delay_alu instid0(VALU_DEP_2) | instskip(SKIP_1) | instid1(VALU_DEP_2)
	v_cndmask_b32_e32 v75, v75, v77, vcc_lo
	v_and_b32_e32 v77, 0x80000000, v79
	v_lshlrev_b32_e32 v75, 20, v75
	s_delay_alu instid0(VALU_DEP_1)
	v_or3_b32 v75, v77, v76, v75
.LBB6_9855:                             ;   in Loop: Header=BB6_9353 Depth=3
	s_or_b32 exec_lo, exec_lo, s31
	s_delay_alu instid0(VALU_DEP_1) | instskip(SKIP_2) | instid1(VALU_DEP_1)
	v_max_f32_e32 v75, v75, v75
	v_max_f32_e32 v73, v73, v73
	s_mov_b32 s13, 0
	v_max_f32_e32 v73, v73, v75
	s_branch .LBB6_9857
.LBB6_9856:                             ;   in Loop: Header=BB6_9353 Depth=3
	s_mov_b32 s13, -1
                                        ; implicit-def: $vgpr73
.LBB6_9857:                             ;   in Loop: Header=BB6_9353 Depth=3
	s_delay_alu instid0(SALU_CYCLE_1)
	s_and_b32 vcc_lo, exec_lo, s13
	s_cbranch_vccz .LBB6_9867
; %bb.9858:                             ;   in Loop: Header=BB6_9353 Depth=3
	v_and_b32_e32 v75, 0xff, v62
	s_mov_b32 s13, 0
	s_mov_b32 s34, exec_lo
                                        ; implicit-def: $sgpr31
	s_delay_alu instid0(VALU_DEP_1)
	v_cmpx_lt_i16_e32 0x7f, v75
	s_xor_b32 s34, exec_lo, s34
	s_cbranch_execnz .LBB6_10559
; %bb.9859:                             ;   in Loop: Header=BB6_9353 Depth=3
	s_or_saveexec_b32 s34, s34
	v_mov_b32_e32 v73, s31
	s_xor_b32 exec_lo, exec_lo, s34
	s_cbranch_execnz .LBB6_10562
.LBB6_9860:                             ;   in Loop: Header=BB6_9353 Depth=3
	s_or_b32 exec_lo, exec_lo, s34
	s_and_saveexec_b32 s31, s13
	s_cbranch_execz .LBB6_9862
.LBB6_9861:                             ;   in Loop: Header=BB6_9353 Depth=3
	v_and_b32_e32 v73, 7, v62
	v_lshrrev_b16 v77, 3, v62
	s_delay_alu instid0(VALU_DEP_2) | instskip(NEXT) | instid1(VALU_DEP_2)
	v_clz_i32_u32_e32 v75, v73
	v_and_b32_e32 v77, 15, v77
	s_delay_alu instid0(VALU_DEP_2) | instskip(NEXT) | instid1(VALU_DEP_2)
	v_min_u32_e32 v75, 32, v75
	v_cmp_eq_u32_e32 vcc_lo, 0, v77
	s_delay_alu instid0(VALU_DEP_2) | instskip(SKIP_1) | instid1(VALU_DEP_1)
	v_subrev_nc_u32_e32 v76, 28, v75
	v_sub_nc_u32_e32 v75, 29, v75
	v_dual_cndmask_b32 v75, v77, v75 :: v_dual_lshlrev_b32 v76, v76, v62
	s_delay_alu instid0(VALU_DEP_1) | instskip(SKIP_1) | instid1(VALU_DEP_3)
	v_and_b32_e32 v76, 7, v76
	v_lshlrev_b32_e32 v62, 24, v62
	v_lshl_add_u32 v75, v75, 23, 0x3b800000
	s_delay_alu instid0(VALU_DEP_2) | instskip(NEXT) | instid1(VALU_DEP_1)
	v_dual_cndmask_b32 v73, v73, v76 :: v_dual_and_b32 v62, 0x80000000, v62
	v_lshlrev_b32_e32 v73, 20, v73
	s_delay_alu instid0(VALU_DEP_1)
	v_or3_b32 v73, v62, v75, v73
.LBB6_9862:                             ;   in Loop: Header=BB6_9353 Depth=3
	s_or_b32 exec_lo, exec_lo, s31
	s_waitcnt vmcnt(14) lgkmcnt(14)
	v_and_b32_e32 v75, 0xff, v61
	s_mov_b32 s13, 0
	s_mov_b32 s34, exec_lo
                                        ; implicit-def: $sgpr31
	s_delay_alu instid0(VALU_DEP_1)
	v_cmpx_lt_i16_e32 0x7f, v75
	s_xor_b32 s34, exec_lo, s34
	s_cbranch_execnz .LBB6_10563
; %bb.9863:                             ;   in Loop: Header=BB6_9353 Depth=3
	s_or_saveexec_b32 s34, s34
	v_mov_b32_e32 v62, s31
	s_xor_b32 exec_lo, exec_lo, s34
	s_cbranch_execnz .LBB6_10566
.LBB6_9864:                             ;   in Loop: Header=BB6_9353 Depth=3
	s_or_b32 exec_lo, exec_lo, s34
	s_and_saveexec_b32 s31, s13
	s_cbranch_execz .LBB6_9866
.LBB6_9865:                             ;   in Loop: Header=BB6_9353 Depth=3
	v_lshrrev_b16 v77, 3, v61
	s_delay_alu instid0(VALU_DEP_1) | instskip(NEXT) | instid1(VALU_DEP_1)
	v_and_b32_e32 v77, 15, v77
	v_cmp_eq_u32_e32 vcc_lo, 0, v77
	v_and_b32_e32 v62, 7, v61
	s_delay_alu instid0(VALU_DEP_1) | instskip(NEXT) | instid1(VALU_DEP_1)
	v_clz_i32_u32_e32 v75, v62
	v_min_u32_e32 v75, 32, v75
	s_delay_alu instid0(VALU_DEP_1) | instskip(SKIP_1) | instid1(VALU_DEP_1)
	v_subrev_nc_u32_e32 v76, 28, v75
	v_sub_nc_u32_e32 v75, 29, v75
	v_dual_cndmask_b32 v75, v77, v75 :: v_dual_lshlrev_b32 v76, v76, v61
	v_lshlrev_b32_e32 v61, 24, v61
	s_delay_alu instid0(VALU_DEP_2) | instskip(NEXT) | instid1(VALU_DEP_3)
	v_and_b32_e32 v76, 7, v76
	v_lshl_add_u32 v75, v75, 23, 0x3b800000
	s_delay_alu instid0(VALU_DEP_2) | instskip(NEXT) | instid1(VALU_DEP_1)
	v_dual_cndmask_b32 v62, v62, v76 :: v_dual_and_b32 v61, 0x80000000, v61
	v_lshlrev_b32_e32 v62, 20, v62
	s_delay_alu instid0(VALU_DEP_1)
	v_or3_b32 v62, v61, v75, v62
.LBB6_9866:                             ;   in Loop: Header=BB6_9353 Depth=3
	s_or_b32 exec_lo, exec_lo, s31
	s_delay_alu instid0(VALU_DEP_1) | instskip(NEXT) | instid1(VALU_DEP_1)
	v_dual_max_f32 v61, v62, v62 :: v_dual_max_f32 v62, v73, v73
	v_min_f32_e32 v73, v62, v61
.LBB6_9867:                             ;   in Loop: Header=BB6_9353 Depth=3
	s_waitcnt vmcnt(14) lgkmcnt(14)
	s_delay_alu instid0(VALU_DEP_1) | instskip(NEXT) | instid1(VALU_DEP_1)
	v_and_b32_e32 v61, 0x7f800000, v73
	v_cmp_ne_u32_e32 vcc_lo, 0x7f800000, v61
	v_mov_b32_e32 v61, 0x80
	s_and_saveexec_b32 s31, vcc_lo
	s_cbranch_execz .LBB6_9875
; %bb.9868:                             ;   in Loop: Header=BB6_9353 Depth=3
	v_mov_b32_e32 v61, 0
	s_mov_b32 s34, exec_lo
	v_cmpx_ne_u32_e32 0, v73
	s_cbranch_execz .LBB6_9874
; %bb.9869:                             ;   in Loop: Header=BB6_9353 Depth=3
	v_bfe_u32 v61, v73, 23, 8
	s_delay_alu instid0(VALU_DEP_1) | instskip(SKIP_1) | instid1(VALU_DEP_2)
	v_sub_nc_u32_e32 v75, 0x78, v61
	v_cmp_gt_u32_e32 vcc_lo, 0x79, v61
	v_dual_cndmask_b32 v75, 0, v75 :: v_dual_and_b32 v62, 0x7fffff, v73
	s_delay_alu instid0(VALU_DEP_1) | instskip(SKIP_2) | instid1(VALU_DEP_4)
	v_or_b32_e32 v76, 0x800000, v62
	v_cmp_eq_u32_e32 vcc_lo, 0, v61
	v_add_nc_u32_e32 v61, 0xffffff89, v61
	v_cndmask_b32_e64 v75, v75, 0x77, vcc_lo
	s_delay_alu instid0(VALU_DEP_4) | instskip(NEXT) | instid1(VALU_DEP_3)
	v_cndmask_b32_e32 v62, v76, v62, vcc_lo
	v_cndmask_b32_e64 v61, v61, 0xffffff8a, vcc_lo
	s_delay_alu instid0(VALU_DEP_3) | instskip(NEXT) | instid1(VALU_DEP_3)
	v_lshl_add_u32 v76, 0x100000, v75, -1
	v_lshrrev_b32_e32 v77, v75, v62
	v_lshlrev_b32_e64 v79, v75, 0x80000
	s_delay_alu instid0(VALU_DEP_4) | instskip(NEXT) | instid1(VALU_DEP_4)
	v_add_nc_u32_e32 v75, v75, v61
	v_and_b32_e32 v62, v76, v62
	s_delay_alu instid0(VALU_DEP_4) | instskip(NEXT) | instid1(VALU_DEP_2)
	v_bfe_u32 v78, v77, 20, 1
	v_cmp_eq_u32_e64 s13, v62, v79
	s_delay_alu instid0(VALU_DEP_2) | instskip(NEXT) | instid1(VALU_DEP_1)
	v_add_nc_u32_e32 v76, -1, v78
	v_cndmask_b32_e64 v62, 0, v76, s13
	v_lshrrev_b32_e32 v76, 23, v77
	s_mov_b32 s13, exec_lo
	s_delay_alu instid0(VALU_DEP_2) | instskip(NEXT) | instid1(VALU_DEP_2)
	v_add_nc_u32_e32 v62, v62, v77
	v_xor_b32_e32 v76, 1, v76
	s_delay_alu instid0(VALU_DEP_2) | instskip(NEXT) | instid1(VALU_DEP_1)
	v_and_b32_e32 v61, 0xfffff, v62
	v_add_nc_u32_e32 v62, v61, v77
                                        ; implicit-def: $vgpr61
	s_delay_alu instid0(VALU_DEP_3)
	v_cmpx_ne_u32_e64 v75, v76
	s_xor_b32 s13, exec_lo, s13
; %bb.9870:                             ;   in Loop: Header=BB6_9353 Depth=3
	s_delay_alu instid0(VALU_DEP_2) | instskip(SKIP_2) | instid1(VALU_DEP_2)
	v_cmp_lt_u32_e32 vcc_lo, 0xffffff, v62
	v_sub_nc_u32_e32 v61, v75, v76
	v_cndmask_b32_e64 v75, 0, 1, vcc_lo
	v_add_co_ci_u32_e32 v61, vcc_lo, 0, v61, vcc_lo
	s_delay_alu instid0(VALU_DEP_2)
	v_lshrrev_b32_e32 v62, v75, v62
; %bb.9871:                             ;   in Loop: Header=BB6_9353 Depth=3
	s_and_not1_saveexec_b32 s13, s13
; %bb.9872:                             ;   in Loop: Header=BB6_9353 Depth=3
	s_delay_alu instid0(VALU_DEP_1)
	v_bfe_u32 v61, v62, 23, 1
; %bb.9873:                             ;   in Loop: Header=BB6_9353 Depth=3
	s_or_b32 exec_lo, exec_lo, s13
	v_lshrrev_b32_e32 v62, 20, v62
	s_delay_alu instid0(VALU_DEP_2) | instskip(SKIP_2) | instid1(VALU_DEP_2)
	v_cmp_gt_i32_e32 vcc_lo, 16, v61
	v_lshrrev_b32_e32 v73, 24, v73
	v_min_i32_e32 v75, 15, v61
	v_dual_cndmask_b32 v62, 7, v62 :: v_dual_and_b32 v73, 0x80, v73
	s_delay_alu instid0(VALU_DEP_2) | instskip(NEXT) | instid1(VALU_DEP_2)
	v_lshlrev_b32_e32 v75, 3, v75
	v_and_b32_e32 v76, 7, v62
	v_or_b32_e32 v61, v61, v62
	s_delay_alu instid0(VALU_DEP_2) | instskip(NEXT) | instid1(VALU_DEP_2)
	v_or3_b32 v62, v75, v73, v76
	v_cmp_ne_u32_e32 vcc_lo, 0, v61
	s_delay_alu instid0(VALU_DEP_2)
	v_cndmask_b32_e32 v61, 0, v62, vcc_lo
.LBB6_9874:                             ;   in Loop: Header=BB6_9353 Depth=3
	s_or_b32 exec_lo, exec_lo, s34
.LBB6_9875:                             ;   in Loop: Header=BB6_9353 Depth=3
	s_delay_alu instid0(SALU_CYCLE_1) | instskip(NEXT) | instid1(SALU_CYCLE_1)
	s_or_b32 exec_lo, exec_lo, s31
	s_and_not1_b32 vcc_lo, exec_lo, s17
	s_cbranch_vccnz .LBB6_9885
; %bb.9876:                             ;   in Loop: Header=BB6_9353 Depth=3
	v_and_b32_e32 v73, 0xff, v59
	s_mov_b32 s13, 0
	s_mov_b32 s34, exec_lo
                                        ; implicit-def: $sgpr31
	s_delay_alu instid0(VALU_DEP_1)
	v_cmpx_lt_i16_e32 0x7f, v73
	s_xor_b32 s34, exec_lo, s34
	s_cbranch_execnz .LBB6_10567
; %bb.9877:                             ;   in Loop: Header=BB6_9353 Depth=3
	s_or_saveexec_b32 s34, s34
	v_mov_b32_e32 v62, s31
	s_xor_b32 exec_lo, exec_lo, s34
	s_cbranch_execnz .LBB6_10570
.LBB6_9878:                             ;   in Loop: Header=BB6_9353 Depth=3
	s_or_b32 exec_lo, exec_lo, s34
	s_and_saveexec_b32 s31, s13
	s_cbranch_execz .LBB6_9880
.LBB6_9879:                             ;   in Loop: Header=BB6_9353 Depth=3
	v_lshrrev_b16 v76, 3, v59
	v_lshlrev_b32_e32 v77, 24, v59
	s_delay_alu instid0(VALU_DEP_2) | instskip(NEXT) | instid1(VALU_DEP_1)
	v_and_b32_e32 v76, 15, v76
	v_cmp_eq_u32_e32 vcc_lo, 0, v76
	v_and_b32_e32 v62, 7, v59
	s_delay_alu instid0(VALU_DEP_1) | instskip(NEXT) | instid1(VALU_DEP_1)
	v_clz_i32_u32_e32 v73, v62
	v_min_u32_e32 v73, 32, v73
	s_delay_alu instid0(VALU_DEP_1) | instskip(SKIP_1) | instid1(VALU_DEP_2)
	v_subrev_nc_u32_e32 v75, 28, v73
	v_sub_nc_u32_e32 v73, 29, v73
	v_lshlrev_b32_e32 v75, v75, v59
	s_delay_alu instid0(VALU_DEP_2) | instskip(NEXT) | instid1(VALU_DEP_2)
	v_cndmask_b32_e32 v73, v76, v73, vcc_lo
	v_and_b32_e32 v75, 7, v75
	s_delay_alu instid0(VALU_DEP_2) | instskip(NEXT) | instid1(VALU_DEP_2)
	v_lshl_add_u32 v73, v73, 23, 0x3b800000
	v_dual_cndmask_b32 v62, v62, v75 :: v_dual_and_b32 v75, 0x80000000, v77
	s_delay_alu instid0(VALU_DEP_1) | instskip(NEXT) | instid1(VALU_DEP_1)
	v_lshlrev_b32_e32 v62, 20, v62
	v_or3_b32 v62, v75, v73, v62
.LBB6_9880:                             ;   in Loop: Header=BB6_9353 Depth=3
	s_or_b32 exec_lo, exec_lo, s31
	s_waitcnt vmcnt(13) lgkmcnt(13)
	v_and_b32_e32 v75, 0xff, v58
	s_mov_b32 s13, 0
	s_mov_b32 s34, exec_lo
                                        ; implicit-def: $sgpr31
	s_delay_alu instid0(VALU_DEP_1)
	v_cmpx_lt_i16_e32 0x7f, v75
	s_xor_b32 s34, exec_lo, s34
	s_cbranch_execnz .LBB6_10571
; %bb.9881:                             ;   in Loop: Header=BB6_9353 Depth=3
	s_or_saveexec_b32 s34, s34
	v_mov_b32_e32 v73, s31
	s_xor_b32 exec_lo, exec_lo, s34
	s_cbranch_execnz .LBB6_10574
.LBB6_9882:                             ;   in Loop: Header=BB6_9353 Depth=3
	s_or_b32 exec_lo, exec_lo, s34
	s_and_saveexec_b32 s31, s13
	s_cbranch_execz .LBB6_9884
.LBB6_9883:                             ;   in Loop: Header=BB6_9353 Depth=3
	v_and_b32_e32 v73, 7, v58
	v_lshrrev_b16 v77, 3, v58
	s_delay_alu instid0(VALU_DEP_2) | instskip(NEXT) | instid1(VALU_DEP_2)
	v_clz_i32_u32_e32 v75, v73
	v_and_b32_e32 v77, 15, v77
	s_delay_alu instid0(VALU_DEP_2) | instskip(NEXT) | instid1(VALU_DEP_2)
	v_min_u32_e32 v75, 32, v75
	v_cmp_eq_u32_e32 vcc_lo, 0, v77
	s_delay_alu instid0(VALU_DEP_2) | instskip(SKIP_1) | instid1(VALU_DEP_1)
	v_subrev_nc_u32_e32 v76, 28, v75
	v_sub_nc_u32_e32 v75, 29, v75
	v_dual_cndmask_b32 v75, v77, v75 :: v_dual_lshlrev_b32 v76, v76, v58
	s_delay_alu instid0(VALU_DEP_1) | instskip(SKIP_1) | instid1(VALU_DEP_3)
	v_and_b32_e32 v76, 7, v76
	v_lshlrev_b32_e32 v78, 24, v58
	v_lshl_add_u32 v75, v75, 23, 0x3b800000
	s_delay_alu instid0(VALU_DEP_2) | instskip(NEXT) | instid1(VALU_DEP_1)
	v_dual_cndmask_b32 v73, v73, v76 :: v_dual_and_b32 v76, 0x80000000, v78
	v_lshlrev_b32_e32 v73, 20, v73
	s_delay_alu instid0(VALU_DEP_1)
	v_or3_b32 v73, v76, v75, v73
.LBB6_9884:                             ;   in Loop: Header=BB6_9353 Depth=3
	s_or_b32 exec_lo, exec_lo, s31
	s_delay_alu instid0(VALU_DEP_1) | instskip(SKIP_1) | instid1(VALU_DEP_1)
	v_dual_max_f32 v73, v73, v73 :: v_dual_max_f32 v62, v62, v62
	s_mov_b32 s13, 0
	v_max_f32_e32 v62, v62, v73
	s_branch .LBB6_9886
.LBB6_9885:                             ;   in Loop: Header=BB6_9353 Depth=3
	s_mov_b32 s13, -1
                                        ; implicit-def: $vgpr62
.LBB6_9886:                             ;   in Loop: Header=BB6_9353 Depth=3
	s_delay_alu instid0(SALU_CYCLE_1)
	s_and_b32 vcc_lo, exec_lo, s13
	s_cbranch_vccz .LBB6_9896
; %bb.9887:                             ;   in Loop: Header=BB6_9353 Depth=3
	v_and_b32_e32 v73, 0xff, v59
	s_mov_b32 s13, 0
	s_mov_b32 s34, exec_lo
                                        ; implicit-def: $sgpr31
	s_delay_alu instid0(VALU_DEP_1)
	v_cmpx_lt_i16_e32 0x7f, v73
	s_xor_b32 s34, exec_lo, s34
	s_cbranch_execnz .LBB6_10575
; %bb.9888:                             ;   in Loop: Header=BB6_9353 Depth=3
	s_or_saveexec_b32 s34, s34
	v_mov_b32_e32 v62, s31
	s_xor_b32 exec_lo, exec_lo, s34
	s_cbranch_execnz .LBB6_10578
.LBB6_9889:                             ;   in Loop: Header=BB6_9353 Depth=3
	s_or_b32 exec_lo, exec_lo, s34
	s_and_saveexec_b32 s31, s13
	s_cbranch_execz .LBB6_9891
.LBB6_9890:                             ;   in Loop: Header=BB6_9353 Depth=3
	v_lshrrev_b16 v76, 3, v59
	s_delay_alu instid0(VALU_DEP_1) | instskip(NEXT) | instid1(VALU_DEP_1)
	v_and_b32_e32 v76, 15, v76
	v_cmp_eq_u32_e32 vcc_lo, 0, v76
	v_and_b32_e32 v62, 7, v59
	s_delay_alu instid0(VALU_DEP_1) | instskip(NEXT) | instid1(VALU_DEP_1)
	v_clz_i32_u32_e32 v73, v62
	v_min_u32_e32 v73, 32, v73
	s_delay_alu instid0(VALU_DEP_1) | instskip(SKIP_1) | instid1(VALU_DEP_2)
	v_subrev_nc_u32_e32 v75, 28, v73
	v_sub_nc_u32_e32 v73, 29, v73
	v_lshlrev_b32_e32 v75, v75, v59
	s_delay_alu instid0(VALU_DEP_2) | instskip(SKIP_1) | instid1(VALU_DEP_3)
	v_cndmask_b32_e32 v73, v76, v73, vcc_lo
	v_lshlrev_b32_e32 v59, 24, v59
	v_and_b32_e32 v75, 7, v75
	s_delay_alu instid0(VALU_DEP_3) | instskip(NEXT) | instid1(VALU_DEP_3)
	v_lshl_add_u32 v73, v73, 23, 0x3b800000
	v_and_b32_e32 v59, 0x80000000, v59
	s_delay_alu instid0(VALU_DEP_3) | instskip(NEXT) | instid1(VALU_DEP_1)
	v_cndmask_b32_e32 v62, v62, v75, vcc_lo
	v_lshlrev_b32_e32 v62, 20, v62
	s_delay_alu instid0(VALU_DEP_1)
	v_or3_b32 v62, v59, v73, v62
.LBB6_9891:                             ;   in Loop: Header=BB6_9353 Depth=3
	s_or_b32 exec_lo, exec_lo, s31
	s_waitcnt vmcnt(13) lgkmcnt(13)
	v_and_b32_e32 v73, 0xff, v58
	s_mov_b32 s13, 0
	s_mov_b32 s34, exec_lo
                                        ; implicit-def: $sgpr31
	s_delay_alu instid0(VALU_DEP_1)
	v_cmpx_lt_i16_e32 0x7f, v73
	s_xor_b32 s34, exec_lo, s34
	s_cbranch_execnz .LBB6_10579
; %bb.9892:                             ;   in Loop: Header=BB6_9353 Depth=3
	s_or_saveexec_b32 s34, s34
	v_mov_b32_e32 v59, s31
	s_xor_b32 exec_lo, exec_lo, s34
	s_cbranch_execnz .LBB6_10582
.LBB6_9893:                             ;   in Loop: Header=BB6_9353 Depth=3
	s_or_b32 exec_lo, exec_lo, s34
	s_and_saveexec_b32 s31, s13
	s_cbranch_execz .LBB6_9895
.LBB6_9894:                             ;   in Loop: Header=BB6_9353 Depth=3
	v_and_b32_e32 v59, 7, v58
	v_lshrrev_b16 v76, 3, v58
	s_delay_alu instid0(VALU_DEP_2) | instskip(NEXT) | instid1(VALU_DEP_1)
	v_clz_i32_u32_e32 v73, v59
	v_min_u32_e32 v73, 32, v73
	s_delay_alu instid0(VALU_DEP_1) | instskip(SKIP_1) | instid1(VALU_DEP_2)
	v_subrev_nc_u32_e32 v75, 28, v73
	v_sub_nc_u32_e32 v73, 29, v73
	v_lshlrev_b32_e32 v75, v75, v58
	s_delay_alu instid0(VALU_DEP_1) | instskip(SKIP_1) | instid1(VALU_DEP_1)
	v_and_b32_e32 v75, 7, v75
	v_and_b32_e32 v76, 15, v76
	v_cmp_eq_u32_e32 vcc_lo, 0, v76
	s_delay_alu instid0(VALU_DEP_3) | instskip(SKIP_1) | instid1(VALU_DEP_2)
	v_dual_cndmask_b32 v59, v59, v75 :: v_dual_lshlrev_b32 v58, 24, v58
	v_cndmask_b32_e32 v73, v76, v73, vcc_lo
	v_lshlrev_b32_e32 v59, 20, v59
	s_delay_alu instid0(VALU_DEP_3) | instskip(NEXT) | instid1(VALU_DEP_3)
	v_and_b32_e32 v58, 0x80000000, v58
	v_lshl_add_u32 v73, v73, 23, 0x3b800000
	s_delay_alu instid0(VALU_DEP_1)
	v_or3_b32 v59, v58, v73, v59
.LBB6_9895:                             ;   in Loop: Header=BB6_9353 Depth=3
	s_or_b32 exec_lo, exec_lo, s31
	s_delay_alu instid0(VALU_DEP_1) | instskip(NEXT) | instid1(VALU_DEP_1)
	v_dual_max_f32 v58, v59, v59 :: v_dual_max_f32 v59, v62, v62
	v_min_f32_e32 v62, v59, v58
.LBB6_9896:                             ;   in Loop: Header=BB6_9353 Depth=3
	s_waitcnt vmcnt(13) lgkmcnt(13)
	s_delay_alu instid0(VALU_DEP_1) | instskip(NEXT) | instid1(VALU_DEP_1)
	v_and_b32_e32 v58, 0x7f800000, v62
	v_cmp_ne_u32_e32 vcc_lo, 0x7f800000, v58
	v_mov_b32_e32 v58, 0x80
	s_and_saveexec_b32 s31, vcc_lo
	s_cbranch_execz .LBB6_9904
; %bb.9897:                             ;   in Loop: Header=BB6_9353 Depth=3
	v_mov_b32_e32 v58, 0
	s_mov_b32 s34, exec_lo
	v_cmpx_ne_u32_e32 0, v62
	s_cbranch_execz .LBB6_9903
; %bb.9898:                             ;   in Loop: Header=BB6_9353 Depth=3
	v_bfe_u32 v58, v62, 23, 8
	v_and_b32_e32 v59, 0x7fffff, v62
	s_delay_alu instid0(VALU_DEP_2) | instskip(SKIP_1) | instid1(VALU_DEP_3)
	v_sub_nc_u32_e32 v73, 0x78, v58
	v_cmp_gt_u32_e32 vcc_lo, 0x79, v58
	v_or_b32_e32 v75, 0x800000, v59
	s_delay_alu instid0(VALU_DEP_3) | instskip(SKIP_2) | instid1(VALU_DEP_3)
	v_cndmask_b32_e32 v73, 0, v73, vcc_lo
	v_cmp_eq_u32_e32 vcc_lo, 0, v58
	v_add_nc_u32_e32 v58, 0xffffff89, v58
	v_cndmask_b32_e64 v73, v73, 0x77, vcc_lo
	v_cndmask_b32_e32 v59, v75, v59, vcc_lo
	s_delay_alu instid0(VALU_DEP_3) | instskip(NEXT) | instid1(VALU_DEP_3)
	v_cndmask_b32_e64 v58, v58, 0xffffff8a, vcc_lo
	v_lshl_add_u32 v75, 0x100000, v73, -1
	s_delay_alu instid0(VALU_DEP_3) | instskip(SKIP_1) | instid1(VALU_DEP_4)
	v_lshrrev_b32_e32 v76, v73, v59
	v_lshlrev_b32_e64 v78, v73, 0x80000
	v_add_nc_u32_e32 v73, v73, v58
	s_delay_alu instid0(VALU_DEP_4) | instskip(NEXT) | instid1(VALU_DEP_4)
	v_and_b32_e32 v59, v75, v59
	v_bfe_u32 v77, v76, 20, 1
	s_delay_alu instid0(VALU_DEP_2) | instskip(NEXT) | instid1(VALU_DEP_2)
	v_cmp_eq_u32_e64 s13, v59, v78
	v_add_nc_u32_e32 v75, -1, v77
	s_delay_alu instid0(VALU_DEP_1) | instskip(SKIP_2) | instid1(VALU_DEP_2)
	v_cndmask_b32_e64 v59, 0, v75, s13
	v_lshrrev_b32_e32 v75, 23, v76
	s_mov_b32 s13, exec_lo
	v_add_nc_u32_e32 v59, v59, v76
	s_delay_alu instid0(VALU_DEP_2) | instskip(NEXT) | instid1(VALU_DEP_2)
	v_xor_b32_e32 v75, 1, v75
	v_and_b32_e32 v58, 0xfffff, v59
	s_delay_alu instid0(VALU_DEP_1) | instskip(NEXT) | instid1(VALU_DEP_3)
	v_add_nc_u32_e32 v59, v58, v76
                                        ; implicit-def: $vgpr58
	v_cmpx_ne_u32_e64 v73, v75
	s_xor_b32 s13, exec_lo, s13
; %bb.9899:                             ;   in Loop: Header=BB6_9353 Depth=3
	s_delay_alu instid0(VALU_DEP_2) | instskip(SKIP_2) | instid1(VALU_DEP_2)
	v_cmp_lt_u32_e32 vcc_lo, 0xffffff, v59
	v_sub_nc_u32_e32 v58, v73, v75
	v_cndmask_b32_e64 v73, 0, 1, vcc_lo
	v_add_co_ci_u32_e32 v58, vcc_lo, 0, v58, vcc_lo
	s_delay_alu instid0(VALU_DEP_2)
	v_lshrrev_b32_e32 v59, v73, v59
; %bb.9900:                             ;   in Loop: Header=BB6_9353 Depth=3
	s_and_not1_saveexec_b32 s13, s13
; %bb.9901:                             ;   in Loop: Header=BB6_9353 Depth=3
	s_delay_alu instid0(VALU_DEP_1)
	v_bfe_u32 v58, v59, 23, 1
; %bb.9902:                             ;   in Loop: Header=BB6_9353 Depth=3
	s_or_b32 exec_lo, exec_lo, s13
	v_lshrrev_b32_e32 v59, 20, v59
	s_delay_alu instid0(VALU_DEP_2) | instskip(SKIP_2) | instid1(VALU_DEP_2)
	v_cmp_gt_i32_e32 vcc_lo, 16, v58
	v_lshrrev_b32_e32 v62, 24, v62
	v_min_i32_e32 v73, 15, v58
	v_dual_cndmask_b32 v59, 7, v59 :: v_dual_and_b32 v62, 0x80, v62
	s_delay_alu instid0(VALU_DEP_1) | instskip(SKIP_1) | instid1(VALU_DEP_2)
	v_or_b32_e32 v58, v58, v59
	v_and_b32_e32 v75, 7, v59
	v_cmp_ne_u32_e32 vcc_lo, 0, v58
	v_lshlrev_b32_e32 v73, 3, v73
	s_delay_alu instid0(VALU_DEP_1) | instskip(NEXT) | instid1(VALU_DEP_1)
	v_or3_b32 v59, v73, v62, v75
	v_cndmask_b32_e32 v58, 0, v59, vcc_lo
.LBB6_9903:                             ;   in Loop: Header=BB6_9353 Depth=3
	s_or_b32 exec_lo, exec_lo, s34
.LBB6_9904:                             ;   in Loop: Header=BB6_9353 Depth=3
	s_delay_alu instid0(SALU_CYCLE_1) | instskip(NEXT) | instid1(SALU_CYCLE_1)
	s_or_b32 exec_lo, exec_lo, s31
	s_and_not1_b32 vcc_lo, exec_lo, s17
	s_cbranch_vccnz .LBB6_9914
; %bb.9905:                             ;   in Loop: Header=BB6_9353 Depth=3
	v_and_b32_e32 v62, 0xff, v56
	s_mov_b32 s13, 0
	s_mov_b32 s34, exec_lo
                                        ; implicit-def: $sgpr31
	s_delay_alu instid0(VALU_DEP_1)
	v_cmpx_lt_i16_e32 0x7f, v62
	s_xor_b32 s34, exec_lo, s34
	s_cbranch_execnz .LBB6_10583
; %bb.9906:                             ;   in Loop: Header=BB6_9353 Depth=3
	s_or_saveexec_b32 s34, s34
	v_mov_b32_e32 v59, s31
	s_xor_b32 exec_lo, exec_lo, s34
	s_cbranch_execnz .LBB6_10586
.LBB6_9907:                             ;   in Loop: Header=BB6_9353 Depth=3
	s_or_b32 exec_lo, exec_lo, s34
	s_and_saveexec_b32 s31, s13
	s_cbranch_execz .LBB6_9909
.LBB6_9908:                             ;   in Loop: Header=BB6_9353 Depth=3
	v_lshrrev_b16 v75, 3, v56
	s_delay_alu instid0(VALU_DEP_1) | instskip(NEXT) | instid1(VALU_DEP_1)
	v_and_b32_e32 v75, 15, v75
	v_cmp_eq_u32_e32 vcc_lo, 0, v75
	v_and_b32_e32 v59, 7, v56
	s_delay_alu instid0(VALU_DEP_1) | instskip(NEXT) | instid1(VALU_DEP_1)
	v_clz_i32_u32_e32 v62, v59
	v_min_u32_e32 v62, 32, v62
	s_delay_alu instid0(VALU_DEP_1) | instskip(SKIP_1) | instid1(VALU_DEP_1)
	v_subrev_nc_u32_e32 v73, 28, v62
	v_sub_nc_u32_e32 v62, 29, v62
	v_dual_cndmask_b32 v62, v75, v62 :: v_dual_lshlrev_b32 v73, v73, v56
	s_delay_alu instid0(VALU_DEP_1) | instskip(SKIP_1) | instid1(VALU_DEP_3)
	v_and_b32_e32 v73, 7, v73
	v_lshlrev_b32_e32 v76, 24, v56
	v_lshl_add_u32 v62, v62, 23, 0x3b800000
	s_delay_alu instid0(VALU_DEP_3) | instskip(NEXT) | instid1(VALU_DEP_3)
	v_cndmask_b32_e32 v59, v59, v73, vcc_lo
	v_and_b32_e32 v73, 0x80000000, v76
	s_delay_alu instid0(VALU_DEP_2) | instskip(NEXT) | instid1(VALU_DEP_1)
	v_lshlrev_b32_e32 v59, 20, v59
	v_or3_b32 v59, v73, v62, v59
.LBB6_9909:                             ;   in Loop: Header=BB6_9353 Depth=3
	s_or_b32 exec_lo, exec_lo, s31
	s_waitcnt vmcnt(12) lgkmcnt(12)
	v_and_b32_e32 v73, 0xff, v47
	s_mov_b32 s13, 0
	s_mov_b32 s34, exec_lo
                                        ; implicit-def: $sgpr31
	s_delay_alu instid0(VALU_DEP_1)
	v_cmpx_lt_i16_e32 0x7f, v73
	s_xor_b32 s34, exec_lo, s34
	s_cbranch_execnz .LBB6_10587
; %bb.9910:                             ;   in Loop: Header=BB6_9353 Depth=3
	s_or_saveexec_b32 s34, s34
	v_mov_b32_e32 v62, s31
	s_xor_b32 exec_lo, exec_lo, s34
	s_cbranch_execnz .LBB6_10590
.LBB6_9911:                             ;   in Loop: Header=BB6_9353 Depth=3
	s_or_b32 exec_lo, exec_lo, s34
	s_and_saveexec_b32 s31, s13
	s_cbranch_execz .LBB6_9913
.LBB6_9912:                             ;   in Loop: Header=BB6_9353 Depth=3
	v_lshrrev_b16 v76, 3, v47
	v_lshlrev_b32_e32 v77, 24, v47
	s_delay_alu instid0(VALU_DEP_2) | instskip(NEXT) | instid1(VALU_DEP_1)
	v_and_b32_e32 v76, 15, v76
	v_cmp_eq_u32_e32 vcc_lo, 0, v76
	v_and_b32_e32 v62, 7, v47
	s_delay_alu instid0(VALU_DEP_1) | instskip(NEXT) | instid1(VALU_DEP_1)
	v_clz_i32_u32_e32 v73, v62
	v_min_u32_e32 v73, 32, v73
	s_delay_alu instid0(VALU_DEP_1) | instskip(SKIP_1) | instid1(VALU_DEP_2)
	v_subrev_nc_u32_e32 v75, 28, v73
	v_sub_nc_u32_e32 v73, 29, v73
	v_lshlrev_b32_e32 v75, v75, v47
	s_delay_alu instid0(VALU_DEP_2) | instskip(NEXT) | instid1(VALU_DEP_2)
	v_cndmask_b32_e32 v73, v76, v73, vcc_lo
	v_and_b32_e32 v75, 7, v75
	s_delay_alu instid0(VALU_DEP_2) | instskip(NEXT) | instid1(VALU_DEP_2)
	v_lshl_add_u32 v73, v73, 23, 0x3b800000
	v_dual_cndmask_b32 v62, v62, v75 :: v_dual_and_b32 v75, 0x80000000, v77
	s_delay_alu instid0(VALU_DEP_1) | instskip(NEXT) | instid1(VALU_DEP_1)
	v_lshlrev_b32_e32 v62, 20, v62
	v_or3_b32 v62, v75, v73, v62
.LBB6_9913:                             ;   in Loop: Header=BB6_9353 Depth=3
	s_or_b32 exec_lo, exec_lo, s31
	s_delay_alu instid0(VALU_DEP_1) | instskip(SKIP_1) | instid1(VALU_DEP_1)
	v_dual_max_f32 v62, v62, v62 :: v_dual_max_f32 v59, v59, v59
	s_mov_b32 s13, 0
	v_max_f32_e32 v59, v59, v62
	s_branch .LBB6_9915
.LBB6_9914:                             ;   in Loop: Header=BB6_9353 Depth=3
	s_mov_b32 s13, -1
                                        ; implicit-def: $vgpr59
.LBB6_9915:                             ;   in Loop: Header=BB6_9353 Depth=3
	s_delay_alu instid0(SALU_CYCLE_1)
	s_and_b32 vcc_lo, exec_lo, s13
	s_cbranch_vccz .LBB6_9925
; %bb.9916:                             ;   in Loop: Header=BB6_9353 Depth=3
	v_and_b32_e32 v62, 0xff, v56
	s_mov_b32 s13, 0
	s_mov_b32 s34, exec_lo
                                        ; implicit-def: $sgpr31
	s_delay_alu instid0(VALU_DEP_1)
	v_cmpx_lt_i16_e32 0x7f, v62
	s_xor_b32 s34, exec_lo, s34
	s_cbranch_execnz .LBB6_10591
; %bb.9917:                             ;   in Loop: Header=BB6_9353 Depth=3
	s_or_saveexec_b32 s34, s34
	v_mov_b32_e32 v59, s31
	s_xor_b32 exec_lo, exec_lo, s34
	s_cbranch_execnz .LBB6_10594
.LBB6_9918:                             ;   in Loop: Header=BB6_9353 Depth=3
	s_or_b32 exec_lo, exec_lo, s34
	s_and_saveexec_b32 s31, s13
	s_cbranch_execz .LBB6_9920
.LBB6_9919:                             ;   in Loop: Header=BB6_9353 Depth=3
	v_lshrrev_b16 v75, 3, v56
	s_delay_alu instid0(VALU_DEP_1) | instskip(NEXT) | instid1(VALU_DEP_1)
	v_and_b32_e32 v75, 15, v75
	v_cmp_eq_u32_e32 vcc_lo, 0, v75
	v_and_b32_e32 v59, 7, v56
	s_delay_alu instid0(VALU_DEP_1) | instskip(NEXT) | instid1(VALU_DEP_1)
	v_clz_i32_u32_e32 v62, v59
	v_min_u32_e32 v62, 32, v62
	s_delay_alu instid0(VALU_DEP_1) | instskip(SKIP_1) | instid1(VALU_DEP_1)
	v_subrev_nc_u32_e32 v73, 28, v62
	v_sub_nc_u32_e32 v62, 29, v62
	v_dual_cndmask_b32 v62, v75, v62 :: v_dual_lshlrev_b32 v73, v73, v56
	s_delay_alu instid0(VALU_DEP_1) | instskip(SKIP_1) | instid1(VALU_DEP_3)
	v_and_b32_e32 v73, 7, v73
	v_lshlrev_b32_e32 v56, 24, v56
	v_lshl_add_u32 v62, v62, 23, 0x3b800000
	s_delay_alu instid0(VALU_DEP_2) | instskip(NEXT) | instid1(VALU_DEP_1)
	v_dual_cndmask_b32 v59, v59, v73 :: v_dual_and_b32 v56, 0x80000000, v56
	v_lshlrev_b32_e32 v59, 20, v59
	s_delay_alu instid0(VALU_DEP_1)
	v_or3_b32 v59, v56, v62, v59
.LBB6_9920:                             ;   in Loop: Header=BB6_9353 Depth=3
	s_or_b32 exec_lo, exec_lo, s31
	s_waitcnt vmcnt(12) lgkmcnt(12)
	v_and_b32_e32 v62, 0xff, v47
	s_mov_b32 s13, 0
	s_mov_b32 s34, exec_lo
                                        ; implicit-def: $sgpr31
	s_delay_alu instid0(VALU_DEP_1)
	v_cmpx_lt_i16_e32 0x7f, v62
	s_xor_b32 s34, exec_lo, s34
	s_cbranch_execnz .LBB6_10595
; %bb.9921:                             ;   in Loop: Header=BB6_9353 Depth=3
	s_or_saveexec_b32 s34, s34
	v_mov_b32_e32 v56, s31
	s_xor_b32 exec_lo, exec_lo, s34
	s_cbranch_execnz .LBB6_10598
.LBB6_9922:                             ;   in Loop: Header=BB6_9353 Depth=3
	s_or_b32 exec_lo, exec_lo, s34
	s_and_saveexec_b32 s31, s13
	s_cbranch_execz .LBB6_9924
.LBB6_9923:                             ;   in Loop: Header=BB6_9353 Depth=3
	v_and_b32_e32 v56, 7, v47
	v_lshrrev_b16 v75, 3, v47
	s_delay_alu instid0(VALU_DEP_2) | instskip(NEXT) | instid1(VALU_DEP_2)
	v_clz_i32_u32_e32 v62, v56
	v_and_b32_e32 v75, 15, v75
	s_delay_alu instid0(VALU_DEP_2) | instskip(NEXT) | instid1(VALU_DEP_2)
	v_min_u32_e32 v62, 32, v62
	v_cmp_eq_u32_e32 vcc_lo, 0, v75
	s_delay_alu instid0(VALU_DEP_2) | instskip(SKIP_1) | instid1(VALU_DEP_1)
	v_subrev_nc_u32_e32 v73, 28, v62
	v_sub_nc_u32_e32 v62, 29, v62
	v_dual_cndmask_b32 v62, v75, v62 :: v_dual_lshlrev_b32 v73, v73, v47
	v_lshlrev_b32_e32 v47, 24, v47
	s_delay_alu instid0(VALU_DEP_2) | instskip(NEXT) | instid1(VALU_DEP_3)
	v_and_b32_e32 v73, 7, v73
	v_lshl_add_u32 v62, v62, 23, 0x3b800000
	s_delay_alu instid0(VALU_DEP_2) | instskip(NEXT) | instid1(VALU_DEP_1)
	v_dual_cndmask_b32 v56, v56, v73 :: v_dual_and_b32 v47, 0x80000000, v47
	v_lshlrev_b32_e32 v56, 20, v56
	s_delay_alu instid0(VALU_DEP_1)
	v_or3_b32 v56, v47, v62, v56
.LBB6_9924:                             ;   in Loop: Header=BB6_9353 Depth=3
	s_or_b32 exec_lo, exec_lo, s31
	s_delay_alu instid0(VALU_DEP_1) | instskip(NEXT) | instid1(VALU_DEP_1)
	v_dual_max_f32 v47, v56, v56 :: v_dual_max_f32 v56, v59, v59
	v_min_f32_e32 v59, v56, v47
.LBB6_9925:                             ;   in Loop: Header=BB6_9353 Depth=3
	s_waitcnt vmcnt(12) lgkmcnt(12)
	s_delay_alu instid0(VALU_DEP_1) | instskip(NEXT) | instid1(VALU_DEP_1)
	v_and_b32_e32 v47, 0x7f800000, v59
	v_cmp_ne_u32_e32 vcc_lo, 0x7f800000, v47
	v_mov_b32_e32 v47, 0x80
	s_and_saveexec_b32 s31, vcc_lo
	s_cbranch_execz .LBB6_9933
; %bb.9926:                             ;   in Loop: Header=BB6_9353 Depth=3
	v_mov_b32_e32 v47, 0
	s_mov_b32 s34, exec_lo
	v_cmpx_ne_u32_e32 0, v59
	s_cbranch_execz .LBB6_9932
; %bb.9927:                             ;   in Loop: Header=BB6_9353 Depth=3
	v_bfe_u32 v47, v59, 23, 8
	v_and_b32_e32 v56, 0x7fffff, v59
	s_delay_alu instid0(VALU_DEP_2) | instskip(SKIP_1) | instid1(VALU_DEP_3)
	v_sub_nc_u32_e32 v62, 0x78, v47
	v_cmp_gt_u32_e32 vcc_lo, 0x79, v47
	v_or_b32_e32 v73, 0x800000, v56
	s_delay_alu instid0(VALU_DEP_3) | instskip(SKIP_2) | instid1(VALU_DEP_3)
	v_cndmask_b32_e32 v62, 0, v62, vcc_lo
	v_cmp_eq_u32_e32 vcc_lo, 0, v47
	v_add_nc_u32_e32 v47, 0xffffff89, v47
	v_cndmask_b32_e64 v62, v62, 0x77, vcc_lo
	v_cndmask_b32_e32 v56, v73, v56, vcc_lo
	s_delay_alu instid0(VALU_DEP_3) | instskip(NEXT) | instid1(VALU_DEP_3)
	v_cndmask_b32_e64 v47, v47, 0xffffff8a, vcc_lo
	v_lshl_add_u32 v73, 0x100000, v62, -1
	s_delay_alu instid0(VALU_DEP_3) | instskip(SKIP_1) | instid1(VALU_DEP_4)
	v_lshrrev_b32_e32 v75, v62, v56
	v_lshlrev_b32_e64 v77, v62, 0x80000
	v_add_nc_u32_e32 v62, v62, v47
	s_delay_alu instid0(VALU_DEP_4) | instskip(NEXT) | instid1(VALU_DEP_4)
	v_and_b32_e32 v56, v73, v56
	v_bfe_u32 v76, v75, 20, 1
	s_delay_alu instid0(VALU_DEP_2) | instskip(NEXT) | instid1(VALU_DEP_2)
	v_cmp_eq_u32_e64 s13, v56, v77
	v_add_nc_u32_e32 v73, -1, v76
	s_delay_alu instid0(VALU_DEP_1) | instskip(SKIP_2) | instid1(VALU_DEP_2)
	v_cndmask_b32_e64 v56, 0, v73, s13
	v_lshrrev_b32_e32 v73, 23, v75
	s_mov_b32 s13, exec_lo
	v_add_nc_u32_e32 v56, v56, v75
	s_delay_alu instid0(VALU_DEP_2) | instskip(NEXT) | instid1(VALU_DEP_2)
	v_xor_b32_e32 v73, 1, v73
	v_and_b32_e32 v47, 0xfffff, v56
	s_delay_alu instid0(VALU_DEP_1) | instskip(NEXT) | instid1(VALU_DEP_3)
	v_add_nc_u32_e32 v56, v47, v75
                                        ; implicit-def: $vgpr47
	v_cmpx_ne_u32_e64 v62, v73
	s_xor_b32 s13, exec_lo, s13
; %bb.9928:                             ;   in Loop: Header=BB6_9353 Depth=3
	s_delay_alu instid0(VALU_DEP_2) | instskip(SKIP_2) | instid1(VALU_DEP_2)
	v_cmp_lt_u32_e32 vcc_lo, 0xffffff, v56
	v_sub_nc_u32_e32 v47, v62, v73
	v_cndmask_b32_e64 v62, 0, 1, vcc_lo
	v_add_co_ci_u32_e32 v47, vcc_lo, 0, v47, vcc_lo
	s_delay_alu instid0(VALU_DEP_2)
	v_lshrrev_b32_e32 v56, v62, v56
; %bb.9929:                             ;   in Loop: Header=BB6_9353 Depth=3
	s_and_not1_saveexec_b32 s13, s13
; %bb.9930:                             ;   in Loop: Header=BB6_9353 Depth=3
	s_delay_alu instid0(VALU_DEP_1)
	v_bfe_u32 v47, v56, 23, 1
; %bb.9931:                             ;   in Loop: Header=BB6_9353 Depth=3
	s_or_b32 exec_lo, exec_lo, s13
	v_lshrrev_b32_e32 v56, 20, v56
	s_delay_alu instid0(VALU_DEP_2) | instskip(SKIP_2) | instid1(VALU_DEP_2)
	v_cmp_gt_i32_e32 vcc_lo, 16, v47
	v_lshrrev_b32_e32 v59, 24, v59
	v_min_i32_e32 v62, 15, v47
	v_dual_cndmask_b32 v56, 7, v56 :: v_dual_and_b32 v59, 0x80, v59
	s_delay_alu instid0(VALU_DEP_1) | instskip(SKIP_1) | instid1(VALU_DEP_2)
	v_or_b32_e32 v47, v47, v56
	v_and_b32_e32 v73, 7, v56
	v_cmp_ne_u32_e32 vcc_lo, 0, v47
	v_lshlrev_b32_e32 v62, 3, v62
	s_delay_alu instid0(VALU_DEP_1) | instskip(NEXT) | instid1(VALU_DEP_1)
	v_or3_b32 v56, v62, v59, v73
	v_cndmask_b32_e32 v47, 0, v56, vcc_lo
.LBB6_9932:                             ;   in Loop: Header=BB6_9353 Depth=3
	s_or_b32 exec_lo, exec_lo, s34
.LBB6_9933:                             ;   in Loop: Header=BB6_9353 Depth=3
	s_delay_alu instid0(SALU_CYCLE_1) | instskip(NEXT) | instid1(SALU_CYCLE_1)
	s_or_b32 exec_lo, exec_lo, s31
	s_and_not1_b32 vcc_lo, exec_lo, s17
	s_cbranch_vccnz .LBB6_9943
; %bb.9934:                             ;   in Loop: Header=BB6_9353 Depth=3
	v_and_b32_e32 v59, 0xff, v45
	s_mov_b32 s13, 0
	s_mov_b32 s34, exec_lo
                                        ; implicit-def: $sgpr31
	s_delay_alu instid0(VALU_DEP_1)
	v_cmpx_lt_i16_e32 0x7f, v59
	s_xor_b32 s34, exec_lo, s34
	s_cbranch_execnz .LBB6_10599
; %bb.9935:                             ;   in Loop: Header=BB6_9353 Depth=3
	s_or_saveexec_b32 s34, s34
	v_mov_b32_e32 v56, s31
	s_xor_b32 exec_lo, exec_lo, s34
	s_cbranch_execnz .LBB6_10602
.LBB6_9936:                             ;   in Loop: Header=BB6_9353 Depth=3
	s_or_b32 exec_lo, exec_lo, s34
	s_and_saveexec_b32 s31, s13
	s_cbranch_execz .LBB6_9938
.LBB6_9937:                             ;   in Loop: Header=BB6_9353 Depth=3
	v_lshrrev_b16 v73, 3, v45
	v_lshlrev_b32_e32 v75, 24, v45
	s_delay_alu instid0(VALU_DEP_2) | instskip(NEXT) | instid1(VALU_DEP_1)
	v_and_b32_e32 v73, 15, v73
	v_cmp_eq_u32_e32 vcc_lo, 0, v73
	v_and_b32_e32 v56, 7, v45
	s_delay_alu instid0(VALU_DEP_1) | instskip(NEXT) | instid1(VALU_DEP_1)
	v_clz_i32_u32_e32 v59, v56
	v_min_u32_e32 v59, 32, v59
	s_delay_alu instid0(VALU_DEP_1) | instskip(SKIP_1) | instid1(VALU_DEP_1)
	v_subrev_nc_u32_e32 v62, 28, v59
	v_sub_nc_u32_e32 v59, 29, v59
	v_dual_cndmask_b32 v59, v73, v59 :: v_dual_lshlrev_b32 v62, v62, v45
	s_delay_alu instid0(VALU_DEP_1) | instskip(NEXT) | instid1(VALU_DEP_2)
	v_and_b32_e32 v62, 7, v62
	v_lshl_add_u32 v59, v59, 23, 0x3b800000
	s_delay_alu instid0(VALU_DEP_2) | instskip(SKIP_1) | instid1(VALU_DEP_2)
	v_cndmask_b32_e32 v56, v56, v62, vcc_lo
	v_and_b32_e32 v62, 0x80000000, v75
	v_lshlrev_b32_e32 v56, 20, v56
	s_delay_alu instid0(VALU_DEP_1)
	v_or3_b32 v56, v62, v59, v56
.LBB6_9938:                             ;   in Loop: Header=BB6_9353 Depth=3
	s_or_b32 exec_lo, exec_lo, s31
	s_waitcnt vmcnt(11) lgkmcnt(11)
	v_and_b32_e32 v62, 0xff, v44
	s_mov_b32 s13, 0
	s_mov_b32 s34, exec_lo
                                        ; implicit-def: $sgpr31
	s_delay_alu instid0(VALU_DEP_1)
	v_cmpx_lt_i16_e32 0x7f, v62
	s_xor_b32 s34, exec_lo, s34
	s_cbranch_execnz .LBB6_10603
; %bb.9939:                             ;   in Loop: Header=BB6_9353 Depth=3
	s_or_saveexec_b32 s34, s34
	v_mov_b32_e32 v59, s31
	s_xor_b32 exec_lo, exec_lo, s34
	s_cbranch_execnz .LBB6_10606
.LBB6_9940:                             ;   in Loop: Header=BB6_9353 Depth=3
	s_or_b32 exec_lo, exec_lo, s34
	s_and_saveexec_b32 s31, s13
	s_cbranch_execz .LBB6_9942
.LBB6_9941:                             ;   in Loop: Header=BB6_9353 Depth=3
	v_lshrrev_b16 v75, 3, v44
	s_delay_alu instid0(VALU_DEP_1) | instskip(NEXT) | instid1(VALU_DEP_1)
	v_and_b32_e32 v75, 15, v75
	v_cmp_eq_u32_e32 vcc_lo, 0, v75
	v_and_b32_e32 v59, 7, v44
	s_delay_alu instid0(VALU_DEP_1) | instskip(NEXT) | instid1(VALU_DEP_1)
	v_clz_i32_u32_e32 v62, v59
	v_min_u32_e32 v62, 32, v62
	s_delay_alu instid0(VALU_DEP_1) | instskip(SKIP_1) | instid1(VALU_DEP_1)
	v_subrev_nc_u32_e32 v73, 28, v62
	v_sub_nc_u32_e32 v62, 29, v62
	v_dual_cndmask_b32 v62, v75, v62 :: v_dual_lshlrev_b32 v73, v73, v44
	s_delay_alu instid0(VALU_DEP_1) | instskip(SKIP_1) | instid1(VALU_DEP_3)
	v_and_b32_e32 v73, 7, v73
	v_lshlrev_b32_e32 v76, 24, v44
	v_lshl_add_u32 v62, v62, 23, 0x3b800000
	s_delay_alu instid0(VALU_DEP_3) | instskip(NEXT) | instid1(VALU_DEP_3)
	v_cndmask_b32_e32 v59, v59, v73, vcc_lo
	v_and_b32_e32 v73, 0x80000000, v76
	s_delay_alu instid0(VALU_DEP_2) | instskip(NEXT) | instid1(VALU_DEP_1)
	v_lshlrev_b32_e32 v59, 20, v59
	v_or3_b32 v59, v73, v62, v59
.LBB6_9942:                             ;   in Loop: Header=BB6_9353 Depth=3
	s_or_b32 exec_lo, exec_lo, s31
	s_delay_alu instid0(VALU_DEP_1) | instskip(SKIP_1) | instid1(VALU_DEP_1)
	v_dual_max_f32 v59, v59, v59 :: v_dual_max_f32 v56, v56, v56
	s_mov_b32 s13, 0
	v_max_f32_e32 v56, v56, v59
	s_branch .LBB6_9944
.LBB6_9943:                             ;   in Loop: Header=BB6_9353 Depth=3
	s_mov_b32 s13, -1
                                        ; implicit-def: $vgpr56
.LBB6_9944:                             ;   in Loop: Header=BB6_9353 Depth=3
	s_delay_alu instid0(SALU_CYCLE_1)
	s_and_b32 vcc_lo, exec_lo, s13
	s_cbranch_vccz .LBB6_9954
; %bb.9945:                             ;   in Loop: Header=BB6_9353 Depth=3
	v_and_b32_e32 v59, 0xff, v45
	s_mov_b32 s13, 0
	s_mov_b32 s34, exec_lo
                                        ; implicit-def: $sgpr31
	s_delay_alu instid0(VALU_DEP_1)
	v_cmpx_lt_i16_e32 0x7f, v59
	s_xor_b32 s34, exec_lo, s34
	s_cbranch_execnz .LBB6_10607
; %bb.9946:                             ;   in Loop: Header=BB6_9353 Depth=3
	s_or_saveexec_b32 s34, s34
	v_mov_b32_e32 v56, s31
	s_xor_b32 exec_lo, exec_lo, s34
	s_cbranch_execnz .LBB6_10610
.LBB6_9947:                             ;   in Loop: Header=BB6_9353 Depth=3
	s_or_b32 exec_lo, exec_lo, s34
	s_and_saveexec_b32 s31, s13
	s_cbranch_execz .LBB6_9949
.LBB6_9948:                             ;   in Loop: Header=BB6_9353 Depth=3
	v_lshrrev_b16 v73, 3, v45
	s_delay_alu instid0(VALU_DEP_1) | instskip(NEXT) | instid1(VALU_DEP_1)
	v_and_b32_e32 v73, 15, v73
	v_cmp_eq_u32_e32 vcc_lo, 0, v73
	v_and_b32_e32 v56, 7, v45
	s_delay_alu instid0(VALU_DEP_1) | instskip(NEXT) | instid1(VALU_DEP_1)
	v_clz_i32_u32_e32 v59, v56
	v_min_u32_e32 v59, 32, v59
	s_delay_alu instid0(VALU_DEP_1) | instskip(SKIP_1) | instid1(VALU_DEP_1)
	v_subrev_nc_u32_e32 v62, 28, v59
	v_sub_nc_u32_e32 v59, 29, v59
	v_dual_cndmask_b32 v59, v73, v59 :: v_dual_lshlrev_b32 v62, v62, v45
	v_lshlrev_b32_e32 v45, 24, v45
	s_delay_alu instid0(VALU_DEP_2) | instskip(NEXT) | instid1(VALU_DEP_3)
	v_and_b32_e32 v62, 7, v62
	v_lshl_add_u32 v59, v59, 23, 0x3b800000
	s_delay_alu instid0(VALU_DEP_2) | instskip(NEXT) | instid1(VALU_DEP_1)
	v_dual_cndmask_b32 v56, v56, v62 :: v_dual_and_b32 v45, 0x80000000, v45
	v_lshlrev_b32_e32 v56, 20, v56
	s_delay_alu instid0(VALU_DEP_1)
	v_or3_b32 v56, v45, v59, v56
.LBB6_9949:                             ;   in Loop: Header=BB6_9353 Depth=3
	s_or_b32 exec_lo, exec_lo, s31
	s_waitcnt vmcnt(11) lgkmcnt(11)
	v_and_b32_e32 v59, 0xff, v44
	s_mov_b32 s13, 0
	s_mov_b32 s34, exec_lo
                                        ; implicit-def: $sgpr31
	s_delay_alu instid0(VALU_DEP_1)
	v_cmpx_lt_i16_e32 0x7f, v59
	s_xor_b32 s34, exec_lo, s34
	s_cbranch_execnz .LBB6_10611
; %bb.9950:                             ;   in Loop: Header=BB6_9353 Depth=3
	s_or_saveexec_b32 s34, s34
	v_mov_b32_e32 v45, s31
	s_xor_b32 exec_lo, exec_lo, s34
	s_cbranch_execnz .LBB6_10614
.LBB6_9951:                             ;   in Loop: Header=BB6_9353 Depth=3
	s_or_b32 exec_lo, exec_lo, s34
	s_and_saveexec_b32 s31, s13
	s_cbranch_execz .LBB6_9953
.LBB6_9952:                             ;   in Loop: Header=BB6_9353 Depth=3
	v_and_b32_e32 v45, 7, v44
	v_lshrrev_b16 v73, 3, v44
	s_delay_alu instid0(VALU_DEP_2) | instskip(NEXT) | instid1(VALU_DEP_2)
	v_clz_i32_u32_e32 v59, v45
	v_and_b32_e32 v73, 15, v73
	s_delay_alu instid0(VALU_DEP_2) | instskip(NEXT) | instid1(VALU_DEP_2)
	v_min_u32_e32 v59, 32, v59
	v_cmp_eq_u32_e32 vcc_lo, 0, v73
	s_delay_alu instid0(VALU_DEP_2) | instskip(SKIP_1) | instid1(VALU_DEP_1)
	v_subrev_nc_u32_e32 v62, 28, v59
	v_sub_nc_u32_e32 v59, 29, v59
	v_dual_cndmask_b32 v59, v73, v59 :: v_dual_lshlrev_b32 v62, v62, v44
	s_delay_alu instid0(VALU_DEP_1) | instskip(SKIP_1) | instid1(VALU_DEP_3)
	v_and_b32_e32 v62, 7, v62
	v_lshlrev_b32_e32 v44, 24, v44
	v_lshl_add_u32 v59, v59, 23, 0x3b800000
	s_delay_alu instid0(VALU_DEP_2) | instskip(NEXT) | instid1(VALU_DEP_1)
	v_dual_cndmask_b32 v45, v45, v62 :: v_dual_and_b32 v44, 0x80000000, v44
	v_lshlrev_b32_e32 v45, 20, v45
	s_delay_alu instid0(VALU_DEP_1)
	v_or3_b32 v45, v44, v59, v45
.LBB6_9953:                             ;   in Loop: Header=BB6_9353 Depth=3
	s_or_b32 exec_lo, exec_lo, s31
	s_delay_alu instid0(VALU_DEP_1) | instskip(NEXT) | instid1(VALU_DEP_1)
	v_dual_max_f32 v44, v45, v45 :: v_dual_max_f32 v45, v56, v56
	v_min_f32_e32 v56, v45, v44
.LBB6_9954:                             ;   in Loop: Header=BB6_9353 Depth=3
	s_waitcnt vmcnt(11) lgkmcnt(11)
	s_delay_alu instid0(VALU_DEP_1) | instskip(NEXT) | instid1(VALU_DEP_1)
	v_and_b32_e32 v44, 0x7f800000, v56
	v_cmp_ne_u32_e32 vcc_lo, 0x7f800000, v44
	v_mov_b32_e32 v44, 0x80
	s_and_saveexec_b32 s31, vcc_lo
	s_cbranch_execz .LBB6_9962
; %bb.9955:                             ;   in Loop: Header=BB6_9353 Depth=3
	v_mov_b32_e32 v44, 0
	s_mov_b32 s34, exec_lo
	v_cmpx_ne_u32_e32 0, v56
	s_cbranch_execz .LBB6_9961
; %bb.9956:                             ;   in Loop: Header=BB6_9353 Depth=3
	v_bfe_u32 v44, v56, 23, 8
	v_and_b32_e32 v45, 0x7fffff, v56
	s_delay_alu instid0(VALU_DEP_2) | instskip(SKIP_1) | instid1(VALU_DEP_3)
	v_sub_nc_u32_e32 v59, 0x78, v44
	v_cmp_gt_u32_e32 vcc_lo, 0x79, v44
	v_or_b32_e32 v62, 0x800000, v45
	s_delay_alu instid0(VALU_DEP_3) | instskip(SKIP_2) | instid1(VALU_DEP_3)
	v_cndmask_b32_e32 v59, 0, v59, vcc_lo
	v_cmp_eq_u32_e32 vcc_lo, 0, v44
	v_add_nc_u32_e32 v44, 0xffffff89, v44
	v_cndmask_b32_e64 v59, v59, 0x77, vcc_lo
	v_cndmask_b32_e32 v45, v62, v45, vcc_lo
	s_delay_alu instid0(VALU_DEP_3) | instskip(NEXT) | instid1(VALU_DEP_3)
	v_cndmask_b32_e64 v44, v44, 0xffffff8a, vcc_lo
	v_lshl_add_u32 v62, 0x100000, v59, -1
	s_delay_alu instid0(VALU_DEP_3) | instskip(SKIP_1) | instid1(VALU_DEP_4)
	v_lshrrev_b32_e32 v73, v59, v45
	v_lshlrev_b32_e64 v76, v59, 0x80000
	v_add_nc_u32_e32 v59, v59, v44
	s_delay_alu instid0(VALU_DEP_4) | instskip(NEXT) | instid1(VALU_DEP_4)
	v_and_b32_e32 v45, v62, v45
	v_bfe_u32 v75, v73, 20, 1
	s_delay_alu instid0(VALU_DEP_2) | instskip(NEXT) | instid1(VALU_DEP_2)
	v_cmp_eq_u32_e64 s13, v45, v76
	v_add_nc_u32_e32 v62, -1, v75
	s_delay_alu instid0(VALU_DEP_1) | instskip(SKIP_2) | instid1(VALU_DEP_2)
	v_cndmask_b32_e64 v45, 0, v62, s13
	v_lshrrev_b32_e32 v62, 23, v73
	s_mov_b32 s13, exec_lo
	v_add_nc_u32_e32 v45, v45, v73
	s_delay_alu instid0(VALU_DEP_2) | instskip(NEXT) | instid1(VALU_DEP_2)
	v_xor_b32_e32 v62, 1, v62
	v_and_b32_e32 v44, 0xfffff, v45
	s_delay_alu instid0(VALU_DEP_1) | instskip(NEXT) | instid1(VALU_DEP_3)
	v_add_nc_u32_e32 v45, v44, v73
                                        ; implicit-def: $vgpr44
	v_cmpx_ne_u32_e64 v59, v62
	s_xor_b32 s13, exec_lo, s13
; %bb.9957:                             ;   in Loop: Header=BB6_9353 Depth=3
	s_delay_alu instid0(VALU_DEP_2) | instskip(SKIP_2) | instid1(VALU_DEP_2)
	v_cmp_lt_u32_e32 vcc_lo, 0xffffff, v45
	v_sub_nc_u32_e32 v44, v59, v62
	v_cndmask_b32_e64 v59, 0, 1, vcc_lo
	v_add_co_ci_u32_e32 v44, vcc_lo, 0, v44, vcc_lo
	s_delay_alu instid0(VALU_DEP_2)
	v_lshrrev_b32_e32 v45, v59, v45
; %bb.9958:                             ;   in Loop: Header=BB6_9353 Depth=3
	s_and_not1_saveexec_b32 s13, s13
; %bb.9959:                             ;   in Loop: Header=BB6_9353 Depth=3
	s_delay_alu instid0(VALU_DEP_1)
	v_bfe_u32 v44, v45, 23, 1
; %bb.9960:                             ;   in Loop: Header=BB6_9353 Depth=3
	s_or_b32 exec_lo, exec_lo, s13
	v_lshrrev_b32_e32 v45, 20, v45
	s_delay_alu instid0(VALU_DEP_2) | instskip(SKIP_2) | instid1(VALU_DEP_2)
	v_cmp_gt_i32_e32 vcc_lo, 16, v44
	v_lshrrev_b32_e32 v56, 24, v56
	v_min_i32_e32 v59, 15, v44
	v_dual_cndmask_b32 v45, 7, v45 :: v_dual_and_b32 v56, 0x80, v56
	s_delay_alu instid0(VALU_DEP_1) | instskip(SKIP_1) | instid1(VALU_DEP_2)
	v_or_b32_e32 v44, v44, v45
	v_and_b32_e32 v62, 7, v45
	v_cmp_ne_u32_e32 vcc_lo, 0, v44
	v_lshlrev_b32_e32 v59, 3, v59
	s_delay_alu instid0(VALU_DEP_1) | instskip(NEXT) | instid1(VALU_DEP_1)
	v_or3_b32 v45, v59, v56, v62
	v_cndmask_b32_e32 v44, 0, v45, vcc_lo
.LBB6_9961:                             ;   in Loop: Header=BB6_9353 Depth=3
	s_or_b32 exec_lo, exec_lo, s34
.LBB6_9962:                             ;   in Loop: Header=BB6_9353 Depth=3
	s_delay_alu instid0(SALU_CYCLE_1) | instskip(NEXT) | instid1(SALU_CYCLE_1)
	s_or_b32 exec_lo, exec_lo, s31
	s_and_not1_b32 vcc_lo, exec_lo, s17
	s_cbranch_vccnz .LBB6_9972
; %bb.9963:                             ;   in Loop: Header=BB6_9353 Depth=3
	v_and_b32_e32 v56, 0xff, v42
	s_mov_b32 s13, 0
	s_mov_b32 s34, exec_lo
                                        ; implicit-def: $sgpr31
	s_delay_alu instid0(VALU_DEP_1)
	v_cmpx_lt_i16_e32 0x7f, v56
	s_xor_b32 s34, exec_lo, s34
	s_cbranch_execnz .LBB6_10615
; %bb.9964:                             ;   in Loop: Header=BB6_9353 Depth=3
	s_or_saveexec_b32 s34, s34
	v_mov_b32_e32 v45, s31
	s_xor_b32 exec_lo, exec_lo, s34
	s_cbranch_execnz .LBB6_10618
.LBB6_9965:                             ;   in Loop: Header=BB6_9353 Depth=3
	s_or_b32 exec_lo, exec_lo, s34
	s_and_saveexec_b32 s31, s13
	s_cbranch_execz .LBB6_9967
.LBB6_9966:                             ;   in Loop: Header=BB6_9353 Depth=3
	v_lshrrev_b16 v62, 3, v42
	v_lshlrev_b32_e32 v73, 24, v42
	s_delay_alu instid0(VALU_DEP_2) | instskip(NEXT) | instid1(VALU_DEP_1)
	v_and_b32_e32 v62, 15, v62
	v_cmp_eq_u32_e32 vcc_lo, 0, v62
	v_and_b32_e32 v45, 7, v42
	s_delay_alu instid0(VALU_DEP_1) | instskip(NEXT) | instid1(VALU_DEP_1)
	v_clz_i32_u32_e32 v56, v45
	v_min_u32_e32 v56, 32, v56
	s_delay_alu instid0(VALU_DEP_1) | instskip(SKIP_1) | instid1(VALU_DEP_1)
	v_subrev_nc_u32_e32 v59, 28, v56
	v_sub_nc_u32_e32 v56, 29, v56
	v_dual_cndmask_b32 v56, v62, v56 :: v_dual_lshlrev_b32 v59, v59, v42
	s_delay_alu instid0(VALU_DEP_1) | instskip(NEXT) | instid1(VALU_DEP_2)
	v_and_b32_e32 v59, 7, v59
	v_lshl_add_u32 v56, v56, 23, 0x3b800000
	s_delay_alu instid0(VALU_DEP_2) | instskip(SKIP_1) | instid1(VALU_DEP_2)
	v_cndmask_b32_e32 v45, v45, v59, vcc_lo
	v_and_b32_e32 v59, 0x80000000, v73
	v_lshlrev_b32_e32 v45, 20, v45
	s_delay_alu instid0(VALU_DEP_1)
	v_or3_b32 v45, v59, v56, v45
.LBB6_9967:                             ;   in Loop: Header=BB6_9353 Depth=3
	s_or_b32 exec_lo, exec_lo, s31
	s_waitcnt vmcnt(10) lgkmcnt(10)
	v_and_b32_e32 v59, 0xff, v41
	s_mov_b32 s13, 0
	s_mov_b32 s34, exec_lo
                                        ; implicit-def: $sgpr31
	s_delay_alu instid0(VALU_DEP_1)
	v_cmpx_lt_i16_e32 0x7f, v59
	s_xor_b32 s34, exec_lo, s34
	s_cbranch_execnz .LBB6_10619
; %bb.9968:                             ;   in Loop: Header=BB6_9353 Depth=3
	s_or_saveexec_b32 s34, s34
	v_mov_b32_e32 v56, s31
	s_xor_b32 exec_lo, exec_lo, s34
	s_cbranch_execnz .LBB6_10622
.LBB6_9969:                             ;   in Loop: Header=BB6_9353 Depth=3
	s_or_b32 exec_lo, exec_lo, s34
	s_and_saveexec_b32 s31, s13
	s_cbranch_execz .LBB6_9971
.LBB6_9970:                             ;   in Loop: Header=BB6_9353 Depth=3
	v_lshrrev_b16 v73, 3, v41
	v_lshlrev_b32_e32 v75, 24, v41
	s_delay_alu instid0(VALU_DEP_2) | instskip(NEXT) | instid1(VALU_DEP_1)
	v_and_b32_e32 v73, 15, v73
	v_cmp_eq_u32_e32 vcc_lo, 0, v73
	v_and_b32_e32 v56, 7, v41
	s_delay_alu instid0(VALU_DEP_1) | instskip(NEXT) | instid1(VALU_DEP_1)
	v_clz_i32_u32_e32 v59, v56
	v_min_u32_e32 v59, 32, v59
	s_delay_alu instid0(VALU_DEP_1) | instskip(SKIP_1) | instid1(VALU_DEP_1)
	v_subrev_nc_u32_e32 v62, 28, v59
	v_sub_nc_u32_e32 v59, 29, v59
	v_dual_cndmask_b32 v59, v73, v59 :: v_dual_lshlrev_b32 v62, v62, v41
	s_delay_alu instid0(VALU_DEP_1) | instskip(NEXT) | instid1(VALU_DEP_2)
	v_and_b32_e32 v62, 7, v62
	v_lshl_add_u32 v59, v59, 23, 0x3b800000
	s_delay_alu instid0(VALU_DEP_2) | instskip(SKIP_1) | instid1(VALU_DEP_2)
	v_cndmask_b32_e32 v56, v56, v62, vcc_lo
	v_and_b32_e32 v62, 0x80000000, v75
	v_lshlrev_b32_e32 v56, 20, v56
	s_delay_alu instid0(VALU_DEP_1)
	v_or3_b32 v56, v62, v59, v56
.LBB6_9971:                             ;   in Loop: Header=BB6_9353 Depth=3
	s_or_b32 exec_lo, exec_lo, s31
	s_delay_alu instid0(VALU_DEP_1) | instskip(SKIP_1) | instid1(VALU_DEP_1)
	v_dual_max_f32 v56, v56, v56 :: v_dual_max_f32 v45, v45, v45
	s_mov_b32 s13, 0
	v_max_f32_e32 v45, v45, v56
	s_branch .LBB6_9973
.LBB6_9972:                             ;   in Loop: Header=BB6_9353 Depth=3
	s_mov_b32 s13, -1
                                        ; implicit-def: $vgpr45
.LBB6_9973:                             ;   in Loop: Header=BB6_9353 Depth=3
	s_delay_alu instid0(SALU_CYCLE_1)
	s_and_b32 vcc_lo, exec_lo, s13
	s_cbranch_vccz .LBB6_9983
; %bb.9974:                             ;   in Loop: Header=BB6_9353 Depth=3
	v_and_b32_e32 v56, 0xff, v42
	s_mov_b32 s13, 0
	s_mov_b32 s34, exec_lo
                                        ; implicit-def: $sgpr31
	s_delay_alu instid0(VALU_DEP_1)
	v_cmpx_lt_i16_e32 0x7f, v56
	s_xor_b32 s34, exec_lo, s34
	s_cbranch_execnz .LBB6_10623
; %bb.9975:                             ;   in Loop: Header=BB6_9353 Depth=3
	s_or_saveexec_b32 s34, s34
	v_mov_b32_e32 v45, s31
	s_xor_b32 exec_lo, exec_lo, s34
	s_cbranch_execnz .LBB6_10626
.LBB6_9976:                             ;   in Loop: Header=BB6_9353 Depth=3
	s_or_b32 exec_lo, exec_lo, s34
	s_and_saveexec_b32 s31, s13
	s_cbranch_execz .LBB6_9978
.LBB6_9977:                             ;   in Loop: Header=BB6_9353 Depth=3
	v_lshrrev_b16 v62, 3, v42
	s_delay_alu instid0(VALU_DEP_1) | instskip(NEXT) | instid1(VALU_DEP_1)
	v_and_b32_e32 v62, 15, v62
	v_cmp_eq_u32_e32 vcc_lo, 0, v62
	v_and_b32_e32 v45, 7, v42
	s_delay_alu instid0(VALU_DEP_1) | instskip(NEXT) | instid1(VALU_DEP_1)
	v_clz_i32_u32_e32 v56, v45
	v_min_u32_e32 v56, 32, v56
	s_delay_alu instid0(VALU_DEP_1) | instskip(SKIP_1) | instid1(VALU_DEP_1)
	v_subrev_nc_u32_e32 v59, 28, v56
	v_sub_nc_u32_e32 v56, 29, v56
	v_dual_cndmask_b32 v56, v62, v56 :: v_dual_lshlrev_b32 v59, v59, v42
	v_lshlrev_b32_e32 v42, 24, v42
	s_delay_alu instid0(VALU_DEP_2) | instskip(NEXT) | instid1(VALU_DEP_3)
	v_and_b32_e32 v59, 7, v59
	v_lshl_add_u32 v56, v56, 23, 0x3b800000
	s_delay_alu instid0(VALU_DEP_2) | instskip(NEXT) | instid1(VALU_DEP_1)
	v_dual_cndmask_b32 v45, v45, v59 :: v_dual_and_b32 v42, 0x80000000, v42
	v_lshlrev_b32_e32 v45, 20, v45
	s_delay_alu instid0(VALU_DEP_1)
	v_or3_b32 v45, v42, v56, v45
.LBB6_9978:                             ;   in Loop: Header=BB6_9353 Depth=3
	s_or_b32 exec_lo, exec_lo, s31
	s_waitcnt vmcnt(10) lgkmcnt(10)
	v_and_b32_e32 v56, 0xff, v41
	s_mov_b32 s13, 0
	s_mov_b32 s34, exec_lo
                                        ; implicit-def: $sgpr31
	s_delay_alu instid0(VALU_DEP_1)
	v_cmpx_lt_i16_e32 0x7f, v56
	s_xor_b32 s34, exec_lo, s34
	s_cbranch_execnz .LBB6_10627
; %bb.9979:                             ;   in Loop: Header=BB6_9353 Depth=3
	s_or_saveexec_b32 s34, s34
	v_mov_b32_e32 v42, s31
	s_xor_b32 exec_lo, exec_lo, s34
	s_cbranch_execnz .LBB6_10630
.LBB6_9980:                             ;   in Loop: Header=BB6_9353 Depth=3
	s_or_b32 exec_lo, exec_lo, s34
	s_and_saveexec_b32 s31, s13
	s_cbranch_execz .LBB6_9982
.LBB6_9981:                             ;   in Loop: Header=BB6_9353 Depth=3
	v_and_b32_e32 v42, 7, v41
	v_lshrrev_b16 v62, 3, v41
	s_delay_alu instid0(VALU_DEP_2) | instskip(NEXT) | instid1(VALU_DEP_2)
	v_clz_i32_u32_e32 v56, v42
	v_and_b32_e32 v62, 15, v62
	s_delay_alu instid0(VALU_DEP_2) | instskip(NEXT) | instid1(VALU_DEP_2)
	v_min_u32_e32 v56, 32, v56
	v_cmp_eq_u32_e32 vcc_lo, 0, v62
	s_delay_alu instid0(VALU_DEP_2) | instskip(SKIP_1) | instid1(VALU_DEP_1)
	v_subrev_nc_u32_e32 v59, 28, v56
	v_sub_nc_u32_e32 v56, 29, v56
	v_dual_cndmask_b32 v56, v62, v56 :: v_dual_lshlrev_b32 v59, v59, v41
	s_delay_alu instid0(VALU_DEP_1) | instskip(SKIP_1) | instid1(VALU_DEP_3)
	v_and_b32_e32 v59, 7, v59
	v_lshlrev_b32_e32 v41, 24, v41
	v_lshl_add_u32 v56, v56, 23, 0x3b800000
	s_delay_alu instid0(VALU_DEP_2) | instskip(NEXT) | instid1(VALU_DEP_1)
	v_dual_cndmask_b32 v42, v42, v59 :: v_dual_and_b32 v41, 0x80000000, v41
	v_lshlrev_b32_e32 v42, 20, v42
	s_delay_alu instid0(VALU_DEP_1)
	v_or3_b32 v42, v41, v56, v42
.LBB6_9982:                             ;   in Loop: Header=BB6_9353 Depth=3
	s_or_b32 exec_lo, exec_lo, s31
	s_delay_alu instid0(VALU_DEP_1) | instskip(NEXT) | instid1(VALU_DEP_1)
	v_dual_max_f32 v41, v42, v42 :: v_dual_max_f32 v42, v45, v45
	v_min_f32_e32 v45, v42, v41
.LBB6_9983:                             ;   in Loop: Header=BB6_9353 Depth=3
	s_waitcnt vmcnt(10) lgkmcnt(10)
	s_delay_alu instid0(VALU_DEP_1) | instskip(NEXT) | instid1(VALU_DEP_1)
	v_and_b32_e32 v41, 0x7f800000, v45
	v_cmp_ne_u32_e32 vcc_lo, 0x7f800000, v41
	v_mov_b32_e32 v41, 0x80
	s_and_saveexec_b32 s31, vcc_lo
	s_cbranch_execz .LBB6_9991
; %bb.9984:                             ;   in Loop: Header=BB6_9353 Depth=3
	v_mov_b32_e32 v41, 0
	s_mov_b32 s34, exec_lo
	v_cmpx_ne_u32_e32 0, v45
	s_cbranch_execz .LBB6_9990
; %bb.9985:                             ;   in Loop: Header=BB6_9353 Depth=3
	v_bfe_u32 v41, v45, 23, 8
	v_and_b32_e32 v42, 0x7fffff, v45
	s_delay_alu instid0(VALU_DEP_2) | instskip(SKIP_1) | instid1(VALU_DEP_3)
	v_sub_nc_u32_e32 v56, 0x78, v41
	v_cmp_gt_u32_e32 vcc_lo, 0x79, v41
	v_or_b32_e32 v59, 0x800000, v42
	s_delay_alu instid0(VALU_DEP_3) | instskip(SKIP_2) | instid1(VALU_DEP_3)
	v_cndmask_b32_e32 v56, 0, v56, vcc_lo
	v_cmp_eq_u32_e32 vcc_lo, 0, v41
	v_add_nc_u32_e32 v41, 0xffffff89, v41
	v_cndmask_b32_e64 v56, v56, 0x77, vcc_lo
	v_cndmask_b32_e32 v42, v59, v42, vcc_lo
	s_delay_alu instid0(VALU_DEP_3) | instskip(NEXT) | instid1(VALU_DEP_3)
	v_cndmask_b32_e64 v41, v41, 0xffffff8a, vcc_lo
	v_lshl_add_u32 v59, 0x100000, v56, -1
	s_delay_alu instid0(VALU_DEP_3) | instskip(SKIP_1) | instid1(VALU_DEP_4)
	v_lshrrev_b32_e32 v62, v56, v42
	v_lshlrev_b32_e64 v75, v56, 0x80000
	v_add_nc_u32_e32 v56, v56, v41
	s_delay_alu instid0(VALU_DEP_4) | instskip(NEXT) | instid1(VALU_DEP_4)
	v_and_b32_e32 v42, v59, v42
	v_bfe_u32 v73, v62, 20, 1
	s_delay_alu instid0(VALU_DEP_2) | instskip(NEXT) | instid1(VALU_DEP_2)
	v_cmp_eq_u32_e64 s13, v42, v75
	v_add_nc_u32_e32 v59, -1, v73
	s_delay_alu instid0(VALU_DEP_1) | instskip(SKIP_2) | instid1(VALU_DEP_2)
	v_cndmask_b32_e64 v42, 0, v59, s13
	v_lshrrev_b32_e32 v59, 23, v62
	s_mov_b32 s13, exec_lo
	v_add_nc_u32_e32 v42, v42, v62
	s_delay_alu instid0(VALU_DEP_2) | instskip(NEXT) | instid1(VALU_DEP_2)
	v_xor_b32_e32 v59, 1, v59
	v_and_b32_e32 v41, 0xfffff, v42
	s_delay_alu instid0(VALU_DEP_1) | instskip(NEXT) | instid1(VALU_DEP_3)
	v_add_nc_u32_e32 v42, v41, v62
                                        ; implicit-def: $vgpr41
	v_cmpx_ne_u32_e64 v56, v59
	s_xor_b32 s13, exec_lo, s13
; %bb.9986:                             ;   in Loop: Header=BB6_9353 Depth=3
	s_delay_alu instid0(VALU_DEP_2) | instskip(SKIP_2) | instid1(VALU_DEP_2)
	v_cmp_lt_u32_e32 vcc_lo, 0xffffff, v42
	v_sub_nc_u32_e32 v41, v56, v59
	v_cndmask_b32_e64 v56, 0, 1, vcc_lo
	v_add_co_ci_u32_e32 v41, vcc_lo, 0, v41, vcc_lo
	s_delay_alu instid0(VALU_DEP_2)
	v_lshrrev_b32_e32 v42, v56, v42
; %bb.9987:                             ;   in Loop: Header=BB6_9353 Depth=3
	s_and_not1_saveexec_b32 s13, s13
; %bb.9988:                             ;   in Loop: Header=BB6_9353 Depth=3
	s_delay_alu instid0(VALU_DEP_1)
	v_bfe_u32 v41, v42, 23, 1
; %bb.9989:                             ;   in Loop: Header=BB6_9353 Depth=3
	s_or_b32 exec_lo, exec_lo, s13
	v_lshrrev_b32_e32 v42, 20, v42
	s_delay_alu instid0(VALU_DEP_2) | instskip(SKIP_2) | instid1(VALU_DEP_2)
	v_cmp_gt_i32_e32 vcc_lo, 16, v41
	v_lshrrev_b32_e32 v45, 24, v45
	v_min_i32_e32 v56, 15, v41
	v_dual_cndmask_b32 v42, 7, v42 :: v_dual_and_b32 v45, 0x80, v45
	s_delay_alu instid0(VALU_DEP_1) | instskip(SKIP_1) | instid1(VALU_DEP_2)
	v_or_b32_e32 v41, v41, v42
	v_and_b32_e32 v59, 7, v42
	v_cmp_ne_u32_e32 vcc_lo, 0, v41
	v_lshlrev_b32_e32 v56, 3, v56
	s_delay_alu instid0(VALU_DEP_1) | instskip(NEXT) | instid1(VALU_DEP_1)
	v_or3_b32 v42, v56, v45, v59
	v_cndmask_b32_e32 v41, 0, v42, vcc_lo
.LBB6_9990:                             ;   in Loop: Header=BB6_9353 Depth=3
	s_or_b32 exec_lo, exec_lo, s34
.LBB6_9991:                             ;   in Loop: Header=BB6_9353 Depth=3
	s_delay_alu instid0(SALU_CYCLE_1) | instskip(NEXT) | instid1(SALU_CYCLE_1)
	s_or_b32 exec_lo, exec_lo, s31
	s_and_not1_b32 vcc_lo, exec_lo, s17
	s_cbranch_vccnz .LBB6_10001
; %bb.9992:                             ;   in Loop: Header=BB6_9353 Depth=3
	v_and_b32_e32 v45, 0xff, v183
	s_mov_b32 s13, 0
	s_mov_b32 s34, exec_lo
                                        ; implicit-def: $sgpr31
	s_delay_alu instid0(VALU_DEP_1)
	v_cmpx_lt_i16_e32 0x7f, v45
	s_xor_b32 s34, exec_lo, s34
	s_cbranch_execnz .LBB6_10631
; %bb.9993:                             ;   in Loop: Header=BB6_9353 Depth=3
	s_or_saveexec_b32 s34, s34
	v_mov_b32_e32 v42, s31
	s_xor_b32 exec_lo, exec_lo, s34
	s_cbranch_execnz .LBB6_10634
.LBB6_9994:                             ;   in Loop: Header=BB6_9353 Depth=3
	s_or_b32 exec_lo, exec_lo, s34
	s_and_saveexec_b32 s31, s13
	s_cbranch_execz .LBB6_9996
.LBB6_9995:                             ;   in Loop: Header=BB6_9353 Depth=3
	v_lshrrev_b16 v59, 3, v183
	v_lshlrev_b32_e32 v62, 24, v183
	s_delay_alu instid0(VALU_DEP_2) | instskip(NEXT) | instid1(VALU_DEP_1)
	v_and_b32_e32 v59, 15, v59
	v_cmp_eq_u32_e32 vcc_lo, 0, v59
	v_and_b32_e32 v42, 7, v183
	s_delay_alu instid0(VALU_DEP_1) | instskip(NEXT) | instid1(VALU_DEP_1)
	v_clz_i32_u32_e32 v45, v42
	v_min_u32_e32 v45, 32, v45
	s_delay_alu instid0(VALU_DEP_1) | instskip(SKIP_1) | instid1(VALU_DEP_1)
	v_subrev_nc_u32_e32 v56, 28, v45
	v_sub_nc_u32_e32 v45, 29, v45
	v_dual_cndmask_b32 v45, v59, v45 :: v_dual_lshlrev_b32 v56, v56, v183
	s_delay_alu instid0(VALU_DEP_1) | instskip(NEXT) | instid1(VALU_DEP_2)
	v_and_b32_e32 v56, 7, v56
	v_lshl_add_u32 v45, v45, 23, 0x3b800000
	s_delay_alu instid0(VALU_DEP_2) | instskip(SKIP_1) | instid1(VALU_DEP_2)
	v_cndmask_b32_e32 v42, v42, v56, vcc_lo
	v_and_b32_e32 v56, 0x80000000, v62
	v_lshlrev_b32_e32 v42, 20, v42
	s_delay_alu instid0(VALU_DEP_1)
	v_or3_b32 v42, v56, v45, v42
.LBB6_9996:                             ;   in Loop: Header=BB6_9353 Depth=3
	s_or_b32 exec_lo, exec_lo, s31
	s_waitcnt vmcnt(9) lgkmcnt(9)
	v_and_b32_e32 v56, 0xff, v117
	s_mov_b32 s13, 0
	s_mov_b32 s34, exec_lo
                                        ; implicit-def: $sgpr31
	s_delay_alu instid0(VALU_DEP_1)
	v_cmpx_lt_i16_e32 0x7f, v56
	s_xor_b32 s34, exec_lo, s34
	s_cbranch_execnz .LBB6_10635
; %bb.9997:                             ;   in Loop: Header=BB6_9353 Depth=3
	s_or_saveexec_b32 s34, s34
	v_mov_b32_e32 v45, s31
	s_xor_b32 exec_lo, exec_lo, s34
	s_cbranch_execnz .LBB6_10638
.LBB6_9998:                             ;   in Loop: Header=BB6_9353 Depth=3
	s_or_b32 exec_lo, exec_lo, s34
	s_and_saveexec_b32 s31, s13
	s_cbranch_execz .LBB6_10000
.LBB6_9999:                             ;   in Loop: Header=BB6_9353 Depth=3
	v_lshrrev_b16 v62, 3, v117
	v_lshlrev_b32_e32 v73, 24, v117
	s_delay_alu instid0(VALU_DEP_2) | instskip(NEXT) | instid1(VALU_DEP_1)
	v_and_b32_e32 v62, 15, v62
	v_cmp_eq_u32_e32 vcc_lo, 0, v62
	v_and_b32_e32 v45, 7, v117
	s_delay_alu instid0(VALU_DEP_1) | instskip(NEXT) | instid1(VALU_DEP_1)
	v_clz_i32_u32_e32 v56, v45
	v_min_u32_e32 v56, 32, v56
	s_delay_alu instid0(VALU_DEP_1) | instskip(SKIP_1) | instid1(VALU_DEP_1)
	v_subrev_nc_u32_e32 v59, 28, v56
	v_sub_nc_u32_e32 v56, 29, v56
	v_dual_cndmask_b32 v56, v62, v56 :: v_dual_lshlrev_b32 v59, v59, v117
	s_delay_alu instid0(VALU_DEP_1) | instskip(NEXT) | instid1(VALU_DEP_2)
	v_and_b32_e32 v59, 7, v59
	v_lshl_add_u32 v56, v56, 23, 0x3b800000
	s_delay_alu instid0(VALU_DEP_2) | instskip(SKIP_1) | instid1(VALU_DEP_2)
	v_cndmask_b32_e32 v45, v45, v59, vcc_lo
	v_and_b32_e32 v59, 0x80000000, v73
	v_lshlrev_b32_e32 v45, 20, v45
	s_delay_alu instid0(VALU_DEP_1)
	v_or3_b32 v45, v59, v56, v45
.LBB6_10000:                            ;   in Loop: Header=BB6_9353 Depth=3
	s_or_b32 exec_lo, exec_lo, s31
	s_delay_alu instid0(VALU_DEP_1) | instskip(SKIP_1) | instid1(VALU_DEP_1)
	v_dual_max_f32 v45, v45, v45 :: v_dual_max_f32 v42, v42, v42
	s_mov_b32 s13, 0
	v_max_f32_e32 v42, v42, v45
	s_branch .LBB6_10002
.LBB6_10001:                            ;   in Loop: Header=BB6_9353 Depth=3
	s_mov_b32 s13, -1
                                        ; implicit-def: $vgpr42
.LBB6_10002:                            ;   in Loop: Header=BB6_9353 Depth=3
	s_delay_alu instid0(SALU_CYCLE_1)
	s_and_b32 vcc_lo, exec_lo, s13
	s_cbranch_vccz .LBB6_10012
; %bb.10003:                            ;   in Loop: Header=BB6_9353 Depth=3
	v_and_b32_e32 v45, 0xff, v183
	s_mov_b32 s13, 0
	s_mov_b32 s34, exec_lo
                                        ; implicit-def: $sgpr31
	s_delay_alu instid0(VALU_DEP_1)
	v_cmpx_lt_i16_e32 0x7f, v45
	s_xor_b32 s34, exec_lo, s34
	s_cbranch_execnz .LBB6_10639
; %bb.10004:                            ;   in Loop: Header=BB6_9353 Depth=3
	s_or_saveexec_b32 s34, s34
	v_mov_b32_e32 v42, s31
	s_xor_b32 exec_lo, exec_lo, s34
	s_cbranch_execnz .LBB6_10642
.LBB6_10005:                            ;   in Loop: Header=BB6_9353 Depth=3
	s_or_b32 exec_lo, exec_lo, s34
	s_and_saveexec_b32 s31, s13
	s_cbranch_execz .LBB6_10007
.LBB6_10006:                            ;   in Loop: Header=BB6_9353 Depth=3
	v_lshrrev_b16 v59, 3, v183
	s_delay_alu instid0(VALU_DEP_1) | instskip(NEXT) | instid1(VALU_DEP_1)
	v_and_b32_e32 v59, 15, v59
	v_cmp_eq_u32_e32 vcc_lo, 0, v59
	v_and_b32_e32 v42, 7, v183
	s_delay_alu instid0(VALU_DEP_1) | instskip(NEXT) | instid1(VALU_DEP_1)
	v_clz_i32_u32_e32 v45, v42
	v_min_u32_e32 v45, 32, v45
	s_delay_alu instid0(VALU_DEP_1) | instskip(SKIP_1) | instid1(VALU_DEP_1)
	v_subrev_nc_u32_e32 v56, 28, v45
	v_sub_nc_u32_e32 v45, 29, v45
	v_dual_cndmask_b32 v45, v59, v45 :: v_dual_lshlrev_b32 v56, v56, v183
	v_lshlrev_b32_e32 v183, 24, v183
	s_delay_alu instid0(VALU_DEP_2) | instskip(NEXT) | instid1(VALU_DEP_3)
	v_and_b32_e32 v56, 7, v56
	v_lshl_add_u32 v45, v45, 23, 0x3b800000
	s_delay_alu instid0(VALU_DEP_2) | instskip(NEXT) | instid1(VALU_DEP_1)
	v_dual_cndmask_b32 v42, v42, v56 :: v_dual_and_b32 v183, 0x80000000, v183
	v_lshlrev_b32_e32 v42, 20, v42
	s_delay_alu instid0(VALU_DEP_1)
	v_or3_b32 v42, v183, v45, v42
.LBB6_10007:                            ;   in Loop: Header=BB6_9353 Depth=3
	s_or_b32 exec_lo, exec_lo, s31
	s_waitcnt vmcnt(9) lgkmcnt(9)
	v_and_b32_e32 v45, 0xff, v117
	s_mov_b32 s13, 0
	s_mov_b32 s34, exec_lo
                                        ; implicit-def: $sgpr31
	s_delay_alu instid0(VALU_DEP_1)
	v_cmpx_lt_i16_e32 0x7f, v45
	s_xor_b32 s34, exec_lo, s34
	s_cbranch_execnz .LBB6_10643
; %bb.10008:                            ;   in Loop: Header=BB6_9353 Depth=3
	s_or_saveexec_b32 s34, s34
	v_mov_b32_e32 v183, s31
	s_xor_b32 exec_lo, exec_lo, s34
	s_cbranch_execnz .LBB6_10646
.LBB6_10009:                            ;   in Loop: Header=BB6_9353 Depth=3
	s_or_b32 exec_lo, exec_lo, s34
	s_and_saveexec_b32 s31, s13
	s_cbranch_execz .LBB6_10011
.LBB6_10010:                            ;   in Loop: Header=BB6_9353 Depth=3
	v_and_b32_e32 v183, 7, v117
	v_lshrrev_b16 v59, 3, v117
	s_delay_alu instid0(VALU_DEP_2) | instskip(NEXT) | instid1(VALU_DEP_2)
	v_clz_i32_u32_e32 v45, v183
	v_and_b32_e32 v59, 15, v59
	s_delay_alu instid0(VALU_DEP_2) | instskip(NEXT) | instid1(VALU_DEP_2)
	v_min_u32_e32 v45, 32, v45
	v_cmp_eq_u32_e32 vcc_lo, 0, v59
	s_delay_alu instid0(VALU_DEP_2) | instskip(SKIP_1) | instid1(VALU_DEP_2)
	v_subrev_nc_u32_e32 v56, 28, v45
	v_sub_nc_u32_e32 v45, 29, v45
	v_lshlrev_b32_e32 v56, v56, v117
	v_lshlrev_b32_e32 v117, 24, v117
	s_delay_alu instid0(VALU_DEP_2) | instskip(NEXT) | instid1(VALU_DEP_2)
	v_dual_cndmask_b32 v45, v59, v45 :: v_dual_and_b32 v56, 7, v56
	v_and_b32_e32 v117, 0x80000000, v117
	s_delay_alu instid0(VALU_DEP_2) | instskip(NEXT) | instid1(VALU_DEP_3)
	v_lshl_add_u32 v45, v45, 23, 0x3b800000
	v_cndmask_b32_e32 v183, v183, v56, vcc_lo
	s_delay_alu instid0(VALU_DEP_1) | instskip(NEXT) | instid1(VALU_DEP_1)
	v_lshlrev_b32_e32 v183, 20, v183
	v_or3_b32 v183, v117, v45, v183
.LBB6_10011:                            ;   in Loop: Header=BB6_9353 Depth=3
	s_or_b32 exec_lo, exec_lo, s31
	s_delay_alu instid0(VALU_DEP_1) | instskip(SKIP_1) | instid1(VALU_DEP_1)
	v_max_f32_e32 v117, v183, v183
	v_max_f32_e32 v183, v42, v42
	v_min_f32_e32 v42, v183, v117
.LBB6_10012:                            ;   in Loop: Header=BB6_9353 Depth=3
	s_waitcnt vmcnt(9) lgkmcnt(9)
	s_delay_alu instid0(VALU_DEP_1) | instskip(NEXT) | instid1(VALU_DEP_1)
	v_and_b32_e32 v117, 0x7f800000, v42
	v_cmp_ne_u32_e32 vcc_lo, 0x7f800000, v117
	v_mov_b32_e32 v117, 0x80
	s_and_saveexec_b32 s31, vcc_lo
	s_cbranch_execz .LBB6_10020
; %bb.10013:                            ;   in Loop: Header=BB6_9353 Depth=3
	v_mov_b32_e32 v117, 0
	s_mov_b32 s34, exec_lo
	v_cmpx_ne_u32_e32 0, v42
	s_cbranch_execz .LBB6_10019
; %bb.10014:                            ;   in Loop: Header=BB6_9353 Depth=3
	v_bfe_u32 v117, v42, 23, 8
	v_and_b32_e32 v183, 0x7fffff, v42
	s_delay_alu instid0(VALU_DEP_2) | instskip(SKIP_1) | instid1(VALU_DEP_3)
	v_sub_nc_u32_e32 v45, 0x78, v117
	v_cmp_gt_u32_e32 vcc_lo, 0x79, v117
	v_or_b32_e32 v56, 0x800000, v183
	s_delay_alu instid0(VALU_DEP_3) | instskip(SKIP_2) | instid1(VALU_DEP_3)
	v_cndmask_b32_e32 v45, 0, v45, vcc_lo
	v_cmp_eq_u32_e32 vcc_lo, 0, v117
	v_add_nc_u32_e32 v117, 0xffffff89, v117
	v_cndmask_b32_e64 v45, v45, 0x77, vcc_lo
	v_cndmask_b32_e32 v183, v56, v183, vcc_lo
	s_delay_alu instid0(VALU_DEP_3) | instskip(NEXT) | instid1(VALU_DEP_3)
	v_cndmask_b32_e64 v117, v117, 0xffffff8a, vcc_lo
	v_lshl_add_u32 v56, 0x100000, v45, -1
	s_delay_alu instid0(VALU_DEP_3) | instskip(SKIP_1) | instid1(VALU_DEP_4)
	v_lshrrev_b32_e32 v59, v45, v183
	v_lshlrev_b32_e64 v73, v45, 0x80000
	v_add_nc_u32_e32 v45, v45, v117
	s_delay_alu instid0(VALU_DEP_4) | instskip(NEXT) | instid1(VALU_DEP_4)
	v_and_b32_e32 v183, v56, v183
	v_bfe_u32 v62, v59, 20, 1
	s_delay_alu instid0(VALU_DEP_2) | instskip(NEXT) | instid1(VALU_DEP_2)
	v_cmp_eq_u32_e64 s13, v183, v73
	v_add_nc_u32_e32 v56, -1, v62
	s_delay_alu instid0(VALU_DEP_1) | instskip(SKIP_2) | instid1(VALU_DEP_2)
	v_cndmask_b32_e64 v183, 0, v56, s13
	v_lshrrev_b32_e32 v56, 23, v59
	s_mov_b32 s13, exec_lo
	v_add_nc_u32_e32 v183, v183, v59
	s_delay_alu instid0(VALU_DEP_2) | instskip(NEXT) | instid1(VALU_DEP_2)
	v_xor_b32_e32 v56, 1, v56
	v_and_b32_e32 v117, 0xfffff, v183
	s_delay_alu instid0(VALU_DEP_1) | instskip(NEXT) | instid1(VALU_DEP_3)
	v_add_nc_u32_e32 v183, v117, v59
                                        ; implicit-def: $vgpr117
	v_cmpx_ne_u32_e64 v45, v56
	s_xor_b32 s13, exec_lo, s13
; %bb.10015:                            ;   in Loop: Header=BB6_9353 Depth=3
	s_delay_alu instid0(VALU_DEP_2) | instskip(SKIP_2) | instid1(VALU_DEP_2)
	v_cmp_lt_u32_e32 vcc_lo, 0xffffff, v183
	v_sub_nc_u32_e32 v117, v45, v56
	v_cndmask_b32_e64 v45, 0, 1, vcc_lo
	v_add_co_ci_u32_e32 v117, vcc_lo, 0, v117, vcc_lo
	s_delay_alu instid0(VALU_DEP_2)
	v_lshrrev_b32_e32 v183, v45, v183
; %bb.10016:                            ;   in Loop: Header=BB6_9353 Depth=3
	s_and_not1_saveexec_b32 s13, s13
; %bb.10017:                            ;   in Loop: Header=BB6_9353 Depth=3
	s_delay_alu instid0(VALU_DEP_1)
	v_bfe_u32 v117, v183, 23, 1
; %bb.10018:                            ;   in Loop: Header=BB6_9353 Depth=3
	s_or_b32 exec_lo, exec_lo, s13
	v_lshrrev_b32_e32 v183, 20, v183
	s_delay_alu instid0(VALU_DEP_2) | instskip(SKIP_2) | instid1(VALU_DEP_2)
	v_cmp_gt_i32_e32 vcc_lo, 16, v117
	v_lshrrev_b32_e32 v42, 24, v42
	v_min_i32_e32 v45, 15, v117
	v_dual_cndmask_b32 v183, 7, v183 :: v_dual_and_b32 v42, 0x80, v42
	s_delay_alu instid0(VALU_DEP_2) | instskip(NEXT) | instid1(VALU_DEP_2)
	v_lshlrev_b32_e32 v45, 3, v45
	v_and_b32_e32 v56, 7, v183
	v_or_b32_e32 v117, v117, v183
	s_delay_alu instid0(VALU_DEP_2) | instskip(NEXT) | instid1(VALU_DEP_2)
	v_or3_b32 v183, v45, v42, v56
	v_cmp_ne_u32_e32 vcc_lo, 0, v117
	s_delay_alu instid0(VALU_DEP_2)
	v_cndmask_b32_e32 v117, 0, v183, vcc_lo
.LBB6_10019:                            ;   in Loop: Header=BB6_9353 Depth=3
	s_or_b32 exec_lo, exec_lo, s34
.LBB6_10020:                            ;   in Loop: Header=BB6_9353 Depth=3
	s_delay_alu instid0(SALU_CYCLE_1) | instskip(NEXT) | instid1(SALU_CYCLE_1)
	s_or_b32 exec_lo, exec_lo, s31
	s_and_not1_b32 vcc_lo, exec_lo, s17
	s_cbranch_vccnz .LBB6_10030
; %bb.10021:                            ;   in Loop: Header=BB6_9353 Depth=3
	v_and_b32_e32 v42, 0xff, v115
	s_mov_b32 s13, 0
	s_mov_b32 s34, exec_lo
                                        ; implicit-def: $sgpr31
	s_delay_alu instid0(VALU_DEP_1)
	v_cmpx_lt_i16_e32 0x7f, v42
	s_xor_b32 s34, exec_lo, s34
	s_cbranch_execnz .LBB6_10647
; %bb.10022:                            ;   in Loop: Header=BB6_9353 Depth=3
	s_or_saveexec_b32 s34, s34
	v_mov_b32_e32 v183, s31
	s_xor_b32 exec_lo, exec_lo, s34
	s_cbranch_execnz .LBB6_10650
.LBB6_10023:                            ;   in Loop: Header=BB6_9353 Depth=3
	s_or_b32 exec_lo, exec_lo, s34
	s_and_saveexec_b32 s31, s13
	s_cbranch_execz .LBB6_10025
.LBB6_10024:                            ;   in Loop: Header=BB6_9353 Depth=3
	v_lshrrev_b16 v56, 3, v115
	v_lshlrev_b32_e32 v59, 24, v115
	s_delay_alu instid0(VALU_DEP_2) | instskip(NEXT) | instid1(VALU_DEP_1)
	v_and_b32_e32 v56, 15, v56
	v_cmp_eq_u32_e32 vcc_lo, 0, v56
	v_and_b32_e32 v183, 7, v115
	s_delay_alu instid0(VALU_DEP_1) | instskip(NEXT) | instid1(VALU_DEP_1)
	v_clz_i32_u32_e32 v42, v183
	v_min_u32_e32 v42, 32, v42
	s_delay_alu instid0(VALU_DEP_1) | instskip(SKIP_1) | instid1(VALU_DEP_1)
	v_subrev_nc_u32_e32 v45, 28, v42
	v_sub_nc_u32_e32 v42, 29, v42
	v_dual_cndmask_b32 v42, v56, v42 :: v_dual_lshlrev_b32 v45, v45, v115
	s_delay_alu instid0(VALU_DEP_1) | instskip(NEXT) | instid1(VALU_DEP_2)
	v_and_b32_e32 v45, 7, v45
	v_lshl_add_u32 v42, v42, 23, 0x3b800000
	s_delay_alu instid0(VALU_DEP_2) | instskip(SKIP_1) | instid1(VALU_DEP_2)
	v_cndmask_b32_e32 v183, v183, v45, vcc_lo
	v_and_b32_e32 v45, 0x80000000, v59
	v_lshlrev_b32_e32 v183, 20, v183
	s_delay_alu instid0(VALU_DEP_1)
	v_or3_b32 v183, v45, v42, v183
.LBB6_10025:                            ;   in Loop: Header=BB6_9353 Depth=3
	s_or_b32 exec_lo, exec_lo, s31
	s_waitcnt vmcnt(8) lgkmcnt(8)
	v_and_b32_e32 v45, 0xff, v114
	s_mov_b32 s13, 0
	s_mov_b32 s34, exec_lo
                                        ; implicit-def: $sgpr31
	s_delay_alu instid0(VALU_DEP_1)
	v_cmpx_lt_i16_e32 0x7f, v45
	s_xor_b32 s34, exec_lo, s34
	s_cbranch_execnz .LBB6_10651
; %bb.10026:                            ;   in Loop: Header=BB6_9353 Depth=3
	s_or_saveexec_b32 s34, s34
	v_mov_b32_e32 v42, s31
	s_xor_b32 exec_lo, exec_lo, s34
	s_cbranch_execnz .LBB6_10654
.LBB6_10027:                            ;   in Loop: Header=BB6_9353 Depth=3
	s_or_b32 exec_lo, exec_lo, s34
	s_and_saveexec_b32 s31, s13
	s_cbranch_execz .LBB6_10029
.LBB6_10028:                            ;   in Loop: Header=BB6_9353 Depth=3
	v_lshrrev_b16 v59, 3, v114
	v_lshlrev_b32_e32 v62, 24, v114
	s_delay_alu instid0(VALU_DEP_2) | instskip(NEXT) | instid1(VALU_DEP_1)
	v_and_b32_e32 v59, 15, v59
	v_cmp_eq_u32_e32 vcc_lo, 0, v59
	v_and_b32_e32 v42, 7, v114
	s_delay_alu instid0(VALU_DEP_1) | instskip(NEXT) | instid1(VALU_DEP_1)
	v_clz_i32_u32_e32 v45, v42
	v_min_u32_e32 v45, 32, v45
	s_delay_alu instid0(VALU_DEP_1) | instskip(SKIP_1) | instid1(VALU_DEP_1)
	v_subrev_nc_u32_e32 v56, 28, v45
	v_sub_nc_u32_e32 v45, 29, v45
	v_dual_cndmask_b32 v45, v59, v45 :: v_dual_lshlrev_b32 v56, v56, v114
	s_delay_alu instid0(VALU_DEP_1) | instskip(NEXT) | instid1(VALU_DEP_2)
	v_and_b32_e32 v56, 7, v56
	v_lshl_add_u32 v45, v45, 23, 0x3b800000
	s_delay_alu instid0(VALU_DEP_2) | instskip(SKIP_1) | instid1(VALU_DEP_2)
	v_cndmask_b32_e32 v42, v42, v56, vcc_lo
	v_and_b32_e32 v56, 0x80000000, v62
	v_lshlrev_b32_e32 v42, 20, v42
	s_delay_alu instid0(VALU_DEP_1)
	v_or3_b32 v42, v56, v45, v42
.LBB6_10029:                            ;   in Loop: Header=BB6_9353 Depth=3
	s_or_b32 exec_lo, exec_lo, s31
	s_delay_alu instid0(VALU_DEP_1) | instskip(SKIP_1) | instid1(VALU_DEP_1)
	v_dual_max_f32 v42, v42, v42 :: v_dual_max_f32 v183, v183, v183
	s_mov_b32 s13, 0
	v_max_f32_e32 v183, v183, v42
	s_branch .LBB6_10031
.LBB6_10030:                            ;   in Loop: Header=BB6_9353 Depth=3
	s_mov_b32 s13, -1
                                        ; implicit-def: $vgpr183
.LBB6_10031:                            ;   in Loop: Header=BB6_9353 Depth=3
	s_delay_alu instid0(SALU_CYCLE_1)
	s_and_b32 vcc_lo, exec_lo, s13
	s_cbranch_vccz .LBB6_10041
; %bb.10032:                            ;   in Loop: Header=BB6_9353 Depth=3
	v_and_b32_e32 v42, 0xff, v115
	s_mov_b32 s13, 0
	s_mov_b32 s34, exec_lo
                                        ; implicit-def: $sgpr31
	s_delay_alu instid0(VALU_DEP_1)
	v_cmpx_lt_i16_e32 0x7f, v42
	s_xor_b32 s34, exec_lo, s34
	s_cbranch_execnz .LBB6_10655
; %bb.10033:                            ;   in Loop: Header=BB6_9353 Depth=3
	s_or_saveexec_b32 s34, s34
	v_mov_b32_e32 v183, s31
	s_xor_b32 exec_lo, exec_lo, s34
	s_cbranch_execnz .LBB6_10658
.LBB6_10034:                            ;   in Loop: Header=BB6_9353 Depth=3
	s_or_b32 exec_lo, exec_lo, s34
	s_and_saveexec_b32 s31, s13
	s_cbranch_execz .LBB6_10036
.LBB6_10035:                            ;   in Loop: Header=BB6_9353 Depth=3
	v_lshrrev_b16 v56, 3, v115
	s_delay_alu instid0(VALU_DEP_1) | instskip(NEXT) | instid1(VALU_DEP_1)
	v_and_b32_e32 v56, 15, v56
	v_cmp_eq_u32_e32 vcc_lo, 0, v56
	v_and_b32_e32 v183, 7, v115
	s_delay_alu instid0(VALU_DEP_1) | instskip(NEXT) | instid1(VALU_DEP_1)
	v_clz_i32_u32_e32 v42, v183
	v_min_u32_e32 v42, 32, v42
	s_delay_alu instid0(VALU_DEP_1) | instskip(SKIP_1) | instid1(VALU_DEP_1)
	v_subrev_nc_u32_e32 v45, 28, v42
	v_sub_nc_u32_e32 v42, 29, v42
	v_dual_cndmask_b32 v42, v56, v42 :: v_dual_lshlrev_b32 v45, v45, v115
	v_lshlrev_b32_e32 v115, 24, v115
	s_delay_alu instid0(VALU_DEP_2) | instskip(NEXT) | instid1(VALU_DEP_3)
	v_and_b32_e32 v45, 7, v45
	v_lshl_add_u32 v42, v42, 23, 0x3b800000
	s_delay_alu instid0(VALU_DEP_3) | instskip(NEXT) | instid1(VALU_DEP_3)
	v_and_b32_e32 v115, 0x80000000, v115
	v_cndmask_b32_e32 v183, v183, v45, vcc_lo
	s_delay_alu instid0(VALU_DEP_1) | instskip(NEXT) | instid1(VALU_DEP_1)
	v_lshlrev_b32_e32 v183, 20, v183
	v_or3_b32 v183, v115, v42, v183
.LBB6_10036:                            ;   in Loop: Header=BB6_9353 Depth=3
	s_or_b32 exec_lo, exec_lo, s31
	s_waitcnt vmcnt(8) lgkmcnt(8)
	v_and_b32_e32 v42, 0xff, v114
	s_mov_b32 s13, 0
	s_mov_b32 s34, exec_lo
                                        ; implicit-def: $sgpr31
	s_delay_alu instid0(VALU_DEP_1)
	v_cmpx_lt_i16_e32 0x7f, v42
	s_xor_b32 s34, exec_lo, s34
	s_cbranch_execnz .LBB6_10659
; %bb.10037:                            ;   in Loop: Header=BB6_9353 Depth=3
	s_or_saveexec_b32 s34, s34
	v_mov_b32_e32 v115, s31
	s_xor_b32 exec_lo, exec_lo, s34
	s_cbranch_execnz .LBB6_10662
.LBB6_10038:                            ;   in Loop: Header=BB6_9353 Depth=3
	s_or_b32 exec_lo, exec_lo, s34
	s_and_saveexec_b32 s31, s13
	s_cbranch_execz .LBB6_10040
.LBB6_10039:                            ;   in Loop: Header=BB6_9353 Depth=3
	v_and_b32_e32 v115, 7, v114
	v_lshrrev_b16 v56, 3, v114
	s_delay_alu instid0(VALU_DEP_2) | instskip(NEXT) | instid1(VALU_DEP_1)
	v_clz_i32_u32_e32 v42, v115
	v_min_u32_e32 v42, 32, v42
	s_delay_alu instid0(VALU_DEP_1) | instskip(SKIP_1) | instid1(VALU_DEP_2)
	v_subrev_nc_u32_e32 v45, 28, v42
	v_sub_nc_u32_e32 v42, 29, v42
	v_lshlrev_b32_e32 v45, v45, v114
	v_lshlrev_b32_e32 v114, 24, v114
	s_delay_alu instid0(VALU_DEP_2) | instskip(SKIP_1) | instid1(VALU_DEP_3)
	v_and_b32_e32 v45, 7, v45
	v_and_b32_e32 v56, 15, v56
	v_and_b32_e32 v114, 0x80000000, v114
	s_delay_alu instid0(VALU_DEP_2) | instskip(NEXT) | instid1(VALU_DEP_4)
	v_cmp_eq_u32_e32 vcc_lo, 0, v56
	v_dual_cndmask_b32 v115, v115, v45 :: v_dual_cndmask_b32 v42, v56, v42
	s_delay_alu instid0(VALU_DEP_1) | instskip(NEXT) | instid1(VALU_DEP_2)
	v_lshlrev_b32_e32 v115, 20, v115
	v_lshl_add_u32 v42, v42, 23, 0x3b800000
	s_delay_alu instid0(VALU_DEP_1)
	v_or3_b32 v115, v114, v42, v115
.LBB6_10040:                            ;   in Loop: Header=BB6_9353 Depth=3
	s_or_b32 exec_lo, exec_lo, s31
	s_delay_alu instid0(VALU_DEP_1) | instskip(SKIP_1) | instid1(VALU_DEP_1)
	v_max_f32_e32 v114, v115, v115
	v_max_f32_e32 v115, v183, v183
	v_min_f32_e32 v183, v115, v114
.LBB6_10041:                            ;   in Loop: Header=BB6_9353 Depth=3
	s_waitcnt vmcnt(8) lgkmcnt(8)
	s_delay_alu instid0(VALU_DEP_1) | instskip(NEXT) | instid1(VALU_DEP_1)
	v_and_b32_e32 v114, 0x7f800000, v183
	v_cmp_ne_u32_e32 vcc_lo, 0x7f800000, v114
	v_mov_b32_e32 v114, 0x80
	s_and_saveexec_b32 s31, vcc_lo
	s_cbranch_execz .LBB6_10049
; %bb.10042:                            ;   in Loop: Header=BB6_9353 Depth=3
	v_mov_b32_e32 v114, 0
	s_mov_b32 s34, exec_lo
	v_cmpx_ne_u32_e32 0, v183
	s_cbranch_execz .LBB6_10048
; %bb.10043:                            ;   in Loop: Header=BB6_9353 Depth=3
	v_bfe_u32 v114, v183, 23, 8
	s_delay_alu instid0(VALU_DEP_1) | instskip(SKIP_1) | instid1(VALU_DEP_2)
	v_sub_nc_u32_e32 v42, 0x78, v114
	v_cmp_gt_u32_e32 vcc_lo, 0x79, v114
	v_dual_cndmask_b32 v42, 0, v42 :: v_dual_and_b32 v115, 0x7fffff, v183
	s_delay_alu instid0(VALU_DEP_1) | instskip(SKIP_2) | instid1(VALU_DEP_4)
	v_or_b32_e32 v45, 0x800000, v115
	v_cmp_eq_u32_e32 vcc_lo, 0, v114
	v_add_nc_u32_e32 v114, 0xffffff89, v114
	v_cndmask_b32_e64 v42, v42, 0x77, vcc_lo
	s_delay_alu instid0(VALU_DEP_4) | instskip(NEXT) | instid1(VALU_DEP_3)
	v_cndmask_b32_e32 v115, v45, v115, vcc_lo
	v_cndmask_b32_e64 v114, v114, 0xffffff8a, vcc_lo
	s_delay_alu instid0(VALU_DEP_3) | instskip(NEXT) | instid1(VALU_DEP_3)
	v_lshl_add_u32 v45, 0x100000, v42, -1
	v_lshrrev_b32_e32 v56, v42, v115
	v_lshlrev_b32_e64 v62, v42, 0x80000
	s_delay_alu instid0(VALU_DEP_4) | instskip(NEXT) | instid1(VALU_DEP_4)
	v_add_nc_u32_e32 v42, v42, v114
	v_and_b32_e32 v115, v45, v115
	s_delay_alu instid0(VALU_DEP_4) | instskip(NEXT) | instid1(VALU_DEP_2)
	v_bfe_u32 v59, v56, 20, 1
	v_cmp_eq_u32_e64 s13, v115, v62
	s_delay_alu instid0(VALU_DEP_2) | instskip(NEXT) | instid1(VALU_DEP_1)
	v_add_nc_u32_e32 v45, -1, v59
	v_cndmask_b32_e64 v115, 0, v45, s13
	v_lshrrev_b32_e32 v45, 23, v56
	s_mov_b32 s13, exec_lo
	s_delay_alu instid0(VALU_DEP_2) | instskip(NEXT) | instid1(VALU_DEP_2)
	v_add_nc_u32_e32 v115, v115, v56
	v_xor_b32_e32 v45, 1, v45
	s_delay_alu instid0(VALU_DEP_2) | instskip(NEXT) | instid1(VALU_DEP_1)
	v_and_b32_e32 v114, 0xfffff, v115
	v_add_nc_u32_e32 v115, v114, v56
                                        ; implicit-def: $vgpr114
	s_delay_alu instid0(VALU_DEP_3)
	v_cmpx_ne_u32_e64 v42, v45
	s_xor_b32 s13, exec_lo, s13
; %bb.10044:                            ;   in Loop: Header=BB6_9353 Depth=3
	s_delay_alu instid0(VALU_DEP_2) | instskip(SKIP_2) | instid1(VALU_DEP_2)
	v_cmp_lt_u32_e32 vcc_lo, 0xffffff, v115
	v_sub_nc_u32_e32 v114, v42, v45
	v_cndmask_b32_e64 v42, 0, 1, vcc_lo
	v_add_co_ci_u32_e32 v114, vcc_lo, 0, v114, vcc_lo
	s_delay_alu instid0(VALU_DEP_2)
	v_lshrrev_b32_e32 v115, v42, v115
; %bb.10045:                            ;   in Loop: Header=BB6_9353 Depth=3
	s_and_not1_saveexec_b32 s13, s13
; %bb.10046:                            ;   in Loop: Header=BB6_9353 Depth=3
	s_delay_alu instid0(VALU_DEP_1)
	v_bfe_u32 v114, v115, 23, 1
; %bb.10047:                            ;   in Loop: Header=BB6_9353 Depth=3
	s_or_b32 exec_lo, exec_lo, s13
	v_lshrrev_b32_e32 v115, 20, v115
	s_delay_alu instid0(VALU_DEP_2) | instskip(SKIP_2) | instid1(VALU_DEP_4)
	v_cmp_gt_i32_e32 vcc_lo, 16, v114
	v_lshrrev_b32_e32 v183, 24, v183
	v_min_i32_e32 v42, 15, v114
	v_cndmask_b32_e32 v115, 7, v115, vcc_lo
	s_delay_alu instid0(VALU_DEP_3) | instskip(NEXT) | instid1(VALU_DEP_3)
	v_and_b32_e32 v183, 0x80, v183
	v_lshlrev_b32_e32 v42, 3, v42
	s_delay_alu instid0(VALU_DEP_3) | instskip(SKIP_1) | instid1(VALU_DEP_2)
	v_and_b32_e32 v45, 7, v115
	v_or_b32_e32 v114, v114, v115
	v_or3_b32 v115, v42, v183, v45
	s_delay_alu instid0(VALU_DEP_2) | instskip(NEXT) | instid1(VALU_DEP_2)
	v_cmp_ne_u32_e32 vcc_lo, 0, v114
	v_cndmask_b32_e32 v114, 0, v115, vcc_lo
.LBB6_10048:                            ;   in Loop: Header=BB6_9353 Depth=3
	s_or_b32 exec_lo, exec_lo, s34
.LBB6_10049:                            ;   in Loop: Header=BB6_9353 Depth=3
	s_delay_alu instid0(SALU_CYCLE_1) | instskip(NEXT) | instid1(SALU_CYCLE_1)
	s_or_b32 exec_lo, exec_lo, s31
	s_and_not1_b32 vcc_lo, exec_lo, s17
	s_cbranch_vccnz .LBB6_10059
; %bb.10050:                            ;   in Loop: Header=BB6_9353 Depth=3
	v_and_b32_e32 v183, 0xff, v112
	s_mov_b32 s13, 0
	s_mov_b32 s34, exec_lo
                                        ; implicit-def: $sgpr31
	s_delay_alu instid0(VALU_DEP_1)
	v_cmpx_lt_i16_e64 0x7f, v183
	s_xor_b32 s34, exec_lo, s34
	s_cbranch_execnz .LBB6_10663
; %bb.10051:                            ;   in Loop: Header=BB6_9353 Depth=3
	s_or_saveexec_b32 s34, s34
	v_mov_b32_e32 v115, s31
	s_xor_b32 exec_lo, exec_lo, s34
	s_cbranch_execnz .LBB6_10666
.LBB6_10052:                            ;   in Loop: Header=BB6_9353 Depth=3
	s_or_b32 exec_lo, exec_lo, s34
	s_and_saveexec_b32 s31, s13
	s_cbranch_execz .LBB6_10054
.LBB6_10053:                            ;   in Loop: Header=BB6_9353 Depth=3
	v_and_b32_e32 v115, 7, v112
	v_lshrrev_b16 v45, 3, v112
	s_delay_alu instid0(VALU_DEP_2) | instskip(NEXT) | instid1(VALU_DEP_2)
	v_clz_i32_u32_e32 v183, v115
	v_and_b32_e32 v45, 15, v45
	s_delay_alu instid0(VALU_DEP_2) | instskip(NEXT) | instid1(VALU_DEP_2)
	v_min_u32_e32 v183, 32, v183
	v_cmp_eq_u32_e32 vcc_lo, 0, v45
	s_delay_alu instid0(VALU_DEP_2) | instskip(SKIP_1) | instid1(VALU_DEP_1)
	v_subrev_nc_u32_e32 v42, 28, v183
	v_sub_nc_u32_e32 v183, 29, v183
	v_dual_cndmask_b32 v183, v45, v183 :: v_dual_lshlrev_b32 v42, v42, v112
	s_delay_alu instid0(VALU_DEP_1) | instskip(SKIP_1) | instid1(VALU_DEP_3)
	v_and_b32_e32 v42, 7, v42
	v_lshlrev_b32_e32 v56, 24, v112
	v_lshl_add_u32 v183, v183, 23, 0x3b800000
	s_delay_alu instid0(VALU_DEP_2) | instskip(NEXT) | instid1(VALU_DEP_1)
	v_dual_cndmask_b32 v115, v115, v42 :: v_dual_and_b32 v42, 0x80000000, v56
	v_lshlrev_b32_e32 v115, 20, v115
	s_delay_alu instid0(VALU_DEP_1)
	v_or3_b32 v115, v42, v183, v115
.LBB6_10054:                            ;   in Loop: Header=BB6_9353 Depth=3
	s_or_b32 exec_lo, exec_lo, s31
	s_waitcnt vmcnt(7) lgkmcnt(7)
	v_and_b32_e32 v42, 0xff, v102
	s_mov_b32 s13, 0
	s_mov_b32 s34, exec_lo
                                        ; implicit-def: $sgpr31
	s_delay_alu instid0(VALU_DEP_1)
	v_cmpx_lt_i16_e32 0x7f, v42
	s_xor_b32 s34, exec_lo, s34
	s_cbranch_execnz .LBB6_10667
; %bb.10055:                            ;   in Loop: Header=BB6_9353 Depth=3
	s_or_saveexec_b32 s34, s34
	v_mov_b32_e32 v183, s31
	s_xor_b32 exec_lo, exec_lo, s34
	s_cbranch_execnz .LBB6_10670
.LBB6_10056:                            ;   in Loop: Header=BB6_9353 Depth=3
	s_or_b32 exec_lo, exec_lo, s34
	s_and_saveexec_b32 s31, s13
	s_cbranch_execz .LBB6_10058
.LBB6_10057:                            ;   in Loop: Header=BB6_9353 Depth=3
	v_and_b32_e32 v183, 7, v102
	v_lshrrev_b16 v56, 3, v102
	v_lshlrev_b32_e32 v59, 24, v102
	s_delay_alu instid0(VALU_DEP_3) | instskip(NEXT) | instid1(VALU_DEP_1)
	v_clz_i32_u32_e32 v42, v183
	v_min_u32_e32 v42, 32, v42
	s_delay_alu instid0(VALU_DEP_1) | instskip(SKIP_1) | instid1(VALU_DEP_2)
	v_subrev_nc_u32_e32 v45, 28, v42
	v_sub_nc_u32_e32 v42, 29, v42
	v_lshlrev_b32_e32 v45, v45, v102
	s_delay_alu instid0(VALU_DEP_1) | instskip(SKIP_1) | instid1(VALU_DEP_1)
	v_and_b32_e32 v45, 7, v45
	v_and_b32_e32 v56, 15, v56
	v_cmp_eq_u32_e32 vcc_lo, 0, v56
	s_delay_alu instid0(VALU_DEP_3) | instskip(SKIP_1) | instid1(VALU_DEP_2)
	v_dual_cndmask_b32 v183, v183, v45 :: v_dual_cndmask_b32 v42, v56, v42
	v_and_b32_e32 v45, 0x80000000, v59
	v_lshlrev_b32_e32 v183, 20, v183
	s_delay_alu instid0(VALU_DEP_3) | instskip(NEXT) | instid1(VALU_DEP_1)
	v_lshl_add_u32 v42, v42, 23, 0x3b800000
	v_or3_b32 v183, v45, v42, v183
.LBB6_10058:                            ;   in Loop: Header=BB6_9353 Depth=3
	s_or_b32 exec_lo, exec_lo, s31
	s_delay_alu instid0(VALU_DEP_1) | instskip(SKIP_2) | instid1(VALU_DEP_1)
	v_max_f32_e32 v183, v183, v183
	v_max_f32_e32 v115, v115, v115
	s_mov_b32 s13, 0
	v_max_f32_e32 v115, v115, v183
	s_branch .LBB6_10060
.LBB6_10059:                            ;   in Loop: Header=BB6_9353 Depth=3
	s_mov_b32 s13, -1
                                        ; implicit-def: $vgpr115
.LBB6_10060:                            ;   in Loop: Header=BB6_9353 Depth=3
	s_delay_alu instid0(SALU_CYCLE_1)
	s_and_b32 vcc_lo, exec_lo, s13
	s_cbranch_vccz .LBB6_10070
; %bb.10061:                            ;   in Loop: Header=BB6_9353 Depth=3
	v_and_b32_e32 v183, 0xff, v112
	s_mov_b32 s13, 0
	s_mov_b32 s34, exec_lo
                                        ; implicit-def: $sgpr31
	s_delay_alu instid0(VALU_DEP_1)
	v_cmpx_lt_i16_e64 0x7f, v183
	s_xor_b32 s34, exec_lo, s34
	s_cbranch_execnz .LBB6_10671
; %bb.10062:                            ;   in Loop: Header=BB6_9353 Depth=3
	s_or_saveexec_b32 s34, s34
	v_mov_b32_e32 v115, s31
	s_xor_b32 exec_lo, exec_lo, s34
	s_cbranch_execnz .LBB6_10674
.LBB6_10063:                            ;   in Loop: Header=BB6_9353 Depth=3
	s_or_b32 exec_lo, exec_lo, s34
	s_and_saveexec_b32 s31, s13
	s_cbranch_execz .LBB6_10065
.LBB6_10064:                            ;   in Loop: Header=BB6_9353 Depth=3
	v_and_b32_e32 v115, 7, v112
	v_lshrrev_b16 v45, 3, v112
	s_delay_alu instid0(VALU_DEP_2) | instskip(NEXT) | instid1(VALU_DEP_2)
	v_clz_i32_u32_e32 v183, v115
	v_and_b32_e32 v45, 15, v45
	s_delay_alu instid0(VALU_DEP_2) | instskip(NEXT) | instid1(VALU_DEP_2)
	v_min_u32_e32 v183, 32, v183
	v_cmp_eq_u32_e32 vcc_lo, 0, v45
	s_delay_alu instid0(VALU_DEP_2) | instskip(SKIP_1) | instid1(VALU_DEP_1)
	v_subrev_nc_u32_e32 v42, 28, v183
	v_sub_nc_u32_e32 v183, 29, v183
	v_dual_cndmask_b32 v183, v45, v183 :: v_dual_lshlrev_b32 v42, v42, v112
	s_delay_alu instid0(VALU_DEP_1) | instskip(SKIP_1) | instid1(VALU_DEP_3)
	v_and_b32_e32 v42, 7, v42
	v_lshlrev_b32_e32 v112, 24, v112
	v_lshl_add_u32 v183, v183, 23, 0x3b800000
	s_delay_alu instid0(VALU_DEP_2) | instskip(NEXT) | instid1(VALU_DEP_1)
	v_dual_cndmask_b32 v115, v115, v42 :: v_dual_and_b32 v112, 0x80000000, v112
	v_lshlrev_b32_e32 v115, 20, v115
	s_delay_alu instid0(VALU_DEP_1)
	v_or3_b32 v115, v112, v183, v115
.LBB6_10065:                            ;   in Loop: Header=BB6_9353 Depth=3
	s_or_b32 exec_lo, exec_lo, s31
	s_waitcnt vmcnt(7) lgkmcnt(7)
	v_and_b32_e32 v183, 0xff, v102
	s_mov_b32 s13, 0
	s_mov_b32 s34, exec_lo
                                        ; implicit-def: $sgpr31
	s_delay_alu instid0(VALU_DEP_1)
	v_cmpx_lt_i16_e64 0x7f, v183
	s_xor_b32 s34, exec_lo, s34
	s_cbranch_execnz .LBB6_10675
; %bb.10066:                            ;   in Loop: Header=BB6_9353 Depth=3
	s_or_saveexec_b32 s34, s34
	v_mov_b32_e32 v112, s31
	s_xor_b32 exec_lo, exec_lo, s34
	s_cbranch_execnz .LBB6_10678
.LBB6_10067:                            ;   in Loop: Header=BB6_9353 Depth=3
	s_or_b32 exec_lo, exec_lo, s34
	s_and_saveexec_b32 s31, s13
	s_cbranch_execz .LBB6_10069
.LBB6_10068:                            ;   in Loop: Header=BB6_9353 Depth=3
	v_lshrrev_b16 v45, 3, v102
	s_delay_alu instid0(VALU_DEP_1) | instskip(NEXT) | instid1(VALU_DEP_1)
	v_and_b32_e32 v45, 15, v45
	v_cmp_eq_u32_e32 vcc_lo, 0, v45
	v_and_b32_e32 v112, 7, v102
	s_delay_alu instid0(VALU_DEP_1) | instskip(NEXT) | instid1(VALU_DEP_1)
	v_clz_i32_u32_e32 v183, v112
	v_min_u32_e32 v183, 32, v183
	s_delay_alu instid0(VALU_DEP_1) | instskip(SKIP_1) | instid1(VALU_DEP_1)
	v_subrev_nc_u32_e32 v42, 28, v183
	v_sub_nc_u32_e32 v183, 29, v183
	v_dual_cndmask_b32 v183, v45, v183 :: v_dual_lshlrev_b32 v42, v42, v102
	v_lshlrev_b32_e32 v102, 24, v102
	s_delay_alu instid0(VALU_DEP_2) | instskip(NEXT) | instid1(VALU_DEP_3)
	v_and_b32_e32 v42, 7, v42
	v_lshl_add_u32 v183, v183, 23, 0x3b800000
	s_delay_alu instid0(VALU_DEP_3) | instskip(NEXT) | instid1(VALU_DEP_3)
	v_and_b32_e32 v102, 0x80000000, v102
	v_cndmask_b32_e32 v112, v112, v42, vcc_lo
	s_delay_alu instid0(VALU_DEP_1) | instskip(NEXT) | instid1(VALU_DEP_1)
	v_lshlrev_b32_e32 v112, 20, v112
	v_or3_b32 v112, v102, v183, v112
.LBB6_10069:                            ;   in Loop: Header=BB6_9353 Depth=3
	s_or_b32 exec_lo, exec_lo, s31
	s_delay_alu instid0(VALU_DEP_1) | instskip(SKIP_1) | instid1(VALU_DEP_1)
	v_max_f32_e32 v102, v112, v112
	v_max_f32_e32 v112, v115, v115
	v_min_f32_e32 v115, v112, v102
.LBB6_10070:                            ;   in Loop: Header=BB6_9353 Depth=3
	s_waitcnt vmcnt(7) lgkmcnt(7)
	s_delay_alu instid0(VALU_DEP_1) | instskip(NEXT) | instid1(VALU_DEP_1)
	v_and_b32_e32 v102, 0x7f800000, v115
	v_cmp_ne_u32_e32 vcc_lo, 0x7f800000, v102
	v_mov_b32_e32 v102, 0x80
	s_and_saveexec_b32 s31, vcc_lo
	s_cbranch_execz .LBB6_10078
; %bb.10071:                            ;   in Loop: Header=BB6_9353 Depth=3
	v_mov_b32_e32 v102, 0
	s_mov_b32 s34, exec_lo
	v_cmpx_ne_u32_e32 0, v115
	s_cbranch_execz .LBB6_10077
; %bb.10072:                            ;   in Loop: Header=BB6_9353 Depth=3
	v_bfe_u32 v102, v115, 23, 8
	v_and_b32_e32 v112, 0x7fffff, v115
	s_delay_alu instid0(VALU_DEP_2) | instskip(SKIP_1) | instid1(VALU_DEP_3)
	v_sub_nc_u32_e32 v183, 0x78, v102
	v_cmp_gt_u32_e32 vcc_lo, 0x79, v102
	v_or_b32_e32 v42, 0x800000, v112
	s_delay_alu instid0(VALU_DEP_3) | instskip(SKIP_2) | instid1(VALU_DEP_4)
	v_cndmask_b32_e32 v183, 0, v183, vcc_lo
	v_cmp_eq_u32_e32 vcc_lo, 0, v102
	v_add_nc_u32_e32 v102, 0xffffff89, v102
	v_cndmask_b32_e32 v112, v42, v112, vcc_lo
	s_delay_alu instid0(VALU_DEP_4) | instskip(NEXT) | instid1(VALU_DEP_3)
	v_cndmask_b32_e64 v183, v183, 0x77, vcc_lo
	v_cndmask_b32_e64 v102, v102, 0xffffff8a, vcc_lo
	s_delay_alu instid0(VALU_DEP_2) | instskip(SKIP_2) | instid1(VALU_DEP_4)
	v_lshrrev_b32_e32 v45, v183, v112
	v_lshl_add_u32 v42, 0x100000, v183, -1
	v_lshlrev_b32_e64 v59, v183, 0x80000
	v_add_nc_u32_e32 v183, v183, v102
	s_delay_alu instid0(VALU_DEP_4) | instskip(NEXT) | instid1(VALU_DEP_4)
	v_bfe_u32 v56, v45, 20, 1
	v_and_b32_e32 v112, v42, v112
	s_delay_alu instid0(VALU_DEP_2) | instskip(NEXT) | instid1(VALU_DEP_2)
	v_add_nc_u32_e32 v42, -1, v56
	v_cmp_eq_u32_e64 s13, v112, v59
	s_delay_alu instid0(VALU_DEP_1) | instskip(SKIP_2) | instid1(VALU_DEP_2)
	v_cndmask_b32_e64 v112, 0, v42, s13
	v_lshrrev_b32_e32 v42, 23, v45
	s_mov_b32 s13, exec_lo
	v_add_nc_u32_e32 v112, v112, v45
	s_delay_alu instid0(VALU_DEP_2) | instskip(NEXT) | instid1(VALU_DEP_2)
	v_xor_b32_e32 v42, 1, v42
	v_and_b32_e32 v102, 0xfffff, v112
	s_delay_alu instid0(VALU_DEP_1) | instskip(NEXT) | instid1(VALU_DEP_3)
	v_add_nc_u32_e32 v112, v102, v45
                                        ; implicit-def: $vgpr102
	v_cmpx_ne_u32_e64 v183, v42
	s_xor_b32 s13, exec_lo, s13
; %bb.10073:                            ;   in Loop: Header=BB6_9353 Depth=3
	s_delay_alu instid0(VALU_DEP_2) | instskip(SKIP_2) | instid1(VALU_DEP_2)
	v_cmp_lt_u32_e32 vcc_lo, 0xffffff, v112
	v_sub_nc_u32_e32 v102, v183, v42
	v_cndmask_b32_e64 v183, 0, 1, vcc_lo
	v_add_co_ci_u32_e32 v102, vcc_lo, 0, v102, vcc_lo
	s_delay_alu instid0(VALU_DEP_2)
	v_lshrrev_b32_e32 v112, v183, v112
; %bb.10074:                            ;   in Loop: Header=BB6_9353 Depth=3
	s_and_not1_saveexec_b32 s13, s13
; %bb.10075:                            ;   in Loop: Header=BB6_9353 Depth=3
	s_delay_alu instid0(VALU_DEP_1)
	v_bfe_u32 v102, v112, 23, 1
; %bb.10076:                            ;   in Loop: Header=BB6_9353 Depth=3
	s_or_b32 exec_lo, exec_lo, s13
	v_lshrrev_b32_e32 v112, 20, v112
	s_delay_alu instid0(VALU_DEP_2) | instskip(SKIP_2) | instid1(VALU_DEP_2)
	v_cmp_gt_i32_e32 vcc_lo, 16, v102
	v_lshrrev_b32_e32 v115, 24, v115
	v_min_i32_e32 v183, 15, v102
	v_dual_cndmask_b32 v112, 7, v112 :: v_dual_and_b32 v115, 0x80, v115
	s_delay_alu instid0(VALU_DEP_1) | instskip(SKIP_1) | instid1(VALU_DEP_2)
	v_or_b32_e32 v102, v102, v112
	v_and_b32_e32 v42, 7, v112
	v_cmp_ne_u32_e32 vcc_lo, 0, v102
	v_lshlrev_b32_e32 v183, 3, v183
	s_delay_alu instid0(VALU_DEP_1) | instskip(NEXT) | instid1(VALU_DEP_1)
	v_or3_b32 v112, v183, v115, v42
	v_cndmask_b32_e32 v102, 0, v112, vcc_lo
.LBB6_10077:                            ;   in Loop: Header=BB6_9353 Depth=3
	s_or_b32 exec_lo, exec_lo, s34
.LBB6_10078:                            ;   in Loop: Header=BB6_9353 Depth=3
	s_delay_alu instid0(SALU_CYCLE_1) | instskip(NEXT) | instid1(SALU_CYCLE_1)
	s_or_b32 exec_lo, exec_lo, s31
	s_and_not1_b32 vcc_lo, exec_lo, s17
	s_cbranch_vccnz .LBB6_10088
; %bb.10079:                            ;   in Loop: Header=BB6_9353 Depth=3
	v_and_b32_e32 v115, 0xff, v51
	s_mov_b32 s13, 0
	s_mov_b32 s34, exec_lo
                                        ; implicit-def: $sgpr31
	s_delay_alu instid0(VALU_DEP_1)
	v_cmpx_lt_i16_e32 0x7f, v115
	s_xor_b32 s34, exec_lo, s34
	s_cbranch_execnz .LBB6_10679
; %bb.10080:                            ;   in Loop: Header=BB6_9353 Depth=3
	s_or_saveexec_b32 s34, s34
	v_mov_b32_e32 v112, s31
	s_xor_b32 exec_lo, exec_lo, s34
	s_cbranch_execnz .LBB6_10682
.LBB6_10081:                            ;   in Loop: Header=BB6_9353 Depth=3
	s_or_b32 exec_lo, exec_lo, s34
	s_and_saveexec_b32 s31, s13
	s_cbranch_execz .LBB6_10083
.LBB6_10082:                            ;   in Loop: Header=BB6_9353 Depth=3
	v_and_b32_e32 v112, 7, v51
	v_lshrrev_b16 v42, 3, v51
	v_lshlrev_b32_e32 v45, 24, v51
	s_delay_alu instid0(VALU_DEP_3) | instskip(NEXT) | instid1(VALU_DEP_3)
	v_clz_i32_u32_e32 v115, v112
	v_and_b32_e32 v42, 15, v42
	s_delay_alu instid0(VALU_DEP_2) | instskip(NEXT) | instid1(VALU_DEP_2)
	v_min_u32_e32 v115, 32, v115
	v_cmp_eq_u32_e32 vcc_lo, 0, v42
	s_delay_alu instid0(VALU_DEP_2) | instskip(SKIP_1) | instid1(VALU_DEP_2)
	v_subrev_nc_u32_e32 v183, 28, v115
	v_sub_nc_u32_e32 v115, 29, v115
	v_lshlrev_b32_e32 v183, v183, v51
	s_delay_alu instid0(VALU_DEP_1) | instskip(NEXT) | instid1(VALU_DEP_1)
	v_and_b32_e32 v183, 7, v183
	v_dual_cndmask_b32 v112, v112, v183 :: v_dual_and_b32 v183, 0x80000000, v45
	s_delay_alu instid0(VALU_DEP_1) | instskip(NEXT) | instid1(VALU_DEP_1)
	v_dual_cndmask_b32 v115, v42, v115 :: v_dual_lshlrev_b32 v112, 20, v112
	v_lshl_add_u32 v115, v115, 23, 0x3b800000
	s_delay_alu instid0(VALU_DEP_1)
	v_or3_b32 v112, v183, v115, v112
.LBB6_10083:                            ;   in Loop: Header=BB6_9353 Depth=3
	s_or_b32 exec_lo, exec_lo, s31
	s_waitcnt vmcnt(6) lgkmcnt(6)
	v_and_b32_e32 v183, 0xff, v50
	s_mov_b32 s13, 0
	s_mov_b32 s34, exec_lo
                                        ; implicit-def: $sgpr31
	s_delay_alu instid0(VALU_DEP_1)
	v_cmpx_lt_i16_e64 0x7f, v183
	s_xor_b32 s34, exec_lo, s34
	s_cbranch_execnz .LBB6_10683
; %bb.10084:                            ;   in Loop: Header=BB6_9353 Depth=3
	s_or_saveexec_b32 s34, s34
	v_mov_b32_e32 v115, s31
	s_xor_b32 exec_lo, exec_lo, s34
	s_cbranch_execnz .LBB6_10686
.LBB6_10085:                            ;   in Loop: Header=BB6_9353 Depth=3
	s_or_b32 exec_lo, exec_lo, s34
	s_and_saveexec_b32 s31, s13
	s_cbranch_execz .LBB6_10087
.LBB6_10086:                            ;   in Loop: Header=BB6_9353 Depth=3
	v_and_b32_e32 v115, 7, v50
	v_lshrrev_b16 v45, 3, v50
	v_lshlrev_b32_e32 v56, 24, v50
	s_delay_alu instid0(VALU_DEP_3) | instskip(NEXT) | instid1(VALU_DEP_3)
	v_clz_i32_u32_e32 v183, v115
	v_and_b32_e32 v45, 15, v45
	s_delay_alu instid0(VALU_DEP_2) | instskip(NEXT) | instid1(VALU_DEP_2)
	v_min_u32_e32 v183, 32, v183
	v_cmp_eq_u32_e32 vcc_lo, 0, v45
	s_delay_alu instid0(VALU_DEP_2) | instskip(SKIP_1) | instid1(VALU_DEP_1)
	v_subrev_nc_u32_e32 v42, 28, v183
	v_sub_nc_u32_e32 v183, 29, v183
	v_dual_cndmask_b32 v183, v45, v183 :: v_dual_lshlrev_b32 v42, v42, v50
	s_delay_alu instid0(VALU_DEP_1) | instskip(NEXT) | instid1(VALU_DEP_2)
	v_and_b32_e32 v42, 7, v42
	v_lshl_add_u32 v183, v183, 23, 0x3b800000
	s_delay_alu instid0(VALU_DEP_2) | instskip(NEXT) | instid1(VALU_DEP_1)
	v_dual_cndmask_b32 v115, v115, v42 :: v_dual_and_b32 v42, 0x80000000, v56
	v_lshlrev_b32_e32 v115, 20, v115
	s_delay_alu instid0(VALU_DEP_1)
	v_or3_b32 v115, v42, v183, v115
.LBB6_10087:                            ;   in Loop: Header=BB6_9353 Depth=3
	s_or_b32 exec_lo, exec_lo, s31
	s_delay_alu instid0(VALU_DEP_1) | instskip(SKIP_1) | instid1(VALU_DEP_1)
	v_dual_max_f32 v115, v115, v115 :: v_dual_max_f32 v112, v112, v112
	s_mov_b32 s13, 0
	v_max_f32_e32 v112, v112, v115
	s_branch .LBB6_10089
.LBB6_10088:                            ;   in Loop: Header=BB6_9353 Depth=3
	s_mov_b32 s13, -1
                                        ; implicit-def: $vgpr112
.LBB6_10089:                            ;   in Loop: Header=BB6_9353 Depth=3
	s_delay_alu instid0(SALU_CYCLE_1)
	s_and_b32 vcc_lo, exec_lo, s13
	s_cbranch_vccz .LBB6_10099
; %bb.10090:                            ;   in Loop: Header=BB6_9353 Depth=3
	v_and_b32_e32 v115, 0xff, v51
	s_mov_b32 s13, 0
	s_mov_b32 s34, exec_lo
                                        ; implicit-def: $sgpr31
	s_delay_alu instid0(VALU_DEP_1)
	v_cmpx_lt_i16_e32 0x7f, v115
	s_xor_b32 s34, exec_lo, s34
	s_cbranch_execnz .LBB6_10687
; %bb.10091:                            ;   in Loop: Header=BB6_9353 Depth=3
	s_or_saveexec_b32 s34, s34
	v_mov_b32_e32 v112, s31
	s_xor_b32 exec_lo, exec_lo, s34
	s_cbranch_execnz .LBB6_10690
.LBB6_10092:                            ;   in Loop: Header=BB6_9353 Depth=3
	s_or_b32 exec_lo, exec_lo, s34
	s_and_saveexec_b32 s31, s13
	s_cbranch_execz .LBB6_10094
.LBB6_10093:                            ;   in Loop: Header=BB6_9353 Depth=3
	v_and_b32_e32 v112, 7, v51
	v_lshrrev_b16 v42, 3, v51
	s_delay_alu instid0(VALU_DEP_2) | instskip(NEXT) | instid1(VALU_DEP_2)
	v_clz_i32_u32_e32 v115, v112
	v_and_b32_e32 v42, 15, v42
	s_delay_alu instid0(VALU_DEP_2) | instskip(NEXT) | instid1(VALU_DEP_2)
	v_min_u32_e32 v115, 32, v115
	v_cmp_eq_u32_e32 vcc_lo, 0, v42
	s_delay_alu instid0(VALU_DEP_2) | instskip(SKIP_1) | instid1(VALU_DEP_2)
	v_subrev_nc_u32_e32 v183, 28, v115
	v_sub_nc_u32_e32 v115, 29, v115
	v_lshlrev_b32_e32 v183, v183, v51
	v_lshlrev_b32_e32 v51, 24, v51
	s_delay_alu instid0(VALU_DEP_2) | instskip(NEXT) | instid1(VALU_DEP_2)
	v_and_b32_e32 v183, 7, v183
	v_and_b32_e32 v51, 0x80000000, v51
	s_delay_alu instid0(VALU_DEP_2) | instskip(NEXT) | instid1(VALU_DEP_1)
	v_cndmask_b32_e32 v112, v112, v183, vcc_lo
	v_dual_cndmask_b32 v115, v42, v115 :: v_dual_lshlrev_b32 v112, 20, v112
	s_delay_alu instid0(VALU_DEP_1) | instskip(NEXT) | instid1(VALU_DEP_1)
	v_lshl_add_u32 v115, v115, 23, 0x3b800000
	v_or3_b32 v112, v51, v115, v112
.LBB6_10094:                            ;   in Loop: Header=BB6_9353 Depth=3
	s_or_b32 exec_lo, exec_lo, s31
	s_waitcnt vmcnt(6) lgkmcnt(6)
	v_and_b32_e32 v115, 0xff, v50
	s_mov_b32 s13, 0
	s_mov_b32 s34, exec_lo
                                        ; implicit-def: $sgpr31
	s_delay_alu instid0(VALU_DEP_1)
	v_cmpx_lt_i16_e32 0x7f, v115
	s_xor_b32 s34, exec_lo, s34
	s_cbranch_execnz .LBB6_10691
; %bb.10095:                            ;   in Loop: Header=BB6_9353 Depth=3
	s_or_saveexec_b32 s34, s34
	v_mov_b32_e32 v51, s31
	s_xor_b32 exec_lo, exec_lo, s34
	s_cbranch_execnz .LBB6_10694
.LBB6_10096:                            ;   in Loop: Header=BB6_9353 Depth=3
	s_or_b32 exec_lo, exec_lo, s34
	s_and_saveexec_b32 s31, s13
	s_cbranch_execz .LBB6_10098
.LBB6_10097:                            ;   in Loop: Header=BB6_9353 Depth=3
	v_and_b32_e32 v51, 7, v50
	v_lshrrev_b16 v42, 3, v50
	s_delay_alu instid0(VALU_DEP_2) | instskip(NEXT) | instid1(VALU_DEP_1)
	v_clz_i32_u32_e32 v115, v51
	v_min_u32_e32 v115, 32, v115
	s_delay_alu instid0(VALU_DEP_1) | instskip(SKIP_1) | instid1(VALU_DEP_2)
	v_subrev_nc_u32_e32 v183, 28, v115
	v_sub_nc_u32_e32 v115, 29, v115
	v_lshlrev_b32_e32 v183, v183, v50
	s_delay_alu instid0(VALU_DEP_1) | instskip(SKIP_1) | instid1(VALU_DEP_1)
	v_and_b32_e32 v183, 7, v183
	v_and_b32_e32 v42, 15, v42
	v_cmp_eq_u32_e32 vcc_lo, 0, v42
	s_delay_alu instid0(VALU_DEP_3) | instskip(SKIP_1) | instid1(VALU_DEP_2)
	v_dual_cndmask_b32 v51, v51, v183 :: v_dual_lshlrev_b32 v50, 24, v50
	v_cndmask_b32_e32 v115, v42, v115, vcc_lo
	v_lshlrev_b32_e32 v51, 20, v51
	s_delay_alu instid0(VALU_DEP_3) | instskip(NEXT) | instid1(VALU_DEP_3)
	v_and_b32_e32 v50, 0x80000000, v50
	v_lshl_add_u32 v115, v115, 23, 0x3b800000
	s_delay_alu instid0(VALU_DEP_1)
	v_or3_b32 v51, v50, v115, v51
.LBB6_10098:                            ;   in Loop: Header=BB6_9353 Depth=3
	s_or_b32 exec_lo, exec_lo, s31
	s_delay_alu instid0(VALU_DEP_1) | instskip(NEXT) | instid1(VALU_DEP_1)
	v_dual_max_f32 v50, v51, v51 :: v_dual_max_f32 v51, v112, v112
	v_min_f32_e32 v112, v51, v50
.LBB6_10099:                            ;   in Loop: Header=BB6_9353 Depth=3
	s_waitcnt vmcnt(6) lgkmcnt(6)
	s_delay_alu instid0(VALU_DEP_1) | instskip(NEXT) | instid1(VALU_DEP_1)
	v_and_b32_e32 v50, 0x7f800000, v112
	v_cmp_ne_u32_e32 vcc_lo, 0x7f800000, v50
	v_mov_b32_e32 v50, 0x80
	s_and_saveexec_b32 s31, vcc_lo
	s_cbranch_execz .LBB6_10107
; %bb.10100:                            ;   in Loop: Header=BB6_9353 Depth=3
	v_mov_b32_e32 v50, 0
	s_mov_b32 s34, exec_lo
	v_cmpx_ne_u32_e32 0, v112
	s_cbranch_execz .LBB6_10106
; %bb.10101:                            ;   in Loop: Header=BB6_9353 Depth=3
	v_bfe_u32 v50, v112, 23, 8
	v_and_b32_e32 v51, 0x7fffff, v112
	s_delay_alu instid0(VALU_DEP_2) | instskip(SKIP_1) | instid1(VALU_DEP_3)
	v_sub_nc_u32_e32 v115, 0x78, v50
	v_cmp_gt_u32_e32 vcc_lo, 0x79, v50
	v_or_b32_e32 v183, 0x800000, v51
	s_delay_alu instid0(VALU_DEP_3) | instskip(SKIP_2) | instid1(VALU_DEP_3)
	v_cndmask_b32_e32 v115, 0, v115, vcc_lo
	v_cmp_eq_u32_e32 vcc_lo, 0, v50
	v_add_nc_u32_e32 v50, 0xffffff89, v50
	v_cndmask_b32_e64 v115, v115, 0x77, vcc_lo
	v_cndmask_b32_e32 v51, v183, v51, vcc_lo
	s_delay_alu instid0(VALU_DEP_3) | instskip(NEXT) | instid1(VALU_DEP_3)
	v_cndmask_b32_e64 v50, v50, 0xffffff8a, vcc_lo
	v_lshl_add_u32 v183, 0x100000, v115, -1
	s_delay_alu instid0(VALU_DEP_3) | instskip(SKIP_1) | instid1(VALU_DEP_4)
	v_lshrrev_b32_e32 v42, v115, v51
	v_lshlrev_b32_e64 v56, v115, 0x80000
	v_add_nc_u32_e32 v115, v115, v50
	s_delay_alu instid0(VALU_DEP_4) | instskip(NEXT) | instid1(VALU_DEP_4)
	v_and_b32_e32 v51, v183, v51
	v_bfe_u32 v45, v42, 20, 1
	s_delay_alu instid0(VALU_DEP_2) | instskip(NEXT) | instid1(VALU_DEP_2)
	v_cmp_eq_u32_e64 s13, v51, v56
	v_add_nc_u32_e32 v183, -1, v45
	s_delay_alu instid0(VALU_DEP_1) | instskip(SKIP_2) | instid1(VALU_DEP_2)
	v_cndmask_b32_e64 v51, 0, v183, s13
	v_lshrrev_b32_e32 v183, 23, v42
	s_mov_b32 s13, exec_lo
	v_add_nc_u32_e32 v51, v51, v42
	s_delay_alu instid0(VALU_DEP_2) | instskip(NEXT) | instid1(VALU_DEP_2)
	v_xor_b32_e32 v183, 1, v183
	v_and_b32_e32 v50, 0xfffff, v51
	s_delay_alu instid0(VALU_DEP_1) | instskip(NEXT) | instid1(VALU_DEP_3)
	v_add_nc_u32_e32 v51, v50, v42
                                        ; implicit-def: $vgpr50
	v_cmpx_ne_u32_e64 v115, v183
	s_xor_b32 s13, exec_lo, s13
; %bb.10102:                            ;   in Loop: Header=BB6_9353 Depth=3
	s_delay_alu instid0(VALU_DEP_2) | instskip(SKIP_2) | instid1(VALU_DEP_2)
	v_cmp_lt_u32_e32 vcc_lo, 0xffffff, v51
	v_sub_nc_u32_e32 v50, v115, v183
	v_cndmask_b32_e64 v115, 0, 1, vcc_lo
	v_add_co_ci_u32_e32 v50, vcc_lo, 0, v50, vcc_lo
	s_delay_alu instid0(VALU_DEP_2)
	v_lshrrev_b32_e32 v51, v115, v51
; %bb.10103:                            ;   in Loop: Header=BB6_9353 Depth=3
	s_and_not1_saveexec_b32 s13, s13
; %bb.10104:                            ;   in Loop: Header=BB6_9353 Depth=3
	s_delay_alu instid0(VALU_DEP_1)
	v_bfe_u32 v50, v51, 23, 1
; %bb.10105:                            ;   in Loop: Header=BB6_9353 Depth=3
	s_or_b32 exec_lo, exec_lo, s13
	v_lshrrev_b32_e32 v51, 20, v51
	s_delay_alu instid0(VALU_DEP_2) | instskip(SKIP_2) | instid1(VALU_DEP_2)
	v_cmp_gt_i32_e32 vcc_lo, 16, v50
	v_lshrrev_b32_e32 v112, 24, v112
	v_min_i32_e32 v115, 15, v50
	v_dual_cndmask_b32 v51, 7, v51 :: v_dual_and_b32 v112, 0x80, v112
	s_delay_alu instid0(VALU_DEP_2) | instskip(NEXT) | instid1(VALU_DEP_2)
	v_lshlrev_b32_e32 v115, 3, v115
	v_and_b32_e32 v183, 7, v51
	v_or_b32_e32 v50, v50, v51
	s_delay_alu instid0(VALU_DEP_2) | instskip(NEXT) | instid1(VALU_DEP_2)
	v_or3_b32 v51, v115, v112, v183
	v_cmp_ne_u32_e32 vcc_lo, 0, v50
	s_delay_alu instid0(VALU_DEP_2)
	v_cndmask_b32_e32 v50, 0, v51, vcc_lo
.LBB6_10106:                            ;   in Loop: Header=BB6_9353 Depth=3
	s_or_b32 exec_lo, exec_lo, s34
.LBB6_10107:                            ;   in Loop: Header=BB6_9353 Depth=3
	s_delay_alu instid0(SALU_CYCLE_1) | instskip(NEXT) | instid1(SALU_CYCLE_1)
	s_or_b32 exec_lo, exec_lo, s31
	s_and_not1_b32 vcc_lo, exec_lo, s17
	s_cbranch_vccnz .LBB6_10117
; %bb.10108:                            ;   in Loop: Header=BB6_9353 Depth=3
	v_and_b32_e32 v112, 0xff, v48
	s_mov_b32 s13, 0
	s_mov_b32 s34, exec_lo
                                        ; implicit-def: $sgpr31
	s_delay_alu instid0(VALU_DEP_1)
	v_cmpx_lt_i16_e32 0x7f, v112
	s_xor_b32 s34, exec_lo, s34
	s_cbranch_execnz .LBB6_10695
; %bb.10109:                            ;   in Loop: Header=BB6_9353 Depth=3
	s_or_saveexec_b32 s34, s34
	v_mov_b32_e32 v51, s31
	s_xor_b32 exec_lo, exec_lo, s34
	s_cbranch_execnz .LBB6_10698
.LBB6_10110:                            ;   in Loop: Header=BB6_9353 Depth=3
	s_or_b32 exec_lo, exec_lo, s34
	s_and_saveexec_b32 s31, s13
	s_cbranch_execz .LBB6_10112
.LBB6_10111:                            ;   in Loop: Header=BB6_9353 Depth=3
	v_and_b32_e32 v51, 7, v48
	v_lshrrev_b16 v183, 3, v48
	s_delay_alu instid0(VALU_DEP_2) | instskip(NEXT) | instid1(VALU_DEP_2)
	v_clz_i32_u32_e32 v112, v51
	v_and_b32_e32 v183, 15, v183
	s_delay_alu instid0(VALU_DEP_2) | instskip(NEXT) | instid1(VALU_DEP_2)
	v_min_u32_e32 v112, 32, v112
	v_cmp_eq_u32_e32 vcc_lo, 0, v183
	s_delay_alu instid0(VALU_DEP_2) | instskip(SKIP_1) | instid1(VALU_DEP_2)
	v_subrev_nc_u32_e32 v115, 28, v112
	v_sub_nc_u32_e32 v112, 29, v112
	v_lshlrev_b32_e32 v115, v115, v48
	s_delay_alu instid0(VALU_DEP_1) | instskip(SKIP_1) | instid1(VALU_DEP_2)
	v_dual_cndmask_b32 v112, v183, v112 :: v_dual_and_b32 v115, 7, v115
	v_lshlrev_b32_e32 v42, 24, v48
	v_lshl_add_u32 v112, v112, 23, 0x3b800000
	s_delay_alu instid0(VALU_DEP_3) | instskip(NEXT) | instid1(VALU_DEP_3)
	v_cndmask_b32_e32 v51, v51, v115, vcc_lo
	v_and_b32_e32 v115, 0x80000000, v42
	s_delay_alu instid0(VALU_DEP_2) | instskip(NEXT) | instid1(VALU_DEP_1)
	v_lshlrev_b32_e32 v51, 20, v51
	v_or3_b32 v51, v115, v112, v51
.LBB6_10112:                            ;   in Loop: Header=BB6_9353 Depth=3
	s_or_b32 exec_lo, exec_lo, s31
	s_waitcnt vmcnt(5) lgkmcnt(5)
	v_and_b32_e32 v115, 0xff, v39
	s_mov_b32 s13, 0
	s_mov_b32 s34, exec_lo
                                        ; implicit-def: $sgpr31
	s_delay_alu instid0(VALU_DEP_1)
	v_cmpx_lt_i16_e32 0x7f, v115
	s_xor_b32 s34, exec_lo, s34
	s_cbranch_execnz .LBB6_10699
; %bb.10113:                            ;   in Loop: Header=BB6_9353 Depth=3
	s_or_saveexec_b32 s34, s34
	v_mov_b32_e32 v112, s31
	s_xor_b32 exec_lo, exec_lo, s34
	s_cbranch_execnz .LBB6_10702
.LBB6_10114:                            ;   in Loop: Header=BB6_9353 Depth=3
	s_or_b32 exec_lo, exec_lo, s34
	s_and_saveexec_b32 s31, s13
	s_cbranch_execz .LBB6_10116
.LBB6_10115:                            ;   in Loop: Header=BB6_9353 Depth=3
	v_and_b32_e32 v112, 7, v39
	v_lshrrev_b16 v42, 3, v39
	v_lshlrev_b32_e32 v45, 24, v39
	s_delay_alu instid0(VALU_DEP_3) | instskip(NEXT) | instid1(VALU_DEP_3)
	v_clz_i32_u32_e32 v115, v112
	v_and_b32_e32 v42, 15, v42
	s_delay_alu instid0(VALU_DEP_2) | instskip(NEXT) | instid1(VALU_DEP_2)
	v_min_u32_e32 v115, 32, v115
	v_cmp_eq_u32_e32 vcc_lo, 0, v42
	s_delay_alu instid0(VALU_DEP_2) | instskip(SKIP_1) | instid1(VALU_DEP_2)
	v_subrev_nc_u32_e32 v183, 28, v115
	v_sub_nc_u32_e32 v115, 29, v115
	v_lshlrev_b32_e32 v183, v183, v39
	s_delay_alu instid0(VALU_DEP_1) | instskip(NEXT) | instid1(VALU_DEP_1)
	v_and_b32_e32 v183, 7, v183
	v_dual_cndmask_b32 v112, v112, v183 :: v_dual_and_b32 v183, 0x80000000, v45
	s_delay_alu instid0(VALU_DEP_1) | instskip(NEXT) | instid1(VALU_DEP_1)
	v_dual_cndmask_b32 v115, v42, v115 :: v_dual_lshlrev_b32 v112, 20, v112
	v_lshl_add_u32 v115, v115, 23, 0x3b800000
	s_delay_alu instid0(VALU_DEP_1)
	v_or3_b32 v112, v183, v115, v112
.LBB6_10116:                            ;   in Loop: Header=BB6_9353 Depth=3
	s_or_b32 exec_lo, exec_lo, s31
	s_delay_alu instid0(VALU_DEP_1) | instskip(SKIP_1) | instid1(VALU_DEP_1)
	v_dual_max_f32 v112, v112, v112 :: v_dual_max_f32 v51, v51, v51
	s_mov_b32 s13, 0
	v_max_f32_e32 v51, v51, v112
	s_branch .LBB6_10118
.LBB6_10117:                            ;   in Loop: Header=BB6_9353 Depth=3
	s_mov_b32 s13, -1
                                        ; implicit-def: $vgpr51
.LBB6_10118:                            ;   in Loop: Header=BB6_9353 Depth=3
	s_delay_alu instid0(SALU_CYCLE_1)
	s_and_b32 vcc_lo, exec_lo, s13
	s_cbranch_vccz .LBB6_10128
; %bb.10119:                            ;   in Loop: Header=BB6_9353 Depth=3
	v_and_b32_e32 v112, 0xff, v48
	s_mov_b32 s13, 0
	s_mov_b32 s34, exec_lo
                                        ; implicit-def: $sgpr31
	s_delay_alu instid0(VALU_DEP_1)
	v_cmpx_lt_i16_e32 0x7f, v112
	s_xor_b32 s34, exec_lo, s34
	s_cbranch_execnz .LBB6_10703
; %bb.10120:                            ;   in Loop: Header=BB6_9353 Depth=3
	s_or_saveexec_b32 s34, s34
	v_mov_b32_e32 v51, s31
	s_xor_b32 exec_lo, exec_lo, s34
	s_cbranch_execnz .LBB6_10706
.LBB6_10121:                            ;   in Loop: Header=BB6_9353 Depth=3
	s_or_b32 exec_lo, exec_lo, s34
	s_and_saveexec_b32 s31, s13
	s_cbranch_execz .LBB6_10123
.LBB6_10122:                            ;   in Loop: Header=BB6_9353 Depth=3
	v_and_b32_e32 v51, 7, v48
	v_lshrrev_b16 v183, 3, v48
	s_delay_alu instid0(VALU_DEP_2) | instskip(NEXT) | instid1(VALU_DEP_2)
	v_clz_i32_u32_e32 v112, v51
	v_and_b32_e32 v183, 15, v183
	s_delay_alu instid0(VALU_DEP_2) | instskip(NEXT) | instid1(VALU_DEP_2)
	v_min_u32_e32 v112, 32, v112
	v_cmp_eq_u32_e32 vcc_lo, 0, v183
	s_delay_alu instid0(VALU_DEP_2) | instskip(SKIP_1) | instid1(VALU_DEP_2)
	v_subrev_nc_u32_e32 v115, 28, v112
	v_sub_nc_u32_e32 v112, 29, v112
	v_lshlrev_b32_e32 v115, v115, v48
	s_delay_alu instid0(VALU_DEP_1) | instskip(SKIP_1) | instid1(VALU_DEP_2)
	v_dual_cndmask_b32 v112, v183, v112 :: v_dual_and_b32 v115, 7, v115
	v_lshlrev_b32_e32 v48, 24, v48
	v_lshl_add_u32 v112, v112, 23, 0x3b800000
	s_delay_alu instid0(VALU_DEP_2) | instskip(NEXT) | instid1(VALU_DEP_1)
	v_dual_cndmask_b32 v51, v51, v115 :: v_dual_and_b32 v48, 0x80000000, v48
	v_lshlrev_b32_e32 v51, 20, v51
	s_delay_alu instid0(VALU_DEP_1)
	v_or3_b32 v51, v48, v112, v51
.LBB6_10123:                            ;   in Loop: Header=BB6_9353 Depth=3
	s_or_b32 exec_lo, exec_lo, s31
	s_waitcnt vmcnt(5) lgkmcnt(5)
	v_and_b32_e32 v112, 0xff, v39
	s_mov_b32 s13, 0
	s_mov_b32 s34, exec_lo
                                        ; implicit-def: $sgpr31
	s_delay_alu instid0(VALU_DEP_1)
	v_cmpx_lt_i16_e32 0x7f, v112
	s_xor_b32 s34, exec_lo, s34
	s_cbranch_execnz .LBB6_10707
; %bb.10124:                            ;   in Loop: Header=BB6_9353 Depth=3
	s_or_saveexec_b32 s34, s34
	v_mov_b32_e32 v48, s31
	s_xor_b32 exec_lo, exec_lo, s34
	s_cbranch_execnz .LBB6_10710
.LBB6_10125:                            ;   in Loop: Header=BB6_9353 Depth=3
	s_or_b32 exec_lo, exec_lo, s34
	s_and_saveexec_b32 s31, s13
	s_cbranch_execz .LBB6_10127
.LBB6_10126:                            ;   in Loop: Header=BB6_9353 Depth=3
	v_and_b32_e32 v48, 7, v39
	v_lshrrev_b16 v183, 3, v39
	s_delay_alu instid0(VALU_DEP_2) | instskip(NEXT) | instid1(VALU_DEP_2)
	v_clz_i32_u32_e32 v112, v48
	v_and_b32_e32 v183, 15, v183
	s_delay_alu instid0(VALU_DEP_2) | instskip(NEXT) | instid1(VALU_DEP_2)
	v_min_u32_e32 v112, 32, v112
	v_cmp_eq_u32_e32 vcc_lo, 0, v183
	s_delay_alu instid0(VALU_DEP_2) | instskip(SKIP_1) | instid1(VALU_DEP_2)
	v_subrev_nc_u32_e32 v115, 28, v112
	v_sub_nc_u32_e32 v112, 29, v112
	v_lshlrev_b32_e32 v115, v115, v39
	s_delay_alu instid0(VALU_DEP_2) | instskip(NEXT) | instid1(VALU_DEP_2)
	v_dual_cndmask_b32 v112, v183, v112 :: v_dual_lshlrev_b32 v39, 24, v39
	v_and_b32_e32 v115, 7, v115
	s_delay_alu instid0(VALU_DEP_2) | instskip(NEXT) | instid1(VALU_DEP_3)
	v_and_b32_e32 v39, 0x80000000, v39
	v_lshl_add_u32 v112, v112, 23, 0x3b800000
	s_delay_alu instid0(VALU_DEP_3) | instskip(NEXT) | instid1(VALU_DEP_1)
	v_cndmask_b32_e32 v48, v48, v115, vcc_lo
	v_lshlrev_b32_e32 v48, 20, v48
	s_delay_alu instid0(VALU_DEP_1)
	v_or3_b32 v48, v39, v112, v48
.LBB6_10127:                            ;   in Loop: Header=BB6_9353 Depth=3
	s_or_b32 exec_lo, exec_lo, s31
	s_delay_alu instid0(VALU_DEP_1) | instskip(NEXT) | instid1(VALU_DEP_1)
	v_dual_max_f32 v39, v48, v48 :: v_dual_max_f32 v48, v51, v51
	v_min_f32_e32 v51, v48, v39
.LBB6_10128:                            ;   in Loop: Header=BB6_9353 Depth=3
	s_waitcnt vmcnt(5) lgkmcnt(5)
	s_delay_alu instid0(VALU_DEP_1) | instskip(NEXT) | instid1(VALU_DEP_1)
	v_and_b32_e32 v39, 0x7f800000, v51
	v_cmp_ne_u32_e32 vcc_lo, 0x7f800000, v39
	v_mov_b32_e32 v39, 0x80
	s_and_saveexec_b32 s31, vcc_lo
	s_cbranch_execz .LBB6_10136
; %bb.10129:                            ;   in Loop: Header=BB6_9353 Depth=3
	v_mov_b32_e32 v39, 0
	s_mov_b32 s34, exec_lo
	v_cmpx_ne_u32_e32 0, v51
	s_cbranch_execz .LBB6_10135
; %bb.10130:                            ;   in Loop: Header=BB6_9353 Depth=3
	v_bfe_u32 v39, v51, 23, 8
	v_and_b32_e32 v48, 0x7fffff, v51
	s_delay_alu instid0(VALU_DEP_2) | instskip(SKIP_1) | instid1(VALU_DEP_3)
	v_sub_nc_u32_e32 v112, 0x78, v39
	v_cmp_gt_u32_e32 vcc_lo, 0x79, v39
	v_or_b32_e32 v115, 0x800000, v48
	s_delay_alu instid0(VALU_DEP_3) | instskip(SKIP_2) | instid1(VALU_DEP_3)
	v_cndmask_b32_e32 v112, 0, v112, vcc_lo
	v_cmp_eq_u32_e32 vcc_lo, 0, v39
	v_add_nc_u32_e32 v39, 0xffffff89, v39
	v_cndmask_b32_e64 v112, v112, 0x77, vcc_lo
	v_cndmask_b32_e32 v48, v115, v48, vcc_lo
	s_delay_alu instid0(VALU_DEP_3) | instskip(NEXT) | instid1(VALU_DEP_3)
	v_cndmask_b32_e64 v39, v39, 0xffffff8a, vcc_lo
	v_lshl_add_u32 v115, 0x100000, v112, -1
	s_delay_alu instid0(VALU_DEP_3) | instskip(SKIP_1) | instid1(VALU_DEP_4)
	v_lshrrev_b32_e32 v183, v112, v48
	v_lshlrev_b32_e64 v45, v112, 0x80000
	v_add_nc_u32_e32 v112, v112, v39
	s_delay_alu instid0(VALU_DEP_4) | instskip(NEXT) | instid1(VALU_DEP_4)
	v_and_b32_e32 v48, v115, v48
	v_bfe_u32 v42, v183, 20, 1
	s_delay_alu instid0(VALU_DEP_2) | instskip(NEXT) | instid1(VALU_DEP_2)
	v_cmp_eq_u32_e64 s13, v48, v45
	v_add_nc_u32_e32 v115, -1, v42
	s_delay_alu instid0(VALU_DEP_1) | instskip(SKIP_2) | instid1(VALU_DEP_2)
	v_cndmask_b32_e64 v48, 0, v115, s13
	v_lshrrev_b32_e32 v115, 23, v183
	s_mov_b32 s13, exec_lo
	v_add_nc_u32_e32 v48, v48, v183
	s_delay_alu instid0(VALU_DEP_2) | instskip(NEXT) | instid1(VALU_DEP_2)
	v_xor_b32_e32 v115, 1, v115
	v_and_b32_e32 v39, 0xfffff, v48
	s_delay_alu instid0(VALU_DEP_1) | instskip(NEXT) | instid1(VALU_DEP_3)
	v_add_nc_u32_e32 v48, v39, v183
                                        ; implicit-def: $vgpr39
	v_cmpx_ne_u32_e64 v112, v115
	s_xor_b32 s13, exec_lo, s13
; %bb.10131:                            ;   in Loop: Header=BB6_9353 Depth=3
	s_delay_alu instid0(VALU_DEP_2) | instskip(SKIP_2) | instid1(VALU_DEP_2)
	v_cmp_lt_u32_e32 vcc_lo, 0xffffff, v48
	v_sub_nc_u32_e32 v39, v112, v115
	v_cndmask_b32_e64 v112, 0, 1, vcc_lo
	v_add_co_ci_u32_e32 v39, vcc_lo, 0, v39, vcc_lo
	s_delay_alu instid0(VALU_DEP_2)
	v_lshrrev_b32_e32 v48, v112, v48
; %bb.10132:                            ;   in Loop: Header=BB6_9353 Depth=3
	s_and_not1_saveexec_b32 s13, s13
; %bb.10133:                            ;   in Loop: Header=BB6_9353 Depth=3
	s_delay_alu instid0(VALU_DEP_1)
	v_bfe_u32 v39, v48, 23, 1
; %bb.10134:                            ;   in Loop: Header=BB6_9353 Depth=3
	s_or_b32 exec_lo, exec_lo, s13
	v_lshrrev_b32_e32 v48, 20, v48
	s_delay_alu instid0(VALU_DEP_2) | instskip(SKIP_2) | instid1(VALU_DEP_2)
	v_cmp_gt_i32_e32 vcc_lo, 16, v39
	v_lshrrev_b32_e32 v51, 24, v51
	v_min_i32_e32 v112, 15, v39
	v_dual_cndmask_b32 v48, 7, v48 :: v_dual_and_b32 v51, 0x80, v51
	s_delay_alu instid0(VALU_DEP_2) | instskip(NEXT) | instid1(VALU_DEP_2)
	v_lshlrev_b32_e32 v112, 3, v112
	v_and_b32_e32 v115, 7, v48
	v_or_b32_e32 v39, v39, v48
	s_delay_alu instid0(VALU_DEP_2) | instskip(NEXT) | instid1(VALU_DEP_2)
	v_or3_b32 v48, v112, v51, v115
	v_cmp_ne_u32_e32 vcc_lo, 0, v39
	s_delay_alu instid0(VALU_DEP_2)
	v_cndmask_b32_e32 v39, 0, v48, vcc_lo
.LBB6_10135:                            ;   in Loop: Header=BB6_9353 Depth=3
	s_or_b32 exec_lo, exec_lo, s34
.LBB6_10136:                            ;   in Loop: Header=BB6_9353 Depth=3
	s_delay_alu instid0(SALU_CYCLE_1) | instskip(NEXT) | instid1(SALU_CYCLE_1)
	s_or_b32 exec_lo, exec_lo, s31
	s_and_not1_b32 vcc_lo, exec_lo, s17
	s_cbranch_vccnz .LBB6_10146
; %bb.10137:                            ;   in Loop: Header=BB6_9353 Depth=3
	v_and_b32_e32 v51, 0xff, v37
	s_mov_b32 s13, 0
	s_mov_b32 s34, exec_lo
                                        ; implicit-def: $sgpr31
	s_delay_alu instid0(VALU_DEP_1)
	v_cmpx_lt_i16_e32 0x7f, v51
	s_xor_b32 s34, exec_lo, s34
	s_cbranch_execnz .LBB6_10711
; %bb.10138:                            ;   in Loop: Header=BB6_9353 Depth=3
	s_or_saveexec_b32 s34, s34
	v_mov_b32_e32 v48, s31
	s_xor_b32 exec_lo, exec_lo, s34
	s_cbranch_execnz .LBB6_10714
.LBB6_10139:                            ;   in Loop: Header=BB6_9353 Depth=3
	s_or_b32 exec_lo, exec_lo, s34
	s_and_saveexec_b32 s31, s13
	s_cbranch_execz .LBB6_10141
.LBB6_10140:                            ;   in Loop: Header=BB6_9353 Depth=3
	v_lshrrev_b16 v115, 3, v37
	v_lshlrev_b32_e32 v183, 24, v37
	s_delay_alu instid0(VALU_DEP_2) | instskip(NEXT) | instid1(VALU_DEP_1)
	v_and_b32_e32 v115, 15, v115
	v_cmp_eq_u32_e32 vcc_lo, 0, v115
	v_and_b32_e32 v48, 7, v37
	s_delay_alu instid0(VALU_DEP_1) | instskip(NEXT) | instid1(VALU_DEP_1)
	v_clz_i32_u32_e32 v51, v48
	v_min_u32_e32 v51, 32, v51
	s_delay_alu instid0(VALU_DEP_1) | instskip(SKIP_1) | instid1(VALU_DEP_1)
	v_subrev_nc_u32_e32 v112, 28, v51
	v_sub_nc_u32_e32 v51, 29, v51
	v_dual_cndmask_b32 v51, v115, v51 :: v_dual_lshlrev_b32 v112, v112, v37
	s_delay_alu instid0(VALU_DEP_1) | instskip(NEXT) | instid1(VALU_DEP_2)
	v_and_b32_e32 v112, 7, v112
	v_lshl_add_u32 v51, v51, 23, 0x3b800000
	s_delay_alu instid0(VALU_DEP_2) | instskip(SKIP_1) | instid1(VALU_DEP_2)
	v_cndmask_b32_e32 v48, v48, v112, vcc_lo
	v_and_b32_e32 v112, 0x80000000, v183
	v_lshlrev_b32_e32 v48, 20, v48
	s_delay_alu instid0(VALU_DEP_1)
	v_or3_b32 v48, v112, v51, v48
.LBB6_10141:                            ;   in Loop: Header=BB6_9353 Depth=3
	s_or_b32 exec_lo, exec_lo, s31
	s_waitcnt vmcnt(4) lgkmcnt(4)
	v_and_b32_e32 v112, 0xff, v36
	s_mov_b32 s13, 0
	s_mov_b32 s34, exec_lo
                                        ; implicit-def: $sgpr31
	s_delay_alu instid0(VALU_DEP_1)
	v_cmpx_lt_i16_e32 0x7f, v112
	s_xor_b32 s34, exec_lo, s34
	s_cbranch_execnz .LBB6_10715
; %bb.10142:                            ;   in Loop: Header=BB6_9353 Depth=3
	s_or_saveexec_b32 s34, s34
	v_mov_b32_e32 v51, s31
	s_xor_b32 exec_lo, exec_lo, s34
	s_cbranch_execnz .LBB6_10718
.LBB6_10143:                            ;   in Loop: Header=BB6_9353 Depth=3
	s_or_b32 exec_lo, exec_lo, s34
	s_and_saveexec_b32 s31, s13
	s_cbranch_execz .LBB6_10145
.LBB6_10144:                            ;   in Loop: Header=BB6_9353 Depth=3
	v_and_b32_e32 v51, 7, v36
	v_lshrrev_b16 v183, 3, v36
	s_delay_alu instid0(VALU_DEP_2) | instskip(NEXT) | instid1(VALU_DEP_2)
	v_clz_i32_u32_e32 v112, v51
	v_and_b32_e32 v183, 15, v183
	s_delay_alu instid0(VALU_DEP_2) | instskip(NEXT) | instid1(VALU_DEP_2)
	v_min_u32_e32 v112, 32, v112
	v_cmp_eq_u32_e32 vcc_lo, 0, v183
	s_delay_alu instid0(VALU_DEP_2) | instskip(SKIP_1) | instid1(VALU_DEP_2)
	v_subrev_nc_u32_e32 v115, 28, v112
	v_sub_nc_u32_e32 v112, 29, v112
	v_lshlrev_b32_e32 v115, v115, v36
	s_delay_alu instid0(VALU_DEP_1) | instskip(SKIP_1) | instid1(VALU_DEP_2)
	v_dual_cndmask_b32 v112, v183, v112 :: v_dual_and_b32 v115, 7, v115
	v_lshlrev_b32_e32 v42, 24, v36
	v_lshl_add_u32 v112, v112, 23, 0x3b800000
	s_delay_alu instid0(VALU_DEP_3) | instskip(NEXT) | instid1(VALU_DEP_3)
	v_cndmask_b32_e32 v51, v51, v115, vcc_lo
	v_and_b32_e32 v115, 0x80000000, v42
	s_delay_alu instid0(VALU_DEP_2) | instskip(NEXT) | instid1(VALU_DEP_1)
	v_lshlrev_b32_e32 v51, 20, v51
	v_or3_b32 v51, v115, v112, v51
.LBB6_10145:                            ;   in Loop: Header=BB6_9353 Depth=3
	s_or_b32 exec_lo, exec_lo, s31
	s_delay_alu instid0(VALU_DEP_1) | instskip(SKIP_1) | instid1(VALU_DEP_1)
	v_dual_max_f32 v51, v51, v51 :: v_dual_max_f32 v48, v48, v48
	s_mov_b32 s13, 0
	v_max_f32_e32 v48, v48, v51
	s_branch .LBB6_10147
.LBB6_10146:                            ;   in Loop: Header=BB6_9353 Depth=3
	s_mov_b32 s13, -1
                                        ; implicit-def: $vgpr48
.LBB6_10147:                            ;   in Loop: Header=BB6_9353 Depth=3
	s_delay_alu instid0(SALU_CYCLE_1)
	s_and_b32 vcc_lo, exec_lo, s13
	s_cbranch_vccz .LBB6_10157
; %bb.10148:                            ;   in Loop: Header=BB6_9353 Depth=3
	v_and_b32_e32 v51, 0xff, v37
	s_mov_b32 s13, 0
	s_mov_b32 s34, exec_lo
                                        ; implicit-def: $sgpr31
	s_delay_alu instid0(VALU_DEP_1)
	v_cmpx_lt_i16_e32 0x7f, v51
	s_xor_b32 s34, exec_lo, s34
	s_cbranch_execnz .LBB6_10719
; %bb.10149:                            ;   in Loop: Header=BB6_9353 Depth=3
	s_or_saveexec_b32 s34, s34
	v_mov_b32_e32 v48, s31
	s_xor_b32 exec_lo, exec_lo, s34
	s_cbranch_execnz .LBB6_10722
.LBB6_10150:                            ;   in Loop: Header=BB6_9353 Depth=3
	s_or_b32 exec_lo, exec_lo, s34
	s_and_saveexec_b32 s31, s13
	s_cbranch_execz .LBB6_10152
.LBB6_10151:                            ;   in Loop: Header=BB6_9353 Depth=3
	v_lshrrev_b16 v115, 3, v37
	s_delay_alu instid0(VALU_DEP_1) | instskip(NEXT) | instid1(VALU_DEP_1)
	v_and_b32_e32 v115, 15, v115
	v_cmp_eq_u32_e32 vcc_lo, 0, v115
	v_and_b32_e32 v48, 7, v37
	s_delay_alu instid0(VALU_DEP_1) | instskip(NEXT) | instid1(VALU_DEP_1)
	v_clz_i32_u32_e32 v51, v48
	v_min_u32_e32 v51, 32, v51
	s_delay_alu instid0(VALU_DEP_1) | instskip(SKIP_1) | instid1(VALU_DEP_1)
	v_subrev_nc_u32_e32 v112, 28, v51
	v_sub_nc_u32_e32 v51, 29, v51
	v_dual_cndmask_b32 v51, v115, v51 :: v_dual_lshlrev_b32 v112, v112, v37
	v_lshlrev_b32_e32 v37, 24, v37
	s_delay_alu instid0(VALU_DEP_2) | instskip(NEXT) | instid1(VALU_DEP_3)
	v_and_b32_e32 v112, 7, v112
	v_lshl_add_u32 v51, v51, 23, 0x3b800000
	s_delay_alu instid0(VALU_DEP_2) | instskip(NEXT) | instid1(VALU_DEP_1)
	v_dual_cndmask_b32 v48, v48, v112 :: v_dual_and_b32 v37, 0x80000000, v37
	v_lshlrev_b32_e32 v48, 20, v48
	s_delay_alu instid0(VALU_DEP_1)
	v_or3_b32 v48, v37, v51, v48
.LBB6_10152:                            ;   in Loop: Header=BB6_9353 Depth=3
	s_or_b32 exec_lo, exec_lo, s31
	s_waitcnt vmcnt(4) lgkmcnt(4)
	v_and_b32_e32 v51, 0xff, v36
	s_mov_b32 s13, 0
	s_mov_b32 s34, exec_lo
                                        ; implicit-def: $sgpr31
	s_delay_alu instid0(VALU_DEP_1)
	v_cmpx_lt_i16_e32 0x7f, v51
	s_xor_b32 s34, exec_lo, s34
	s_cbranch_execnz .LBB6_10723
; %bb.10153:                            ;   in Loop: Header=BB6_9353 Depth=3
	s_or_saveexec_b32 s34, s34
	v_mov_b32_e32 v37, s31
	s_xor_b32 exec_lo, exec_lo, s34
	s_cbranch_execnz .LBB6_10726
.LBB6_10154:                            ;   in Loop: Header=BB6_9353 Depth=3
	s_or_b32 exec_lo, exec_lo, s34
	s_and_saveexec_b32 s31, s13
	s_cbranch_execz .LBB6_10156
.LBB6_10155:                            ;   in Loop: Header=BB6_9353 Depth=3
	v_and_b32_e32 v37, 7, v36
	v_lshrrev_b16 v115, 3, v36
	s_delay_alu instid0(VALU_DEP_2) | instskip(NEXT) | instid1(VALU_DEP_2)
	v_clz_i32_u32_e32 v51, v37
	v_and_b32_e32 v115, 15, v115
	s_delay_alu instid0(VALU_DEP_2) | instskip(NEXT) | instid1(VALU_DEP_2)
	v_min_u32_e32 v51, 32, v51
	v_cmp_eq_u32_e32 vcc_lo, 0, v115
	s_delay_alu instid0(VALU_DEP_2) | instskip(SKIP_1) | instid1(VALU_DEP_1)
	v_subrev_nc_u32_e32 v112, 28, v51
	v_sub_nc_u32_e32 v51, 29, v51
	v_dual_cndmask_b32 v51, v115, v51 :: v_dual_lshlrev_b32 v112, v112, v36
	v_lshlrev_b32_e32 v36, 24, v36
	s_delay_alu instid0(VALU_DEP_2) | instskip(NEXT) | instid1(VALU_DEP_3)
	v_and_b32_e32 v112, 7, v112
	v_lshl_add_u32 v51, v51, 23, 0x3b800000
	s_delay_alu instid0(VALU_DEP_3) | instskip(NEXT) | instid1(VALU_DEP_3)
	v_and_b32_e32 v36, 0x80000000, v36
	v_cndmask_b32_e32 v37, v37, v112, vcc_lo
	s_delay_alu instid0(VALU_DEP_1) | instskip(NEXT) | instid1(VALU_DEP_1)
	v_lshlrev_b32_e32 v37, 20, v37
	v_or3_b32 v37, v36, v51, v37
.LBB6_10156:                            ;   in Loop: Header=BB6_9353 Depth=3
	s_or_b32 exec_lo, exec_lo, s31
	s_delay_alu instid0(VALU_DEP_1) | instskip(NEXT) | instid1(VALU_DEP_1)
	v_dual_max_f32 v36, v37, v37 :: v_dual_max_f32 v37, v48, v48
	v_min_f32_e32 v48, v37, v36
.LBB6_10157:                            ;   in Loop: Header=BB6_9353 Depth=3
	s_waitcnt vmcnt(4) lgkmcnt(4)
	s_delay_alu instid0(VALU_DEP_1) | instskip(NEXT) | instid1(VALU_DEP_1)
	v_and_b32_e32 v36, 0x7f800000, v48
	v_cmp_ne_u32_e32 vcc_lo, 0x7f800000, v36
	v_mov_b32_e32 v36, 0x80
	s_and_saveexec_b32 s31, vcc_lo
	s_cbranch_execz .LBB6_10165
; %bb.10158:                            ;   in Loop: Header=BB6_9353 Depth=3
	v_mov_b32_e32 v36, 0
	s_mov_b32 s34, exec_lo
	v_cmpx_ne_u32_e32 0, v48
	s_cbranch_execz .LBB6_10164
; %bb.10159:                            ;   in Loop: Header=BB6_9353 Depth=3
	v_bfe_u32 v36, v48, 23, 8
	v_and_b32_e32 v37, 0x7fffff, v48
	s_delay_alu instid0(VALU_DEP_2) | instskip(SKIP_1) | instid1(VALU_DEP_3)
	v_sub_nc_u32_e32 v51, 0x78, v36
	v_cmp_gt_u32_e32 vcc_lo, 0x79, v36
	v_or_b32_e32 v112, 0x800000, v37
	s_delay_alu instid0(VALU_DEP_3) | instskip(SKIP_2) | instid1(VALU_DEP_3)
	v_cndmask_b32_e32 v51, 0, v51, vcc_lo
	v_cmp_eq_u32_e32 vcc_lo, 0, v36
	v_add_nc_u32_e32 v36, 0xffffff89, v36
	v_cndmask_b32_e64 v51, v51, 0x77, vcc_lo
	v_cndmask_b32_e32 v37, v112, v37, vcc_lo
	s_delay_alu instid0(VALU_DEP_3) | instskip(NEXT) | instid1(VALU_DEP_3)
	v_cndmask_b32_e64 v36, v36, 0xffffff8a, vcc_lo
	v_lshl_add_u32 v112, 0x100000, v51, -1
	s_delay_alu instid0(VALU_DEP_3) | instskip(SKIP_1) | instid1(VALU_DEP_4)
	v_lshrrev_b32_e32 v115, v51, v37
	v_lshlrev_b32_e64 v42, v51, 0x80000
	v_add_nc_u32_e32 v51, v51, v36
	s_delay_alu instid0(VALU_DEP_4) | instskip(NEXT) | instid1(VALU_DEP_4)
	v_and_b32_e32 v37, v112, v37
	v_bfe_u32 v183, v115, 20, 1
	s_delay_alu instid0(VALU_DEP_2) | instskip(NEXT) | instid1(VALU_DEP_2)
	v_cmp_eq_u32_e64 s13, v37, v42
	v_add_nc_u32_e32 v112, -1, v183
	s_delay_alu instid0(VALU_DEP_1) | instskip(SKIP_2) | instid1(VALU_DEP_2)
	v_cndmask_b32_e64 v37, 0, v112, s13
	v_lshrrev_b32_e32 v112, 23, v115
	s_mov_b32 s13, exec_lo
	v_add_nc_u32_e32 v37, v37, v115
	s_delay_alu instid0(VALU_DEP_2) | instskip(NEXT) | instid1(VALU_DEP_2)
	v_xor_b32_e32 v112, 1, v112
	v_and_b32_e32 v36, 0xfffff, v37
	s_delay_alu instid0(VALU_DEP_1) | instskip(NEXT) | instid1(VALU_DEP_3)
	v_add_nc_u32_e32 v37, v36, v115
                                        ; implicit-def: $vgpr36
	v_cmpx_ne_u32_e64 v51, v112
	s_xor_b32 s13, exec_lo, s13
; %bb.10160:                            ;   in Loop: Header=BB6_9353 Depth=3
	s_delay_alu instid0(VALU_DEP_2) | instskip(SKIP_2) | instid1(VALU_DEP_2)
	v_cmp_lt_u32_e32 vcc_lo, 0xffffff, v37
	v_sub_nc_u32_e32 v36, v51, v112
	v_cndmask_b32_e64 v51, 0, 1, vcc_lo
	v_add_co_ci_u32_e32 v36, vcc_lo, 0, v36, vcc_lo
	s_delay_alu instid0(VALU_DEP_2)
	v_lshrrev_b32_e32 v37, v51, v37
; %bb.10161:                            ;   in Loop: Header=BB6_9353 Depth=3
	s_and_not1_saveexec_b32 s13, s13
; %bb.10162:                            ;   in Loop: Header=BB6_9353 Depth=3
	s_delay_alu instid0(VALU_DEP_1)
	v_bfe_u32 v36, v37, 23, 1
; %bb.10163:                            ;   in Loop: Header=BB6_9353 Depth=3
	s_or_b32 exec_lo, exec_lo, s13
	v_lshrrev_b32_e32 v37, 20, v37
	s_delay_alu instid0(VALU_DEP_2) | instskip(SKIP_2) | instid1(VALU_DEP_2)
	v_cmp_gt_i32_e32 vcc_lo, 16, v36
	v_lshrrev_b32_e32 v48, 24, v48
	v_min_i32_e32 v51, 15, v36
	v_dual_cndmask_b32 v37, 7, v37 :: v_dual_and_b32 v48, 0x80, v48
	s_delay_alu instid0(VALU_DEP_1) | instskip(SKIP_1) | instid1(VALU_DEP_2)
	v_or_b32_e32 v36, v36, v37
	v_and_b32_e32 v112, 7, v37
	v_cmp_ne_u32_e32 vcc_lo, 0, v36
	v_lshlrev_b32_e32 v51, 3, v51
	s_delay_alu instid0(VALU_DEP_1) | instskip(NEXT) | instid1(VALU_DEP_1)
	v_or3_b32 v37, v51, v48, v112
	v_cndmask_b32_e32 v36, 0, v37, vcc_lo
.LBB6_10164:                            ;   in Loop: Header=BB6_9353 Depth=3
	s_or_b32 exec_lo, exec_lo, s34
.LBB6_10165:                            ;   in Loop: Header=BB6_9353 Depth=3
	s_delay_alu instid0(SALU_CYCLE_1) | instskip(NEXT) | instid1(SALU_CYCLE_1)
	s_or_b32 exec_lo, exec_lo, s31
	s_and_not1_b32 vcc_lo, exec_lo, s17
	s_cbranch_vccnz .LBB6_10175
; %bb.10166:                            ;   in Loop: Header=BB6_9353 Depth=3
	v_and_b32_e32 v48, 0xff, v34
	s_mov_b32 s13, 0
	s_mov_b32 s34, exec_lo
                                        ; implicit-def: $sgpr31
	s_delay_alu instid0(VALU_DEP_1)
	v_cmpx_lt_i16_e32 0x7f, v48
	s_xor_b32 s34, exec_lo, s34
	s_cbranch_execnz .LBB6_10727
; %bb.10167:                            ;   in Loop: Header=BB6_9353 Depth=3
	s_or_saveexec_b32 s34, s34
	v_mov_b32_e32 v37, s31
	s_xor_b32 exec_lo, exec_lo, s34
	s_cbranch_execnz .LBB6_10730
.LBB6_10168:                            ;   in Loop: Header=BB6_9353 Depth=3
	s_or_b32 exec_lo, exec_lo, s34
	s_and_saveexec_b32 s31, s13
	s_cbranch_execz .LBB6_10170
.LBB6_10169:                            ;   in Loop: Header=BB6_9353 Depth=3
	v_lshrrev_b16 v112, 3, v34
	v_lshlrev_b32_e32 v115, 24, v34
	s_delay_alu instid0(VALU_DEP_2) | instskip(NEXT) | instid1(VALU_DEP_1)
	v_and_b32_e32 v112, 15, v112
	v_cmp_eq_u32_e32 vcc_lo, 0, v112
	v_and_b32_e32 v37, 7, v34
	s_delay_alu instid0(VALU_DEP_1) | instskip(NEXT) | instid1(VALU_DEP_1)
	v_clz_i32_u32_e32 v48, v37
	v_min_u32_e32 v48, 32, v48
	s_delay_alu instid0(VALU_DEP_1) | instskip(SKIP_1) | instid1(VALU_DEP_1)
	v_subrev_nc_u32_e32 v51, 28, v48
	v_sub_nc_u32_e32 v48, 29, v48
	v_dual_cndmask_b32 v48, v112, v48 :: v_dual_lshlrev_b32 v51, v51, v34
	s_delay_alu instid0(VALU_DEP_1) | instskip(NEXT) | instid1(VALU_DEP_2)
	v_and_b32_e32 v51, 7, v51
	v_lshl_add_u32 v48, v48, 23, 0x3b800000
	s_delay_alu instid0(VALU_DEP_2) | instskip(SKIP_1) | instid1(VALU_DEP_2)
	v_cndmask_b32_e32 v37, v37, v51, vcc_lo
	v_and_b32_e32 v51, 0x80000000, v115
	v_lshlrev_b32_e32 v37, 20, v37
	s_delay_alu instid0(VALU_DEP_1)
	v_or3_b32 v37, v51, v48, v37
.LBB6_10170:                            ;   in Loop: Header=BB6_9353 Depth=3
	s_or_b32 exec_lo, exec_lo, s31
	s_waitcnt vmcnt(3) lgkmcnt(3)
	v_and_b32_e32 v51, 0xff, v33
	s_mov_b32 s13, 0
	s_mov_b32 s34, exec_lo
                                        ; implicit-def: $sgpr31
	s_delay_alu instid0(VALU_DEP_1)
	v_cmpx_lt_i16_e32 0x7f, v51
	s_xor_b32 s34, exec_lo, s34
	s_cbranch_execnz .LBB6_10731
; %bb.10171:                            ;   in Loop: Header=BB6_9353 Depth=3
	s_or_saveexec_b32 s34, s34
	v_mov_b32_e32 v48, s31
	s_xor_b32 exec_lo, exec_lo, s34
	s_cbranch_execnz .LBB6_10734
.LBB6_10172:                            ;   in Loop: Header=BB6_9353 Depth=3
	s_or_b32 exec_lo, exec_lo, s34
	s_and_saveexec_b32 s31, s13
	s_cbranch_execz .LBB6_10174
.LBB6_10173:                            ;   in Loop: Header=BB6_9353 Depth=3
	v_lshrrev_b16 v115, 3, v33
	v_lshlrev_b32_e32 v183, 24, v33
	s_delay_alu instid0(VALU_DEP_2) | instskip(NEXT) | instid1(VALU_DEP_1)
	v_and_b32_e32 v115, 15, v115
	v_cmp_eq_u32_e32 vcc_lo, 0, v115
	v_and_b32_e32 v48, 7, v33
	s_delay_alu instid0(VALU_DEP_1) | instskip(NEXT) | instid1(VALU_DEP_1)
	v_clz_i32_u32_e32 v51, v48
	v_min_u32_e32 v51, 32, v51
	s_delay_alu instid0(VALU_DEP_1) | instskip(SKIP_1) | instid1(VALU_DEP_1)
	v_subrev_nc_u32_e32 v112, 28, v51
	v_sub_nc_u32_e32 v51, 29, v51
	v_dual_cndmask_b32 v51, v115, v51 :: v_dual_lshlrev_b32 v112, v112, v33
	s_delay_alu instid0(VALU_DEP_1) | instskip(NEXT) | instid1(VALU_DEP_2)
	v_and_b32_e32 v112, 7, v112
	v_lshl_add_u32 v51, v51, 23, 0x3b800000
	s_delay_alu instid0(VALU_DEP_2) | instskip(SKIP_1) | instid1(VALU_DEP_2)
	v_cndmask_b32_e32 v48, v48, v112, vcc_lo
	v_and_b32_e32 v112, 0x80000000, v183
	v_lshlrev_b32_e32 v48, 20, v48
	s_delay_alu instid0(VALU_DEP_1)
	v_or3_b32 v48, v112, v51, v48
.LBB6_10174:                            ;   in Loop: Header=BB6_9353 Depth=3
	s_or_b32 exec_lo, exec_lo, s31
	s_delay_alu instid0(VALU_DEP_1) | instskip(SKIP_1) | instid1(VALU_DEP_1)
	v_dual_max_f32 v48, v48, v48 :: v_dual_max_f32 v37, v37, v37
	s_mov_b32 s13, 0
	v_max_f32_e32 v37, v37, v48
	s_branch .LBB6_10176
.LBB6_10175:                            ;   in Loop: Header=BB6_9353 Depth=3
	s_mov_b32 s13, -1
                                        ; implicit-def: $vgpr37
.LBB6_10176:                            ;   in Loop: Header=BB6_9353 Depth=3
	s_delay_alu instid0(SALU_CYCLE_1)
	s_and_b32 vcc_lo, exec_lo, s13
	s_cbranch_vccz .LBB6_10186
; %bb.10177:                            ;   in Loop: Header=BB6_9353 Depth=3
	v_and_b32_e32 v48, 0xff, v34
	s_mov_b32 s13, 0
	s_mov_b32 s34, exec_lo
                                        ; implicit-def: $sgpr31
	s_delay_alu instid0(VALU_DEP_1)
	v_cmpx_lt_i16_e32 0x7f, v48
	s_xor_b32 s34, exec_lo, s34
	s_cbranch_execnz .LBB6_10735
; %bb.10178:                            ;   in Loop: Header=BB6_9353 Depth=3
	s_or_saveexec_b32 s34, s34
	v_mov_b32_e32 v37, s31
	s_xor_b32 exec_lo, exec_lo, s34
	s_cbranch_execnz .LBB6_10738
.LBB6_10179:                            ;   in Loop: Header=BB6_9353 Depth=3
	s_or_b32 exec_lo, exec_lo, s34
	s_and_saveexec_b32 s31, s13
	s_cbranch_execz .LBB6_10181
.LBB6_10180:                            ;   in Loop: Header=BB6_9353 Depth=3
	v_lshrrev_b16 v112, 3, v34
	s_delay_alu instid0(VALU_DEP_1) | instskip(NEXT) | instid1(VALU_DEP_1)
	v_and_b32_e32 v112, 15, v112
	v_cmp_eq_u32_e32 vcc_lo, 0, v112
	v_and_b32_e32 v37, 7, v34
	s_delay_alu instid0(VALU_DEP_1) | instskip(NEXT) | instid1(VALU_DEP_1)
	v_clz_i32_u32_e32 v48, v37
	v_min_u32_e32 v48, 32, v48
	s_delay_alu instid0(VALU_DEP_1) | instskip(SKIP_1) | instid1(VALU_DEP_1)
	v_subrev_nc_u32_e32 v51, 28, v48
	v_sub_nc_u32_e32 v48, 29, v48
	v_dual_cndmask_b32 v48, v112, v48 :: v_dual_lshlrev_b32 v51, v51, v34
	v_lshlrev_b32_e32 v34, 24, v34
	s_delay_alu instid0(VALU_DEP_2) | instskip(NEXT) | instid1(VALU_DEP_3)
	v_and_b32_e32 v51, 7, v51
	v_lshl_add_u32 v48, v48, 23, 0x3b800000
	s_delay_alu instid0(VALU_DEP_2) | instskip(NEXT) | instid1(VALU_DEP_1)
	v_dual_cndmask_b32 v37, v37, v51 :: v_dual_and_b32 v34, 0x80000000, v34
	v_lshlrev_b32_e32 v37, 20, v37
	s_delay_alu instid0(VALU_DEP_1)
	v_or3_b32 v37, v34, v48, v37
.LBB6_10181:                            ;   in Loop: Header=BB6_9353 Depth=3
	s_or_b32 exec_lo, exec_lo, s31
	s_waitcnt vmcnt(3) lgkmcnt(3)
	v_and_b32_e32 v48, 0xff, v33
	s_mov_b32 s13, 0
	s_mov_b32 s34, exec_lo
                                        ; implicit-def: $sgpr31
	s_delay_alu instid0(VALU_DEP_1)
	v_cmpx_lt_i16_e32 0x7f, v48
	s_xor_b32 s34, exec_lo, s34
	s_cbranch_execnz .LBB6_10739
; %bb.10182:                            ;   in Loop: Header=BB6_9353 Depth=3
	s_or_saveexec_b32 s34, s34
	v_mov_b32_e32 v34, s31
	s_xor_b32 exec_lo, exec_lo, s34
	s_cbranch_execnz .LBB6_10742
.LBB6_10183:                            ;   in Loop: Header=BB6_9353 Depth=3
	s_or_b32 exec_lo, exec_lo, s34
	s_and_saveexec_b32 s31, s13
	s_cbranch_execz .LBB6_10185
.LBB6_10184:                            ;   in Loop: Header=BB6_9353 Depth=3
	v_and_b32_e32 v34, 7, v33
	v_lshrrev_b16 v112, 3, v33
	s_delay_alu instid0(VALU_DEP_2) | instskip(NEXT) | instid1(VALU_DEP_2)
	v_clz_i32_u32_e32 v48, v34
	v_and_b32_e32 v112, 15, v112
	s_delay_alu instid0(VALU_DEP_2) | instskip(NEXT) | instid1(VALU_DEP_2)
	v_min_u32_e32 v48, 32, v48
	v_cmp_eq_u32_e32 vcc_lo, 0, v112
	s_delay_alu instid0(VALU_DEP_2) | instskip(SKIP_1) | instid1(VALU_DEP_1)
	v_subrev_nc_u32_e32 v51, 28, v48
	v_sub_nc_u32_e32 v48, 29, v48
	v_dual_cndmask_b32 v48, v112, v48 :: v_dual_lshlrev_b32 v51, v51, v33
	s_delay_alu instid0(VALU_DEP_1) | instskip(SKIP_1) | instid1(VALU_DEP_3)
	v_and_b32_e32 v51, 7, v51
	v_lshlrev_b32_e32 v33, 24, v33
	v_lshl_add_u32 v48, v48, 23, 0x3b800000
	s_delay_alu instid0(VALU_DEP_2) | instskip(NEXT) | instid1(VALU_DEP_1)
	v_dual_cndmask_b32 v34, v34, v51 :: v_dual_and_b32 v33, 0x80000000, v33
	v_lshlrev_b32_e32 v34, 20, v34
	s_delay_alu instid0(VALU_DEP_1)
	v_or3_b32 v34, v33, v48, v34
.LBB6_10185:                            ;   in Loop: Header=BB6_9353 Depth=3
	s_or_b32 exec_lo, exec_lo, s31
	s_delay_alu instid0(VALU_DEP_1) | instskip(NEXT) | instid1(VALU_DEP_1)
	v_dual_max_f32 v33, v34, v34 :: v_dual_max_f32 v34, v37, v37
	v_min_f32_e32 v37, v34, v33
.LBB6_10186:                            ;   in Loop: Header=BB6_9353 Depth=3
	s_waitcnt vmcnt(3) lgkmcnt(3)
	s_delay_alu instid0(VALU_DEP_1) | instskip(NEXT) | instid1(VALU_DEP_1)
	v_and_b32_e32 v33, 0x7f800000, v37
	v_cmp_ne_u32_e32 vcc_lo, 0x7f800000, v33
	v_mov_b32_e32 v33, 0x80
	s_and_saveexec_b32 s31, vcc_lo
	s_cbranch_execz .LBB6_10194
; %bb.10187:                            ;   in Loop: Header=BB6_9353 Depth=3
	v_mov_b32_e32 v33, 0
	s_mov_b32 s34, exec_lo
	v_cmpx_ne_u32_e32 0, v37
	s_cbranch_execz .LBB6_10193
; %bb.10188:                            ;   in Loop: Header=BB6_9353 Depth=3
	v_bfe_u32 v33, v37, 23, 8
	v_and_b32_e32 v34, 0x7fffff, v37
	s_delay_alu instid0(VALU_DEP_2) | instskip(SKIP_1) | instid1(VALU_DEP_3)
	v_sub_nc_u32_e32 v48, 0x78, v33
	v_cmp_gt_u32_e32 vcc_lo, 0x79, v33
	v_or_b32_e32 v51, 0x800000, v34
	s_delay_alu instid0(VALU_DEP_3) | instskip(SKIP_2) | instid1(VALU_DEP_3)
	v_cndmask_b32_e32 v48, 0, v48, vcc_lo
	v_cmp_eq_u32_e32 vcc_lo, 0, v33
	v_add_nc_u32_e32 v33, 0xffffff89, v33
	v_cndmask_b32_e64 v48, v48, 0x77, vcc_lo
	v_cndmask_b32_e32 v34, v51, v34, vcc_lo
	s_delay_alu instid0(VALU_DEP_3) | instskip(NEXT) | instid1(VALU_DEP_3)
	v_cndmask_b32_e64 v33, v33, 0xffffff8a, vcc_lo
	v_lshl_add_u32 v51, 0x100000, v48, -1
	s_delay_alu instid0(VALU_DEP_3) | instskip(SKIP_1) | instid1(VALU_DEP_4)
	v_lshrrev_b32_e32 v112, v48, v34
	v_lshlrev_b32_e64 v183, v48, 0x80000
	v_add_nc_u32_e32 v48, v48, v33
	s_delay_alu instid0(VALU_DEP_4) | instskip(NEXT) | instid1(VALU_DEP_4)
	v_and_b32_e32 v34, v51, v34
	v_bfe_u32 v115, v112, 20, 1
	s_delay_alu instid0(VALU_DEP_2) | instskip(NEXT) | instid1(VALU_DEP_2)
	v_cmp_eq_u32_e64 s13, v34, v183
	v_add_nc_u32_e32 v51, -1, v115
	s_delay_alu instid0(VALU_DEP_1) | instskip(SKIP_2) | instid1(VALU_DEP_2)
	v_cndmask_b32_e64 v34, 0, v51, s13
	v_lshrrev_b32_e32 v51, 23, v112
	s_mov_b32 s13, exec_lo
	v_add_nc_u32_e32 v34, v34, v112
	s_delay_alu instid0(VALU_DEP_2) | instskip(NEXT) | instid1(VALU_DEP_2)
	v_xor_b32_e32 v51, 1, v51
	v_and_b32_e32 v33, 0xfffff, v34
	s_delay_alu instid0(VALU_DEP_1) | instskip(NEXT) | instid1(VALU_DEP_3)
	v_add_nc_u32_e32 v34, v33, v112
                                        ; implicit-def: $vgpr33
	v_cmpx_ne_u32_e64 v48, v51
	s_xor_b32 s13, exec_lo, s13
; %bb.10189:                            ;   in Loop: Header=BB6_9353 Depth=3
	s_delay_alu instid0(VALU_DEP_2) | instskip(SKIP_2) | instid1(VALU_DEP_2)
	v_cmp_lt_u32_e32 vcc_lo, 0xffffff, v34
	v_sub_nc_u32_e32 v33, v48, v51
	v_cndmask_b32_e64 v48, 0, 1, vcc_lo
	v_add_co_ci_u32_e32 v33, vcc_lo, 0, v33, vcc_lo
	s_delay_alu instid0(VALU_DEP_2)
	v_lshrrev_b32_e32 v34, v48, v34
; %bb.10190:                            ;   in Loop: Header=BB6_9353 Depth=3
	s_and_not1_saveexec_b32 s13, s13
; %bb.10191:                            ;   in Loop: Header=BB6_9353 Depth=3
	s_delay_alu instid0(VALU_DEP_1)
	v_bfe_u32 v33, v34, 23, 1
; %bb.10192:                            ;   in Loop: Header=BB6_9353 Depth=3
	s_or_b32 exec_lo, exec_lo, s13
	v_lshrrev_b32_e32 v34, 20, v34
	s_delay_alu instid0(VALU_DEP_2) | instskip(SKIP_2) | instid1(VALU_DEP_2)
	v_cmp_gt_i32_e32 vcc_lo, 16, v33
	v_lshrrev_b32_e32 v37, 24, v37
	v_min_i32_e32 v48, 15, v33
	v_dual_cndmask_b32 v34, 7, v34 :: v_dual_and_b32 v37, 0x80, v37
	s_delay_alu instid0(VALU_DEP_1) | instskip(SKIP_1) | instid1(VALU_DEP_2)
	v_or_b32_e32 v33, v33, v34
	v_and_b32_e32 v51, 7, v34
	v_cmp_ne_u32_e32 vcc_lo, 0, v33
	v_lshlrev_b32_e32 v48, 3, v48
	s_delay_alu instid0(VALU_DEP_1) | instskip(NEXT) | instid1(VALU_DEP_1)
	v_or3_b32 v34, v48, v37, v51
	v_cndmask_b32_e32 v33, 0, v34, vcc_lo
.LBB6_10193:                            ;   in Loop: Header=BB6_9353 Depth=3
	s_or_b32 exec_lo, exec_lo, s34
.LBB6_10194:                            ;   in Loop: Header=BB6_9353 Depth=3
	s_delay_alu instid0(SALU_CYCLE_1) | instskip(NEXT) | instid1(SALU_CYCLE_1)
	s_or_b32 exec_lo, exec_lo, s31
	s_and_not1_b32 vcc_lo, exec_lo, s17
	s_cbranch_vccnz .LBB6_10204
; %bb.10195:                            ;   in Loop: Header=BB6_9353 Depth=3
	v_and_b32_e32 v37, 0xff, v27
	s_mov_b32 s13, 0
	s_mov_b32 s34, exec_lo
                                        ; implicit-def: $sgpr31
	s_delay_alu instid0(VALU_DEP_1)
	v_cmpx_lt_i16_e32 0x7f, v37
	s_xor_b32 s34, exec_lo, s34
	s_cbranch_execnz .LBB6_10743
; %bb.10196:                            ;   in Loop: Header=BB6_9353 Depth=3
	s_or_saveexec_b32 s34, s34
	v_mov_b32_e32 v34, s31
	s_xor_b32 exec_lo, exec_lo, s34
	s_cbranch_execnz .LBB6_10746
.LBB6_10197:                            ;   in Loop: Header=BB6_9353 Depth=3
	s_or_b32 exec_lo, exec_lo, s34
	s_and_saveexec_b32 s31, s13
	s_cbranch_execz .LBB6_10199
.LBB6_10198:                            ;   in Loop: Header=BB6_9353 Depth=3
	v_lshrrev_b16 v51, 3, v27
	v_lshlrev_b32_e32 v112, 24, v27
	s_delay_alu instid0(VALU_DEP_2) | instskip(NEXT) | instid1(VALU_DEP_1)
	v_and_b32_e32 v51, 15, v51
	v_cmp_eq_u32_e32 vcc_lo, 0, v51
	v_and_b32_e32 v34, 7, v27
	s_delay_alu instid0(VALU_DEP_1) | instskip(NEXT) | instid1(VALU_DEP_1)
	v_clz_i32_u32_e32 v37, v34
	v_min_u32_e32 v37, 32, v37
	s_delay_alu instid0(VALU_DEP_1) | instskip(SKIP_1) | instid1(VALU_DEP_1)
	v_subrev_nc_u32_e32 v48, 28, v37
	v_sub_nc_u32_e32 v37, 29, v37
	v_dual_cndmask_b32 v37, v51, v37 :: v_dual_lshlrev_b32 v48, v48, v27
	s_delay_alu instid0(VALU_DEP_1) | instskip(NEXT) | instid1(VALU_DEP_2)
	v_and_b32_e32 v48, 7, v48
	v_lshl_add_u32 v37, v37, 23, 0x3b800000
	s_delay_alu instid0(VALU_DEP_2) | instskip(SKIP_1) | instid1(VALU_DEP_2)
	v_cndmask_b32_e32 v34, v34, v48, vcc_lo
	v_and_b32_e32 v48, 0x80000000, v112
	v_lshlrev_b32_e32 v34, 20, v34
	s_delay_alu instid0(VALU_DEP_1)
	v_or3_b32 v34, v48, v37, v34
.LBB6_10199:                            ;   in Loop: Header=BB6_9353 Depth=3
	s_or_b32 exec_lo, exec_lo, s31
	s_waitcnt vmcnt(2) lgkmcnt(2)
	v_and_b32_e32 v48, 0xff, v26
	s_mov_b32 s13, 0
	s_mov_b32 s34, exec_lo
                                        ; implicit-def: $sgpr31
	s_delay_alu instid0(VALU_DEP_1)
	v_cmpx_lt_i16_e32 0x7f, v48
	s_xor_b32 s34, exec_lo, s34
	s_cbranch_execnz .LBB6_10747
; %bb.10200:                            ;   in Loop: Header=BB6_9353 Depth=3
	s_or_saveexec_b32 s34, s34
	v_mov_b32_e32 v37, s31
	s_xor_b32 exec_lo, exec_lo, s34
	s_cbranch_execnz .LBB6_10750
.LBB6_10201:                            ;   in Loop: Header=BB6_9353 Depth=3
	s_or_b32 exec_lo, exec_lo, s34
	s_and_saveexec_b32 s31, s13
	s_cbranch_execz .LBB6_10203
.LBB6_10202:                            ;   in Loop: Header=BB6_9353 Depth=3
	v_lshrrev_b16 v112, 3, v26
	v_lshlrev_b32_e32 v115, 24, v26
	s_delay_alu instid0(VALU_DEP_2) | instskip(NEXT) | instid1(VALU_DEP_1)
	v_and_b32_e32 v112, 15, v112
	v_cmp_eq_u32_e32 vcc_lo, 0, v112
	v_and_b32_e32 v37, 7, v26
	s_delay_alu instid0(VALU_DEP_1) | instskip(NEXT) | instid1(VALU_DEP_1)
	v_clz_i32_u32_e32 v48, v37
	v_min_u32_e32 v48, 32, v48
	s_delay_alu instid0(VALU_DEP_1) | instskip(SKIP_1) | instid1(VALU_DEP_1)
	v_subrev_nc_u32_e32 v51, 28, v48
	v_sub_nc_u32_e32 v48, 29, v48
	v_dual_cndmask_b32 v48, v112, v48 :: v_dual_lshlrev_b32 v51, v51, v26
	s_delay_alu instid0(VALU_DEP_1) | instskip(NEXT) | instid1(VALU_DEP_2)
	v_and_b32_e32 v51, 7, v51
	v_lshl_add_u32 v48, v48, 23, 0x3b800000
	s_delay_alu instid0(VALU_DEP_2) | instskip(SKIP_1) | instid1(VALU_DEP_2)
	v_cndmask_b32_e32 v37, v37, v51, vcc_lo
	v_and_b32_e32 v51, 0x80000000, v115
	v_lshlrev_b32_e32 v37, 20, v37
	s_delay_alu instid0(VALU_DEP_1)
	v_or3_b32 v37, v51, v48, v37
.LBB6_10203:                            ;   in Loop: Header=BB6_9353 Depth=3
	s_or_b32 exec_lo, exec_lo, s31
	s_delay_alu instid0(VALU_DEP_1) | instskip(SKIP_1) | instid1(VALU_DEP_1)
	v_dual_max_f32 v37, v37, v37 :: v_dual_max_f32 v34, v34, v34
	s_mov_b32 s13, 0
	v_max_f32_e32 v34, v34, v37
	s_branch .LBB6_10205
.LBB6_10204:                            ;   in Loop: Header=BB6_9353 Depth=3
	s_mov_b32 s13, -1
                                        ; implicit-def: $vgpr34
.LBB6_10205:                            ;   in Loop: Header=BB6_9353 Depth=3
	s_delay_alu instid0(SALU_CYCLE_1)
	s_and_b32 vcc_lo, exec_lo, s13
	s_cbranch_vccz .LBB6_10215
; %bb.10206:                            ;   in Loop: Header=BB6_9353 Depth=3
	v_and_b32_e32 v37, 0xff, v27
	s_mov_b32 s13, 0
	s_mov_b32 s34, exec_lo
                                        ; implicit-def: $sgpr31
	s_delay_alu instid0(VALU_DEP_1)
	v_cmpx_lt_i16_e32 0x7f, v37
	s_xor_b32 s34, exec_lo, s34
	s_cbranch_execnz .LBB6_10751
; %bb.10207:                            ;   in Loop: Header=BB6_9353 Depth=3
	s_or_saveexec_b32 s34, s34
	v_mov_b32_e32 v34, s31
	s_xor_b32 exec_lo, exec_lo, s34
	s_cbranch_execnz .LBB6_10754
.LBB6_10208:                            ;   in Loop: Header=BB6_9353 Depth=3
	s_or_b32 exec_lo, exec_lo, s34
	s_and_saveexec_b32 s31, s13
	s_cbranch_execz .LBB6_10210
.LBB6_10209:                            ;   in Loop: Header=BB6_9353 Depth=3
	v_lshrrev_b16 v51, 3, v27
	s_delay_alu instid0(VALU_DEP_1) | instskip(NEXT) | instid1(VALU_DEP_1)
	v_and_b32_e32 v51, 15, v51
	v_cmp_eq_u32_e32 vcc_lo, 0, v51
	v_and_b32_e32 v34, 7, v27
	s_delay_alu instid0(VALU_DEP_1) | instskip(NEXT) | instid1(VALU_DEP_1)
	v_clz_i32_u32_e32 v37, v34
	v_min_u32_e32 v37, 32, v37
	s_delay_alu instid0(VALU_DEP_1) | instskip(SKIP_1) | instid1(VALU_DEP_1)
	v_subrev_nc_u32_e32 v48, 28, v37
	v_sub_nc_u32_e32 v37, 29, v37
	v_dual_cndmask_b32 v37, v51, v37 :: v_dual_lshlrev_b32 v48, v48, v27
	v_lshlrev_b32_e32 v27, 24, v27
	s_delay_alu instid0(VALU_DEP_2) | instskip(NEXT) | instid1(VALU_DEP_3)
	v_and_b32_e32 v48, 7, v48
	v_lshl_add_u32 v37, v37, 23, 0x3b800000
	s_delay_alu instid0(VALU_DEP_2) | instskip(NEXT) | instid1(VALU_DEP_1)
	v_dual_cndmask_b32 v34, v34, v48 :: v_dual_and_b32 v27, 0x80000000, v27
	v_lshlrev_b32_e32 v34, 20, v34
	s_delay_alu instid0(VALU_DEP_1)
	v_or3_b32 v34, v27, v37, v34
.LBB6_10210:                            ;   in Loop: Header=BB6_9353 Depth=3
	s_or_b32 exec_lo, exec_lo, s31
	s_waitcnt vmcnt(2) lgkmcnt(2)
	v_and_b32_e32 v37, 0xff, v26
	s_mov_b32 s13, 0
	s_mov_b32 s34, exec_lo
                                        ; implicit-def: $sgpr31
	s_delay_alu instid0(VALU_DEP_1)
	v_cmpx_lt_i16_e32 0x7f, v37
	s_xor_b32 s34, exec_lo, s34
	s_cbranch_execnz .LBB6_10755
; %bb.10211:                            ;   in Loop: Header=BB6_9353 Depth=3
	s_or_saveexec_b32 s34, s34
	v_mov_b32_e32 v27, s31
	s_xor_b32 exec_lo, exec_lo, s34
	s_cbranch_execnz .LBB6_10758
.LBB6_10212:                            ;   in Loop: Header=BB6_9353 Depth=3
	s_or_b32 exec_lo, exec_lo, s34
	s_and_saveexec_b32 s31, s13
	s_cbranch_execz .LBB6_10214
.LBB6_10213:                            ;   in Loop: Header=BB6_9353 Depth=3
	v_and_b32_e32 v27, 7, v26
	v_lshrrev_b16 v51, 3, v26
	s_delay_alu instid0(VALU_DEP_2) | instskip(NEXT) | instid1(VALU_DEP_2)
	v_clz_i32_u32_e32 v37, v27
	v_and_b32_e32 v51, 15, v51
	s_delay_alu instid0(VALU_DEP_2) | instskip(NEXT) | instid1(VALU_DEP_2)
	v_min_u32_e32 v37, 32, v37
	v_cmp_eq_u32_e32 vcc_lo, 0, v51
	s_delay_alu instid0(VALU_DEP_2) | instskip(SKIP_1) | instid1(VALU_DEP_1)
	v_subrev_nc_u32_e32 v48, 28, v37
	v_sub_nc_u32_e32 v37, 29, v37
	v_dual_cndmask_b32 v37, v51, v37 :: v_dual_lshlrev_b32 v48, v48, v26
	s_delay_alu instid0(VALU_DEP_1) | instskip(SKIP_1) | instid1(VALU_DEP_3)
	v_and_b32_e32 v48, 7, v48
	v_lshlrev_b32_e32 v26, 24, v26
	v_lshl_add_u32 v37, v37, 23, 0x3b800000
	s_delay_alu instid0(VALU_DEP_2) | instskip(NEXT) | instid1(VALU_DEP_1)
	v_dual_cndmask_b32 v27, v27, v48 :: v_dual_and_b32 v26, 0x80000000, v26
	v_lshlrev_b32_e32 v27, 20, v27
	s_delay_alu instid0(VALU_DEP_1)
	v_or3_b32 v27, v26, v37, v27
.LBB6_10214:                            ;   in Loop: Header=BB6_9353 Depth=3
	s_or_b32 exec_lo, exec_lo, s31
	s_delay_alu instid0(VALU_DEP_1) | instskip(NEXT) | instid1(VALU_DEP_1)
	v_dual_max_f32 v26, v27, v27 :: v_dual_max_f32 v27, v34, v34
	v_min_f32_e32 v34, v27, v26
.LBB6_10215:                            ;   in Loop: Header=BB6_9353 Depth=3
	s_waitcnt vmcnt(2) lgkmcnt(2)
	s_delay_alu instid0(VALU_DEP_1) | instskip(NEXT) | instid1(VALU_DEP_1)
	v_and_b32_e32 v26, 0x7f800000, v34
	v_cmp_ne_u32_e32 vcc_lo, 0x7f800000, v26
	v_mov_b32_e32 v26, 0x80
	s_and_saveexec_b32 s31, vcc_lo
	s_cbranch_execz .LBB6_10223
; %bb.10216:                            ;   in Loop: Header=BB6_9353 Depth=3
	v_mov_b32_e32 v26, 0
	s_mov_b32 s34, exec_lo
	v_cmpx_ne_u32_e32 0, v34
	s_cbranch_execz .LBB6_10222
; %bb.10217:                            ;   in Loop: Header=BB6_9353 Depth=3
	v_bfe_u32 v26, v34, 23, 8
	v_and_b32_e32 v27, 0x7fffff, v34
	s_delay_alu instid0(VALU_DEP_2) | instskip(SKIP_1) | instid1(VALU_DEP_3)
	v_sub_nc_u32_e32 v37, 0x78, v26
	v_cmp_gt_u32_e32 vcc_lo, 0x79, v26
	v_or_b32_e32 v48, 0x800000, v27
	s_delay_alu instid0(VALU_DEP_3) | instskip(SKIP_2) | instid1(VALU_DEP_3)
	v_cndmask_b32_e32 v37, 0, v37, vcc_lo
	v_cmp_eq_u32_e32 vcc_lo, 0, v26
	v_add_nc_u32_e32 v26, 0xffffff89, v26
	v_cndmask_b32_e64 v37, v37, 0x77, vcc_lo
	v_cndmask_b32_e32 v27, v48, v27, vcc_lo
	s_delay_alu instid0(VALU_DEP_3) | instskip(NEXT) | instid1(VALU_DEP_3)
	v_cndmask_b32_e64 v26, v26, 0xffffff8a, vcc_lo
	v_lshl_add_u32 v48, 0x100000, v37, -1
	s_delay_alu instid0(VALU_DEP_3) | instskip(SKIP_1) | instid1(VALU_DEP_4)
	v_lshrrev_b32_e32 v51, v37, v27
	v_lshlrev_b32_e64 v115, v37, 0x80000
	v_add_nc_u32_e32 v37, v37, v26
	s_delay_alu instid0(VALU_DEP_4) | instskip(NEXT) | instid1(VALU_DEP_4)
	v_and_b32_e32 v27, v48, v27
	v_bfe_u32 v112, v51, 20, 1
	s_delay_alu instid0(VALU_DEP_2) | instskip(NEXT) | instid1(VALU_DEP_2)
	v_cmp_eq_u32_e64 s13, v27, v115
	v_add_nc_u32_e32 v48, -1, v112
	s_delay_alu instid0(VALU_DEP_1) | instskip(SKIP_2) | instid1(VALU_DEP_2)
	v_cndmask_b32_e64 v27, 0, v48, s13
	v_lshrrev_b32_e32 v48, 23, v51
	s_mov_b32 s13, exec_lo
	v_add_nc_u32_e32 v27, v27, v51
	s_delay_alu instid0(VALU_DEP_2) | instskip(NEXT) | instid1(VALU_DEP_2)
	v_xor_b32_e32 v48, 1, v48
	v_and_b32_e32 v26, 0xfffff, v27
	s_delay_alu instid0(VALU_DEP_1) | instskip(NEXT) | instid1(VALU_DEP_3)
	v_add_nc_u32_e32 v27, v26, v51
                                        ; implicit-def: $vgpr26
	v_cmpx_ne_u32_e64 v37, v48
	s_xor_b32 s13, exec_lo, s13
; %bb.10218:                            ;   in Loop: Header=BB6_9353 Depth=3
	s_delay_alu instid0(VALU_DEP_2) | instskip(SKIP_2) | instid1(VALU_DEP_2)
	v_cmp_lt_u32_e32 vcc_lo, 0xffffff, v27
	v_sub_nc_u32_e32 v26, v37, v48
	v_cndmask_b32_e64 v37, 0, 1, vcc_lo
	v_add_co_ci_u32_e32 v26, vcc_lo, 0, v26, vcc_lo
	s_delay_alu instid0(VALU_DEP_2)
	v_lshrrev_b32_e32 v27, v37, v27
; %bb.10219:                            ;   in Loop: Header=BB6_9353 Depth=3
	s_and_not1_saveexec_b32 s13, s13
; %bb.10220:                            ;   in Loop: Header=BB6_9353 Depth=3
	s_delay_alu instid0(VALU_DEP_1)
	v_bfe_u32 v26, v27, 23, 1
; %bb.10221:                            ;   in Loop: Header=BB6_9353 Depth=3
	s_or_b32 exec_lo, exec_lo, s13
	v_lshrrev_b32_e32 v27, 20, v27
	s_delay_alu instid0(VALU_DEP_2) | instskip(SKIP_2) | instid1(VALU_DEP_2)
	v_cmp_gt_i32_e32 vcc_lo, 16, v26
	v_lshrrev_b32_e32 v34, 24, v34
	v_min_i32_e32 v37, 15, v26
	v_dual_cndmask_b32 v27, 7, v27 :: v_dual_and_b32 v34, 0x80, v34
	s_delay_alu instid0(VALU_DEP_1) | instskip(SKIP_1) | instid1(VALU_DEP_2)
	v_or_b32_e32 v26, v26, v27
	v_and_b32_e32 v48, 7, v27
	v_cmp_ne_u32_e32 vcc_lo, 0, v26
	v_lshlrev_b32_e32 v37, 3, v37
	s_delay_alu instid0(VALU_DEP_1) | instskip(NEXT) | instid1(VALU_DEP_1)
	v_or3_b32 v27, v37, v34, v48
	v_cndmask_b32_e32 v26, 0, v27, vcc_lo
.LBB6_10222:                            ;   in Loop: Header=BB6_9353 Depth=3
	s_or_b32 exec_lo, exec_lo, s34
.LBB6_10223:                            ;   in Loop: Header=BB6_9353 Depth=3
	s_delay_alu instid0(SALU_CYCLE_1) | instskip(NEXT) | instid1(SALU_CYCLE_1)
	s_or_b32 exec_lo, exec_lo, s31
	s_and_not1_b32 vcc_lo, exec_lo, s17
	s_cbranch_vccnz .LBB6_10233
; %bb.10224:                            ;   in Loop: Header=BB6_9353 Depth=3
	v_and_b32_e32 v34, 0xff, v24
	s_mov_b32 s13, 0
	s_mov_b32 s34, exec_lo
                                        ; implicit-def: $sgpr31
	s_delay_alu instid0(VALU_DEP_1)
	v_cmpx_lt_i16_e32 0x7f, v34
	s_xor_b32 s34, exec_lo, s34
	s_cbranch_execnz .LBB6_10759
; %bb.10225:                            ;   in Loop: Header=BB6_9353 Depth=3
	s_or_saveexec_b32 s34, s34
	v_mov_b32_e32 v27, s31
	s_xor_b32 exec_lo, exec_lo, s34
	s_cbranch_execnz .LBB6_10762
.LBB6_10226:                            ;   in Loop: Header=BB6_9353 Depth=3
	s_or_b32 exec_lo, exec_lo, s34
	s_and_saveexec_b32 s31, s13
	s_cbranch_execz .LBB6_10228
.LBB6_10227:                            ;   in Loop: Header=BB6_9353 Depth=3
	v_lshrrev_b16 v48, 3, v24
	v_lshlrev_b32_e32 v51, 24, v24
	s_delay_alu instid0(VALU_DEP_2) | instskip(NEXT) | instid1(VALU_DEP_1)
	v_and_b32_e32 v48, 15, v48
	v_cmp_eq_u32_e32 vcc_lo, 0, v48
	v_and_b32_e32 v27, 7, v24
	s_delay_alu instid0(VALU_DEP_1) | instskip(NEXT) | instid1(VALU_DEP_1)
	v_clz_i32_u32_e32 v34, v27
	v_min_u32_e32 v34, 32, v34
	s_delay_alu instid0(VALU_DEP_1) | instskip(SKIP_1) | instid1(VALU_DEP_1)
	v_subrev_nc_u32_e32 v37, 28, v34
	v_sub_nc_u32_e32 v34, 29, v34
	v_dual_cndmask_b32 v34, v48, v34 :: v_dual_lshlrev_b32 v37, v37, v24
	s_delay_alu instid0(VALU_DEP_1) | instskip(NEXT) | instid1(VALU_DEP_2)
	v_and_b32_e32 v37, 7, v37
	v_lshl_add_u32 v34, v34, 23, 0x3b800000
	s_delay_alu instid0(VALU_DEP_2) | instskip(SKIP_1) | instid1(VALU_DEP_2)
	v_cndmask_b32_e32 v27, v27, v37, vcc_lo
	v_and_b32_e32 v37, 0x80000000, v51
	v_lshlrev_b32_e32 v27, 20, v27
	s_delay_alu instid0(VALU_DEP_1)
	v_or3_b32 v27, v37, v34, v27
.LBB6_10228:                            ;   in Loop: Header=BB6_9353 Depth=3
	s_or_b32 exec_lo, exec_lo, s31
	s_waitcnt vmcnt(1) lgkmcnt(1)
	v_and_b32_e32 v37, 0xff, v23
	s_mov_b32 s13, 0
	s_mov_b32 s34, exec_lo
                                        ; implicit-def: $sgpr31
	s_delay_alu instid0(VALU_DEP_1)
	v_cmpx_lt_i16_e32 0x7f, v37
	s_xor_b32 s34, exec_lo, s34
	s_cbranch_execnz .LBB6_10763
; %bb.10229:                            ;   in Loop: Header=BB6_9353 Depth=3
	s_or_saveexec_b32 s34, s34
	v_mov_b32_e32 v34, s31
	s_xor_b32 exec_lo, exec_lo, s34
	s_cbranch_execnz .LBB6_10766
.LBB6_10230:                            ;   in Loop: Header=BB6_9353 Depth=3
	s_or_b32 exec_lo, exec_lo, s34
	s_and_saveexec_b32 s31, s13
	s_cbranch_execz .LBB6_10232
.LBB6_10231:                            ;   in Loop: Header=BB6_9353 Depth=3
	v_lshrrev_b16 v51, 3, v23
	v_lshlrev_b32_e32 v112, 24, v23
	s_delay_alu instid0(VALU_DEP_2) | instskip(NEXT) | instid1(VALU_DEP_1)
	v_and_b32_e32 v51, 15, v51
	v_cmp_eq_u32_e32 vcc_lo, 0, v51
	v_and_b32_e32 v34, 7, v23
	s_delay_alu instid0(VALU_DEP_1) | instskip(NEXT) | instid1(VALU_DEP_1)
	v_clz_i32_u32_e32 v37, v34
	v_min_u32_e32 v37, 32, v37
	s_delay_alu instid0(VALU_DEP_1) | instskip(SKIP_1) | instid1(VALU_DEP_1)
	v_subrev_nc_u32_e32 v48, 28, v37
	v_sub_nc_u32_e32 v37, 29, v37
	v_dual_cndmask_b32 v37, v51, v37 :: v_dual_lshlrev_b32 v48, v48, v23
	s_delay_alu instid0(VALU_DEP_1) | instskip(NEXT) | instid1(VALU_DEP_2)
	v_and_b32_e32 v48, 7, v48
	v_lshl_add_u32 v37, v37, 23, 0x3b800000
	s_delay_alu instid0(VALU_DEP_2) | instskip(SKIP_1) | instid1(VALU_DEP_2)
	v_cndmask_b32_e32 v34, v34, v48, vcc_lo
	v_and_b32_e32 v48, 0x80000000, v112
	v_lshlrev_b32_e32 v34, 20, v34
	s_delay_alu instid0(VALU_DEP_1)
	v_or3_b32 v34, v48, v37, v34
.LBB6_10232:                            ;   in Loop: Header=BB6_9353 Depth=3
	s_or_b32 exec_lo, exec_lo, s31
	s_delay_alu instid0(VALU_DEP_1) | instskip(SKIP_1) | instid1(VALU_DEP_1)
	v_dual_max_f32 v34, v34, v34 :: v_dual_max_f32 v27, v27, v27
	s_mov_b32 s13, 0
	v_max_f32_e32 v27, v27, v34
	s_branch .LBB6_10234
.LBB6_10233:                            ;   in Loop: Header=BB6_9353 Depth=3
	s_mov_b32 s13, -1
                                        ; implicit-def: $vgpr27
.LBB6_10234:                            ;   in Loop: Header=BB6_9353 Depth=3
	s_delay_alu instid0(SALU_CYCLE_1)
	s_and_b32 vcc_lo, exec_lo, s13
	s_cbranch_vccz .LBB6_10244
; %bb.10235:                            ;   in Loop: Header=BB6_9353 Depth=3
	v_and_b32_e32 v34, 0xff, v24
	s_mov_b32 s13, 0
	s_mov_b32 s34, exec_lo
                                        ; implicit-def: $sgpr31
	s_delay_alu instid0(VALU_DEP_1)
	v_cmpx_lt_i16_e32 0x7f, v34
	s_xor_b32 s34, exec_lo, s34
	s_cbranch_execnz .LBB6_10767
; %bb.10236:                            ;   in Loop: Header=BB6_9353 Depth=3
	s_or_saveexec_b32 s34, s34
	v_mov_b32_e32 v27, s31
	s_xor_b32 exec_lo, exec_lo, s34
	s_cbranch_execnz .LBB6_10770
.LBB6_10237:                            ;   in Loop: Header=BB6_9353 Depth=3
	s_or_b32 exec_lo, exec_lo, s34
	s_and_saveexec_b32 s31, s13
	s_cbranch_execz .LBB6_10239
.LBB6_10238:                            ;   in Loop: Header=BB6_9353 Depth=3
	v_lshrrev_b16 v48, 3, v24
	s_delay_alu instid0(VALU_DEP_1) | instskip(NEXT) | instid1(VALU_DEP_1)
	v_and_b32_e32 v48, 15, v48
	v_cmp_eq_u32_e32 vcc_lo, 0, v48
	v_and_b32_e32 v27, 7, v24
	s_delay_alu instid0(VALU_DEP_1) | instskip(NEXT) | instid1(VALU_DEP_1)
	v_clz_i32_u32_e32 v34, v27
	v_min_u32_e32 v34, 32, v34
	s_delay_alu instid0(VALU_DEP_1) | instskip(SKIP_1) | instid1(VALU_DEP_1)
	v_subrev_nc_u32_e32 v37, 28, v34
	v_sub_nc_u32_e32 v34, 29, v34
	v_dual_cndmask_b32 v34, v48, v34 :: v_dual_lshlrev_b32 v37, v37, v24
	v_lshlrev_b32_e32 v24, 24, v24
	s_delay_alu instid0(VALU_DEP_2) | instskip(NEXT) | instid1(VALU_DEP_3)
	v_and_b32_e32 v37, 7, v37
	v_lshl_add_u32 v34, v34, 23, 0x3b800000
	s_delay_alu instid0(VALU_DEP_2) | instskip(NEXT) | instid1(VALU_DEP_1)
	v_dual_cndmask_b32 v27, v27, v37 :: v_dual_and_b32 v24, 0x80000000, v24
	v_lshlrev_b32_e32 v27, 20, v27
	s_delay_alu instid0(VALU_DEP_1)
	v_or3_b32 v27, v24, v34, v27
.LBB6_10239:                            ;   in Loop: Header=BB6_9353 Depth=3
	s_or_b32 exec_lo, exec_lo, s31
	s_waitcnt vmcnt(1) lgkmcnt(1)
	v_and_b32_e32 v34, 0xff, v23
	s_mov_b32 s13, 0
	s_mov_b32 s34, exec_lo
                                        ; implicit-def: $sgpr31
	s_delay_alu instid0(VALU_DEP_1)
	v_cmpx_lt_i16_e32 0x7f, v34
	s_xor_b32 s34, exec_lo, s34
	s_cbranch_execnz .LBB6_10771
; %bb.10240:                            ;   in Loop: Header=BB6_9353 Depth=3
	s_or_saveexec_b32 s34, s34
	v_mov_b32_e32 v24, s31
	s_xor_b32 exec_lo, exec_lo, s34
	s_cbranch_execnz .LBB6_10774
.LBB6_10241:                            ;   in Loop: Header=BB6_9353 Depth=3
	s_or_b32 exec_lo, exec_lo, s34
	s_and_saveexec_b32 s31, s13
	s_cbranch_execz .LBB6_10243
.LBB6_10242:                            ;   in Loop: Header=BB6_9353 Depth=3
	v_and_b32_e32 v24, 7, v23
	v_lshrrev_b16 v48, 3, v23
	s_delay_alu instid0(VALU_DEP_2) | instskip(NEXT) | instid1(VALU_DEP_2)
	v_clz_i32_u32_e32 v34, v24
	v_and_b32_e32 v48, 15, v48
	s_delay_alu instid0(VALU_DEP_2) | instskip(NEXT) | instid1(VALU_DEP_2)
	v_min_u32_e32 v34, 32, v34
	v_cmp_eq_u32_e32 vcc_lo, 0, v48
	s_delay_alu instid0(VALU_DEP_2) | instskip(SKIP_1) | instid1(VALU_DEP_1)
	v_subrev_nc_u32_e32 v37, 28, v34
	v_sub_nc_u32_e32 v34, 29, v34
	v_dual_cndmask_b32 v34, v48, v34 :: v_dual_lshlrev_b32 v37, v37, v23
	s_delay_alu instid0(VALU_DEP_1) | instskip(SKIP_1) | instid1(VALU_DEP_3)
	v_and_b32_e32 v37, 7, v37
	v_lshlrev_b32_e32 v23, 24, v23
	v_lshl_add_u32 v34, v34, 23, 0x3b800000
	s_delay_alu instid0(VALU_DEP_2) | instskip(NEXT) | instid1(VALU_DEP_1)
	v_dual_cndmask_b32 v24, v24, v37 :: v_dual_and_b32 v23, 0x80000000, v23
	v_lshlrev_b32_e32 v24, 20, v24
	s_delay_alu instid0(VALU_DEP_1)
	v_or3_b32 v24, v23, v34, v24
.LBB6_10243:                            ;   in Loop: Header=BB6_9353 Depth=3
	s_or_b32 exec_lo, exec_lo, s31
	s_delay_alu instid0(VALU_DEP_1) | instskip(NEXT) | instid1(VALU_DEP_1)
	v_dual_max_f32 v23, v24, v24 :: v_dual_max_f32 v24, v27, v27
	v_min_f32_e32 v27, v24, v23
.LBB6_10244:                            ;   in Loop: Header=BB6_9353 Depth=3
	s_waitcnt vmcnt(1) lgkmcnt(1)
	s_delay_alu instid0(VALU_DEP_1) | instskip(NEXT) | instid1(VALU_DEP_1)
	v_and_b32_e32 v23, 0x7f800000, v27
	v_cmp_ne_u32_e32 vcc_lo, 0x7f800000, v23
	v_mov_b32_e32 v23, 0x80
	s_and_saveexec_b32 s31, vcc_lo
	s_cbranch_execz .LBB6_10252
; %bb.10245:                            ;   in Loop: Header=BB6_9353 Depth=3
	v_mov_b32_e32 v23, 0
	s_mov_b32 s34, exec_lo
	v_cmpx_ne_u32_e32 0, v27
	s_cbranch_execz .LBB6_10251
; %bb.10246:                            ;   in Loop: Header=BB6_9353 Depth=3
	v_bfe_u32 v23, v27, 23, 8
	v_and_b32_e32 v24, 0x7fffff, v27
	s_delay_alu instid0(VALU_DEP_2) | instskip(SKIP_1) | instid1(VALU_DEP_3)
	v_sub_nc_u32_e32 v34, 0x78, v23
	v_cmp_gt_u32_e32 vcc_lo, 0x79, v23
	v_or_b32_e32 v37, 0x800000, v24
	s_delay_alu instid0(VALU_DEP_3) | instskip(SKIP_2) | instid1(VALU_DEP_3)
	v_cndmask_b32_e32 v34, 0, v34, vcc_lo
	v_cmp_eq_u32_e32 vcc_lo, 0, v23
	v_add_nc_u32_e32 v23, 0xffffff89, v23
	v_cndmask_b32_e64 v34, v34, 0x77, vcc_lo
	v_cndmask_b32_e32 v24, v37, v24, vcc_lo
	s_delay_alu instid0(VALU_DEP_3) | instskip(NEXT) | instid1(VALU_DEP_3)
	v_cndmask_b32_e64 v23, v23, 0xffffff8a, vcc_lo
	v_lshl_add_u32 v37, 0x100000, v34, -1
	s_delay_alu instid0(VALU_DEP_3) | instskip(SKIP_1) | instid1(VALU_DEP_4)
	v_lshrrev_b32_e32 v48, v34, v24
	v_lshlrev_b32_e64 v112, v34, 0x80000
	v_add_nc_u32_e32 v34, v34, v23
	s_delay_alu instid0(VALU_DEP_4) | instskip(NEXT) | instid1(VALU_DEP_4)
	v_and_b32_e32 v24, v37, v24
	v_bfe_u32 v51, v48, 20, 1
	s_delay_alu instid0(VALU_DEP_2) | instskip(NEXT) | instid1(VALU_DEP_2)
	v_cmp_eq_u32_e64 s13, v24, v112
	v_add_nc_u32_e32 v37, -1, v51
	s_delay_alu instid0(VALU_DEP_1) | instskip(SKIP_2) | instid1(VALU_DEP_2)
	v_cndmask_b32_e64 v24, 0, v37, s13
	v_lshrrev_b32_e32 v37, 23, v48
	s_mov_b32 s13, exec_lo
	v_add_nc_u32_e32 v24, v24, v48
	s_delay_alu instid0(VALU_DEP_2) | instskip(NEXT) | instid1(VALU_DEP_2)
	v_xor_b32_e32 v37, 1, v37
	v_and_b32_e32 v23, 0xfffff, v24
	s_delay_alu instid0(VALU_DEP_1) | instskip(NEXT) | instid1(VALU_DEP_3)
	v_add_nc_u32_e32 v24, v23, v48
                                        ; implicit-def: $vgpr23
	v_cmpx_ne_u32_e64 v34, v37
	s_xor_b32 s13, exec_lo, s13
; %bb.10247:                            ;   in Loop: Header=BB6_9353 Depth=3
	s_delay_alu instid0(VALU_DEP_2) | instskip(SKIP_2) | instid1(VALU_DEP_2)
	v_cmp_lt_u32_e32 vcc_lo, 0xffffff, v24
	v_sub_nc_u32_e32 v23, v34, v37
	v_cndmask_b32_e64 v34, 0, 1, vcc_lo
	v_add_co_ci_u32_e32 v23, vcc_lo, 0, v23, vcc_lo
	s_delay_alu instid0(VALU_DEP_2)
	v_lshrrev_b32_e32 v24, v34, v24
; %bb.10248:                            ;   in Loop: Header=BB6_9353 Depth=3
	s_and_not1_saveexec_b32 s13, s13
; %bb.10249:                            ;   in Loop: Header=BB6_9353 Depth=3
	s_delay_alu instid0(VALU_DEP_1)
	v_bfe_u32 v23, v24, 23, 1
; %bb.10250:                            ;   in Loop: Header=BB6_9353 Depth=3
	s_or_b32 exec_lo, exec_lo, s13
	v_lshrrev_b32_e32 v24, 20, v24
	s_delay_alu instid0(VALU_DEP_2) | instskip(SKIP_2) | instid1(VALU_DEP_2)
	v_cmp_gt_i32_e32 vcc_lo, 16, v23
	v_lshrrev_b32_e32 v27, 24, v27
	v_min_i32_e32 v34, 15, v23
	v_dual_cndmask_b32 v24, 7, v24 :: v_dual_and_b32 v27, 0x80, v27
	s_delay_alu instid0(VALU_DEP_1) | instskip(SKIP_1) | instid1(VALU_DEP_2)
	v_or_b32_e32 v23, v23, v24
	v_and_b32_e32 v37, 7, v24
	v_cmp_ne_u32_e32 vcc_lo, 0, v23
	v_lshlrev_b32_e32 v34, 3, v34
	s_delay_alu instid0(VALU_DEP_1) | instskip(NEXT) | instid1(VALU_DEP_1)
	v_or3_b32 v24, v34, v27, v37
	v_cndmask_b32_e32 v23, 0, v24, vcc_lo
.LBB6_10251:                            ;   in Loop: Header=BB6_9353 Depth=3
	s_or_b32 exec_lo, exec_lo, s34
.LBB6_10252:                            ;   in Loop: Header=BB6_9353 Depth=3
	s_delay_alu instid0(SALU_CYCLE_1) | instskip(NEXT) | instid1(SALU_CYCLE_1)
	s_or_b32 exec_lo, exec_lo, s31
	s_and_not1_b32 vcc_lo, exec_lo, s17
	s_cbranch_vccnz .LBB6_10262
; %bb.10253:                            ;   in Loop: Header=BB6_9353 Depth=3
	v_and_b32_e32 v27, 0xff, v21
	s_mov_b32 s13, 0
	s_mov_b32 s34, exec_lo
                                        ; implicit-def: $sgpr31
	s_delay_alu instid0(VALU_DEP_1)
	v_cmpx_lt_i16_e32 0x7f, v27
	s_xor_b32 s34, exec_lo, s34
	s_cbranch_execnz .LBB6_10775
; %bb.10254:                            ;   in Loop: Header=BB6_9353 Depth=3
	s_or_saveexec_b32 s34, s34
	v_mov_b32_e32 v24, s31
	s_xor_b32 exec_lo, exec_lo, s34
	s_cbranch_execnz .LBB6_10778
.LBB6_10255:                            ;   in Loop: Header=BB6_9353 Depth=3
	s_or_b32 exec_lo, exec_lo, s34
	s_and_saveexec_b32 s31, s13
	s_cbranch_execz .LBB6_10257
.LBB6_10256:                            ;   in Loop: Header=BB6_9353 Depth=3
	v_lshrrev_b16 v37, 3, v21
	v_lshlrev_b32_e32 v48, 24, v21
	s_delay_alu instid0(VALU_DEP_2) | instskip(NEXT) | instid1(VALU_DEP_1)
	v_and_b32_e32 v37, 15, v37
	v_cmp_eq_u32_e32 vcc_lo, 0, v37
	v_and_b32_e32 v24, 7, v21
	s_delay_alu instid0(VALU_DEP_1) | instskip(NEXT) | instid1(VALU_DEP_1)
	v_clz_i32_u32_e32 v27, v24
	v_min_u32_e32 v27, 32, v27
	s_delay_alu instid0(VALU_DEP_1) | instskip(SKIP_1) | instid1(VALU_DEP_1)
	v_subrev_nc_u32_e32 v34, 28, v27
	v_sub_nc_u32_e32 v27, 29, v27
	v_dual_cndmask_b32 v27, v37, v27 :: v_dual_lshlrev_b32 v34, v34, v21
	s_delay_alu instid0(VALU_DEP_1) | instskip(NEXT) | instid1(VALU_DEP_2)
	v_and_b32_e32 v34, 7, v34
	v_lshl_add_u32 v27, v27, 23, 0x3b800000
	s_delay_alu instid0(VALU_DEP_2) | instskip(SKIP_1) | instid1(VALU_DEP_2)
	v_cndmask_b32_e32 v24, v24, v34, vcc_lo
	v_and_b32_e32 v34, 0x80000000, v48
	v_lshlrev_b32_e32 v24, 20, v24
	s_delay_alu instid0(VALU_DEP_1)
	v_or3_b32 v24, v34, v27, v24
.LBB6_10257:                            ;   in Loop: Header=BB6_9353 Depth=3
	s_or_b32 exec_lo, exec_lo, s31
	s_waitcnt vmcnt(0) lgkmcnt(0)
	v_and_b32_e32 v34, 0xff, v20
	s_mov_b32 s13, 0
	s_mov_b32 s34, exec_lo
                                        ; implicit-def: $sgpr31
	s_delay_alu instid0(VALU_DEP_1)
	v_cmpx_lt_i16_e32 0x7f, v34
	s_xor_b32 s34, exec_lo, s34
	s_cbranch_execnz .LBB6_10779
; %bb.10258:                            ;   in Loop: Header=BB6_9353 Depth=3
	s_or_saveexec_b32 s34, s34
	v_mov_b32_e32 v27, s31
	s_xor_b32 exec_lo, exec_lo, s34
	s_cbranch_execnz .LBB6_10782
.LBB6_10259:                            ;   in Loop: Header=BB6_9353 Depth=3
	s_or_b32 exec_lo, exec_lo, s34
	s_and_saveexec_b32 s31, s13
	s_cbranch_execz .LBB6_10261
.LBB6_10260:                            ;   in Loop: Header=BB6_9353 Depth=3
	v_lshrrev_b16 v48, 3, v20
	v_lshlrev_b32_e32 v51, 24, v20
	s_delay_alu instid0(VALU_DEP_2) | instskip(NEXT) | instid1(VALU_DEP_1)
	v_and_b32_e32 v48, 15, v48
	v_cmp_eq_u32_e32 vcc_lo, 0, v48
	v_and_b32_e32 v27, 7, v20
	s_delay_alu instid0(VALU_DEP_1) | instskip(NEXT) | instid1(VALU_DEP_1)
	v_clz_i32_u32_e32 v34, v27
	v_min_u32_e32 v34, 32, v34
	s_delay_alu instid0(VALU_DEP_1) | instskip(SKIP_1) | instid1(VALU_DEP_1)
	v_subrev_nc_u32_e32 v37, 28, v34
	v_sub_nc_u32_e32 v34, 29, v34
	v_dual_cndmask_b32 v34, v48, v34 :: v_dual_lshlrev_b32 v37, v37, v20
	s_delay_alu instid0(VALU_DEP_1) | instskip(NEXT) | instid1(VALU_DEP_2)
	v_and_b32_e32 v37, 7, v37
	v_lshl_add_u32 v34, v34, 23, 0x3b800000
	s_delay_alu instid0(VALU_DEP_2) | instskip(SKIP_1) | instid1(VALU_DEP_2)
	v_cndmask_b32_e32 v27, v27, v37, vcc_lo
	v_and_b32_e32 v37, 0x80000000, v51
	v_lshlrev_b32_e32 v27, 20, v27
	s_delay_alu instid0(VALU_DEP_1)
	v_or3_b32 v27, v37, v34, v27
.LBB6_10261:                            ;   in Loop: Header=BB6_9353 Depth=3
	s_or_b32 exec_lo, exec_lo, s31
	s_delay_alu instid0(VALU_DEP_1) | instskip(SKIP_1) | instid1(VALU_DEP_1)
	v_dual_max_f32 v27, v27, v27 :: v_dual_max_f32 v24, v24, v24
	s_mov_b32 s13, 0
	v_max_f32_e32 v24, v24, v27
	s_branch .LBB6_10263
.LBB6_10262:                            ;   in Loop: Header=BB6_9353 Depth=3
	s_mov_b32 s13, -1
                                        ; implicit-def: $vgpr24
.LBB6_10263:                            ;   in Loop: Header=BB6_9353 Depth=3
	s_delay_alu instid0(SALU_CYCLE_1)
	s_and_b32 vcc_lo, exec_lo, s13
	s_cbranch_vccz .LBB6_10273
; %bb.10264:                            ;   in Loop: Header=BB6_9353 Depth=3
	v_and_b32_e32 v27, 0xff, v21
	s_mov_b32 s13, 0
	s_mov_b32 s34, exec_lo
                                        ; implicit-def: $sgpr31
	s_delay_alu instid0(VALU_DEP_1)
	v_cmpx_lt_i16_e32 0x7f, v27
	s_xor_b32 s34, exec_lo, s34
	s_cbranch_execnz .LBB6_10783
; %bb.10265:                            ;   in Loop: Header=BB6_9353 Depth=3
	s_or_saveexec_b32 s34, s34
	v_mov_b32_e32 v24, s31
	s_xor_b32 exec_lo, exec_lo, s34
	s_cbranch_execnz .LBB6_10786
.LBB6_10266:                            ;   in Loop: Header=BB6_9353 Depth=3
	s_or_b32 exec_lo, exec_lo, s34
	s_and_saveexec_b32 s31, s13
	s_cbranch_execz .LBB6_10268
.LBB6_10267:                            ;   in Loop: Header=BB6_9353 Depth=3
	v_lshrrev_b16 v37, 3, v21
	s_delay_alu instid0(VALU_DEP_1) | instskip(NEXT) | instid1(VALU_DEP_1)
	v_and_b32_e32 v37, 15, v37
	v_cmp_eq_u32_e32 vcc_lo, 0, v37
	v_and_b32_e32 v24, 7, v21
	s_delay_alu instid0(VALU_DEP_1) | instskip(NEXT) | instid1(VALU_DEP_1)
	v_clz_i32_u32_e32 v27, v24
	v_min_u32_e32 v27, 32, v27
	s_delay_alu instid0(VALU_DEP_1) | instskip(SKIP_1) | instid1(VALU_DEP_1)
	v_subrev_nc_u32_e32 v34, 28, v27
	v_sub_nc_u32_e32 v27, 29, v27
	v_dual_cndmask_b32 v27, v37, v27 :: v_dual_lshlrev_b32 v34, v34, v21
	v_lshlrev_b32_e32 v21, 24, v21
	s_delay_alu instid0(VALU_DEP_2) | instskip(NEXT) | instid1(VALU_DEP_3)
	v_and_b32_e32 v34, 7, v34
	v_lshl_add_u32 v27, v27, 23, 0x3b800000
	s_delay_alu instid0(VALU_DEP_2) | instskip(NEXT) | instid1(VALU_DEP_1)
	v_dual_cndmask_b32 v24, v24, v34 :: v_dual_and_b32 v21, 0x80000000, v21
	v_lshlrev_b32_e32 v24, 20, v24
	s_delay_alu instid0(VALU_DEP_1)
	v_or3_b32 v24, v21, v27, v24
.LBB6_10268:                            ;   in Loop: Header=BB6_9353 Depth=3
	s_or_b32 exec_lo, exec_lo, s31
	s_waitcnt vmcnt(0) lgkmcnt(0)
	v_and_b32_e32 v27, 0xff, v20
	s_mov_b32 s13, 0
	s_mov_b32 s34, exec_lo
                                        ; implicit-def: $sgpr31
	s_delay_alu instid0(VALU_DEP_1)
	v_cmpx_lt_i16_e32 0x7f, v27
	s_xor_b32 s34, exec_lo, s34
	s_cbranch_execnz .LBB6_10787
; %bb.10269:                            ;   in Loop: Header=BB6_9353 Depth=3
	s_or_saveexec_b32 s34, s34
	v_mov_b32_e32 v21, s31
	s_xor_b32 exec_lo, exec_lo, s34
	s_cbranch_execnz .LBB6_10790
.LBB6_10270:                            ;   in Loop: Header=BB6_9353 Depth=3
	s_or_b32 exec_lo, exec_lo, s34
	s_and_saveexec_b32 s31, s13
	s_cbranch_execz .LBB6_10272
.LBB6_10271:                            ;   in Loop: Header=BB6_9353 Depth=3
	v_and_b32_e32 v21, 7, v20
	v_lshrrev_b16 v37, 3, v20
	s_delay_alu instid0(VALU_DEP_2) | instskip(NEXT) | instid1(VALU_DEP_2)
	v_clz_i32_u32_e32 v27, v21
	v_and_b32_e32 v37, 15, v37
	s_delay_alu instid0(VALU_DEP_2) | instskip(NEXT) | instid1(VALU_DEP_2)
	v_min_u32_e32 v27, 32, v27
	v_cmp_eq_u32_e32 vcc_lo, 0, v37
	s_delay_alu instid0(VALU_DEP_2) | instskip(SKIP_1) | instid1(VALU_DEP_1)
	v_subrev_nc_u32_e32 v34, 28, v27
	v_sub_nc_u32_e32 v27, 29, v27
	v_dual_cndmask_b32 v27, v37, v27 :: v_dual_lshlrev_b32 v34, v34, v20
	s_delay_alu instid0(VALU_DEP_1) | instskip(SKIP_1) | instid1(VALU_DEP_3)
	v_and_b32_e32 v34, 7, v34
	v_lshlrev_b32_e32 v20, 24, v20
	v_lshl_add_u32 v27, v27, 23, 0x3b800000
	s_delay_alu instid0(VALU_DEP_2) | instskip(NEXT) | instid1(VALU_DEP_1)
	v_dual_cndmask_b32 v21, v21, v34 :: v_dual_and_b32 v20, 0x80000000, v20
	v_lshlrev_b32_e32 v21, 20, v21
	s_delay_alu instid0(VALU_DEP_1)
	v_or3_b32 v21, v20, v27, v21
.LBB6_10272:                            ;   in Loop: Header=BB6_9353 Depth=3
	s_or_b32 exec_lo, exec_lo, s31
	s_delay_alu instid0(VALU_DEP_1) | instskip(NEXT) | instid1(VALU_DEP_1)
	v_dual_max_f32 v20, v21, v21 :: v_dual_max_f32 v21, v24, v24
	v_min_f32_e32 v24, v21, v20
.LBB6_10273:                            ;   in Loop: Header=BB6_9353 Depth=3
	s_waitcnt vmcnt(0) lgkmcnt(0)
	s_delay_alu instid0(VALU_DEP_1) | instskip(NEXT) | instid1(VALU_DEP_1)
	v_and_b32_e32 v20, 0x7f800000, v24
	v_cmp_ne_u32_e32 vcc_lo, 0x7f800000, v20
	v_mov_b32_e32 v20, 0x80
	s_and_saveexec_b32 s31, vcc_lo
	s_cbranch_execz .LBB6_9352
; %bb.10274:                            ;   in Loop: Header=BB6_9353 Depth=3
	v_mov_b32_e32 v20, 0
	s_mov_b32 s34, exec_lo
	v_cmpx_ne_u32_e32 0, v24
	s_cbranch_execz .LBB6_9351
; %bb.10275:                            ;   in Loop: Header=BB6_9353 Depth=3
	v_bfe_u32 v20, v24, 23, 8
	v_and_b32_e32 v21, 0x7fffff, v24
	s_delay_alu instid0(VALU_DEP_2) | instskip(SKIP_1) | instid1(VALU_DEP_3)
	v_sub_nc_u32_e32 v27, 0x78, v20
	v_cmp_gt_u32_e32 vcc_lo, 0x79, v20
	v_or_b32_e32 v34, 0x800000, v21
	s_delay_alu instid0(VALU_DEP_3) | instskip(SKIP_2) | instid1(VALU_DEP_3)
	v_cndmask_b32_e32 v27, 0, v27, vcc_lo
	v_cmp_eq_u32_e32 vcc_lo, 0, v20
	v_add_nc_u32_e32 v20, 0xffffff89, v20
	v_cndmask_b32_e64 v27, v27, 0x77, vcc_lo
	v_cndmask_b32_e32 v21, v34, v21, vcc_lo
	s_delay_alu instid0(VALU_DEP_3) | instskip(NEXT) | instid1(VALU_DEP_3)
	v_cndmask_b32_e64 v20, v20, 0xffffff8a, vcc_lo
	v_lshl_add_u32 v34, 0x100000, v27, -1
	s_delay_alu instid0(VALU_DEP_3) | instskip(SKIP_1) | instid1(VALU_DEP_4)
	v_lshrrev_b32_e32 v37, v27, v21
	v_lshlrev_b32_e64 v51, v27, 0x80000
	v_add_nc_u32_e32 v27, v27, v20
	s_delay_alu instid0(VALU_DEP_4) | instskip(NEXT) | instid1(VALU_DEP_4)
	v_and_b32_e32 v21, v34, v21
	v_bfe_u32 v48, v37, 20, 1
	s_delay_alu instid0(VALU_DEP_2) | instskip(NEXT) | instid1(VALU_DEP_2)
	v_cmp_eq_u32_e64 s13, v21, v51
	v_add_nc_u32_e32 v34, -1, v48
	s_delay_alu instid0(VALU_DEP_1) | instskip(SKIP_2) | instid1(VALU_DEP_2)
	v_cndmask_b32_e64 v21, 0, v34, s13
	v_lshrrev_b32_e32 v34, 23, v37
	s_mov_b32 s13, exec_lo
	v_add_nc_u32_e32 v21, v21, v37
	s_delay_alu instid0(VALU_DEP_2) | instskip(NEXT) | instid1(VALU_DEP_2)
	v_xor_b32_e32 v34, 1, v34
	v_and_b32_e32 v20, 0xfffff, v21
	s_delay_alu instid0(VALU_DEP_1) | instskip(NEXT) | instid1(VALU_DEP_3)
	v_add_nc_u32_e32 v21, v20, v37
                                        ; implicit-def: $vgpr20
	v_cmpx_ne_u32_e64 v27, v34
	s_xor_b32 s13, exec_lo, s13
; %bb.10276:                            ;   in Loop: Header=BB6_9353 Depth=3
	s_delay_alu instid0(VALU_DEP_2) | instskip(SKIP_2) | instid1(VALU_DEP_2)
	v_cmp_lt_u32_e32 vcc_lo, 0xffffff, v21
	v_sub_nc_u32_e32 v20, v27, v34
	v_cndmask_b32_e64 v27, 0, 1, vcc_lo
	v_add_co_ci_u32_e32 v20, vcc_lo, 0, v20, vcc_lo
	s_delay_alu instid0(VALU_DEP_2)
	v_lshrrev_b32_e32 v21, v27, v21
; %bb.10277:                            ;   in Loop: Header=BB6_9353 Depth=3
	s_and_not1_saveexec_b32 s13, s13
	s_cbranch_execz .LBB6_9350
; %bb.10278:                            ;   in Loop: Header=BB6_9353 Depth=3
	s_delay_alu instid0(VALU_DEP_1)
	v_bfe_u32 v20, v21, 23, 1
	s_branch .LBB6_9350
.LBB6_10279:                            ;   in Loop: Header=BB6_9353 Depth=3
	s_mov_b32 s13, -1
	s_mov_b32 s35, exec_lo
                                        ; implicit-def: $sgpr31
	v_cmpx_eq_u16_e32 0x80, v108
; %bb.10280:                            ;   in Loop: Header=BB6_9353 Depth=3
	s_mov_b32 s31, 0x7f800001
	s_xor_b32 s13, exec_lo, -1
; %bb.10281:                            ;   in Loop: Header=BB6_9353 Depth=3
	s_or_b32 exec_lo, exec_lo, s35
	s_delay_alu instid0(SALU_CYCLE_1)
	s_and_b32 s13, s13, exec_lo
                                        ; implicit-def: $vgpr108
	s_or_saveexec_b32 s34, s34
	v_mov_b32_e32 v107, s31
	s_xor_b32 exec_lo, exec_lo, s34
	s_cbranch_execz .LBB6_9356
.LBB6_10282:                            ;   in Loop: Header=BB6_9353 Depth=3
	v_cmp_ne_u16_e32 vcc_lo, 0, v108
	v_mov_b32_e32 v107, 0
	s_and_not1_b32 s13, s13, exec_lo
	s_and_b32 vcc_lo, vcc_lo, exec_lo
	s_delay_alu instid0(SALU_CYCLE_1)
	s_or_b32 s13, s13, vcc_lo
	s_or_b32 exec_lo, exec_lo, s34
	s_and_saveexec_b32 s31, s13
	s_cbranch_execnz .LBB6_9357
	s_branch .LBB6_9358
.LBB6_10283:                            ;   in Loop: Header=BB6_9353 Depth=3
	s_mov_b32 s13, -1
	s_mov_b32 s35, exec_lo
                                        ; implicit-def: $sgpr31
	v_cmpx_eq_u16_e32 0x80, v109
; %bb.10284:                            ;   in Loop: Header=BB6_9353 Depth=3
	s_mov_b32 s31, 0x7f800001
	s_xor_b32 s13, exec_lo, -1
; %bb.10285:                            ;   in Loop: Header=BB6_9353 Depth=3
	s_or_b32 exec_lo, exec_lo, s35
	s_delay_alu instid0(SALU_CYCLE_1)
	s_and_b32 s13, s13, exec_lo
                                        ; implicit-def: $vgpr109
	s_or_saveexec_b32 s34, s34
	v_mov_b32_e32 v108, s31
	s_xor_b32 exec_lo, exec_lo, s34
	s_cbranch_execz .LBB6_9360
.LBB6_10286:                            ;   in Loop: Header=BB6_9353 Depth=3
	v_cmp_ne_u16_e32 vcc_lo, 0, v109
	v_mov_b32_e32 v108, 0
	s_and_not1_b32 s13, s13, exec_lo
	s_and_b32 vcc_lo, vcc_lo, exec_lo
	s_delay_alu instid0(SALU_CYCLE_1)
	s_or_b32 s13, s13, vcc_lo
	s_or_b32 exec_lo, exec_lo, s34
	s_and_saveexec_b32 s31, s13
	s_cbranch_execnz .LBB6_9361
	s_branch .LBB6_9362
.LBB6_10287:                            ;   in Loop: Header=BB6_9353 Depth=3
	s_mov_b32 s13, -1
	s_mov_b32 s35, exec_lo
                                        ; implicit-def: $sgpr31
	v_cmpx_eq_u16_e32 0x80, v108
; %bb.10288:                            ;   in Loop: Header=BB6_9353 Depth=3
	s_mov_b32 s31, 0x7f800001
	s_xor_b32 s13, exec_lo, -1
; %bb.10289:                            ;   in Loop: Header=BB6_9353 Depth=3
	s_or_b32 exec_lo, exec_lo, s35
	s_delay_alu instid0(SALU_CYCLE_1)
	s_and_b32 s13, s13, exec_lo
                                        ; implicit-def: $vgpr108
	s_or_saveexec_b32 s34, s34
	v_mov_b32_e32 v107, s31
	s_xor_b32 exec_lo, exec_lo, s34
	s_cbranch_execz .LBB6_9367
.LBB6_10290:                            ;   in Loop: Header=BB6_9353 Depth=3
	v_cmp_ne_u16_e32 vcc_lo, 0, v108
	v_mov_b32_e32 v107, 0
	s_and_not1_b32 s13, s13, exec_lo
	s_and_b32 vcc_lo, vcc_lo, exec_lo
	s_delay_alu instid0(SALU_CYCLE_1)
	s_or_b32 s13, s13, vcc_lo
	s_or_b32 exec_lo, exec_lo, s34
	s_and_saveexec_b32 s31, s13
	s_cbranch_execnz .LBB6_9368
	s_branch .LBB6_9369
.LBB6_10291:                            ;   in Loop: Header=BB6_9353 Depth=3
	s_mov_b32 s13, -1
	s_mov_b32 s35, exec_lo
                                        ; implicit-def: $sgpr31
	v_cmpx_eq_u16_e32 0x80, v108
; %bb.10292:                            ;   in Loop: Header=BB6_9353 Depth=3
	s_mov_b32 s31, 0x7f800001
	s_xor_b32 s13, exec_lo, -1
; %bb.10293:                            ;   in Loop: Header=BB6_9353 Depth=3
	s_or_b32 exec_lo, exec_lo, s35
	s_delay_alu instid0(SALU_CYCLE_1)
	s_and_b32 s13, s13, exec_lo
                                        ; implicit-def: $vgpr108
	s_or_saveexec_b32 s34, s34
	v_mov_b32_e32 v106, s31
	s_xor_b32 exec_lo, exec_lo, s34
	s_cbranch_execz .LBB6_9371
.LBB6_10294:                            ;   in Loop: Header=BB6_9353 Depth=3
	v_cmp_ne_u16_e32 vcc_lo, 0, v108
	v_mov_b32_e32 v106, 0
	s_and_not1_b32 s13, s13, exec_lo
	s_and_b32 vcc_lo, vcc_lo, exec_lo
	s_delay_alu instid0(SALU_CYCLE_1)
	s_or_b32 s13, s13, vcc_lo
	s_or_b32 exec_lo, exec_lo, s34
	s_and_saveexec_b32 s31, s13
	s_cbranch_execnz .LBB6_9372
	s_branch .LBB6_9373
.LBB6_10295:                            ;   in Loop: Header=BB6_9353 Depth=3
	s_mov_b32 s13, -1
	s_mov_b32 s35, exec_lo
                                        ; implicit-def: $sgpr31
	v_cmpx_eq_u16_e32 0x80, v107
; %bb.10296:                            ;   in Loop: Header=BB6_9353 Depth=3
	s_mov_b32 s31, 0x7f800001
	s_xor_b32 s13, exec_lo, -1
; %bb.10297:                            ;   in Loop: Header=BB6_9353 Depth=3
	s_or_b32 exec_lo, exec_lo, s35
	s_delay_alu instid0(SALU_CYCLE_1)
	s_and_b32 s13, s13, exec_lo
                                        ; implicit-def: $vgpr107
	s_or_saveexec_b32 s34, s34
	v_mov_b32_e32 v106, s31
	s_xor_b32 exec_lo, exec_lo, s34
	s_cbranch_execz .LBB6_9385
.LBB6_10298:                            ;   in Loop: Header=BB6_9353 Depth=3
	v_cmp_ne_u16_e32 vcc_lo, 0, v107
	v_mov_b32_e32 v106, 0
	s_and_not1_b32 s13, s13, exec_lo
	s_and_b32 vcc_lo, vcc_lo, exec_lo
	s_delay_alu instid0(SALU_CYCLE_1)
	s_or_b32 s13, s13, vcc_lo
	s_or_b32 exec_lo, exec_lo, s34
	s_and_saveexec_b32 s31, s13
	s_cbranch_execnz .LBB6_9386
	s_branch .LBB6_9387
.LBB6_10299:                            ;   in Loop: Header=BB6_9353 Depth=3
	s_mov_b32 s13, -1
	s_mov_b32 s35, exec_lo
                                        ; implicit-def: $sgpr31
	v_cmpx_eq_u16_e32 0x80, v108
; %bb.10300:                            ;   in Loop: Header=BB6_9353 Depth=3
	s_mov_b32 s31, 0x7f800001
	s_xor_b32 s13, exec_lo, -1
; %bb.10301:                            ;   in Loop: Header=BB6_9353 Depth=3
	s_or_b32 exec_lo, exec_lo, s35
	s_delay_alu instid0(SALU_CYCLE_1)
	s_and_b32 s13, s13, exec_lo
                                        ; implicit-def: $vgpr108
	s_or_saveexec_b32 s34, s34
	v_mov_b32_e32 v107, s31
	s_xor_b32 exec_lo, exec_lo, s34
	s_cbranch_execz .LBB6_9389
.LBB6_10302:                            ;   in Loop: Header=BB6_9353 Depth=3
	v_cmp_ne_u16_e32 vcc_lo, 0, v108
	v_mov_b32_e32 v107, 0
	s_and_not1_b32 s13, s13, exec_lo
	s_and_b32 vcc_lo, vcc_lo, exec_lo
	s_delay_alu instid0(SALU_CYCLE_1)
	s_or_b32 s13, s13, vcc_lo
	s_or_b32 exec_lo, exec_lo, s34
	s_and_saveexec_b32 s31, s13
	s_cbranch_execnz .LBB6_9390
	s_branch .LBB6_9391
.LBB6_10303:                            ;   in Loop: Header=BB6_9353 Depth=3
	s_mov_b32 s13, -1
	s_mov_b32 s35, exec_lo
                                        ; implicit-def: $sgpr31
	v_cmpx_eq_u16_e32 0x80, v107
; %bb.10304:                            ;   in Loop: Header=BB6_9353 Depth=3
	s_mov_b32 s31, 0x7f800001
	s_xor_b32 s13, exec_lo, -1
; %bb.10305:                            ;   in Loop: Header=BB6_9353 Depth=3
	s_or_b32 exec_lo, exec_lo, s35
	s_delay_alu instid0(SALU_CYCLE_1)
	s_and_b32 s13, s13, exec_lo
                                        ; implicit-def: $vgpr107
	s_or_saveexec_b32 s34, s34
	v_mov_b32_e32 v106, s31
	s_xor_b32 exec_lo, exec_lo, s34
	s_cbranch_execz .LBB6_9396
.LBB6_10306:                            ;   in Loop: Header=BB6_9353 Depth=3
	v_cmp_ne_u16_e32 vcc_lo, 0, v107
	v_mov_b32_e32 v106, 0
	s_and_not1_b32 s13, s13, exec_lo
	s_and_b32 vcc_lo, vcc_lo, exec_lo
	s_delay_alu instid0(SALU_CYCLE_1)
	s_or_b32 s13, s13, vcc_lo
	s_or_b32 exec_lo, exec_lo, s34
	s_and_saveexec_b32 s31, s13
	s_cbranch_execnz .LBB6_9397
	s_branch .LBB6_9398
.LBB6_10307:                            ;   in Loop: Header=BB6_9353 Depth=3
	s_mov_b32 s13, -1
	s_mov_b32 s35, exec_lo
                                        ; implicit-def: $sgpr31
	v_cmpx_eq_u16_e32 0x80, v107
; %bb.10308:                            ;   in Loop: Header=BB6_9353 Depth=3
	s_mov_b32 s31, 0x7f800001
	s_xor_b32 s13, exec_lo, -1
; %bb.10309:                            ;   in Loop: Header=BB6_9353 Depth=3
	s_or_b32 exec_lo, exec_lo, s35
	s_delay_alu instid0(SALU_CYCLE_1)
	s_and_b32 s13, s13, exec_lo
                                        ; implicit-def: $vgpr107
	s_or_saveexec_b32 s34, s34
	v_mov_b32_e32 v105, s31
	s_xor_b32 exec_lo, exec_lo, s34
	s_cbranch_execz .LBB6_9400
.LBB6_10310:                            ;   in Loop: Header=BB6_9353 Depth=3
	v_cmp_ne_u16_e32 vcc_lo, 0, v107
	v_mov_b32_e32 v105, 0
	s_and_not1_b32 s13, s13, exec_lo
	s_and_b32 vcc_lo, vcc_lo, exec_lo
	s_delay_alu instid0(SALU_CYCLE_1)
	s_or_b32 s13, s13, vcc_lo
	s_or_b32 exec_lo, exec_lo, s34
	s_and_saveexec_b32 s31, s13
	s_cbranch_execnz .LBB6_9401
	s_branch .LBB6_9402
.LBB6_10311:                            ;   in Loop: Header=BB6_9353 Depth=3
	s_mov_b32 s13, -1
	s_mov_b32 s35, exec_lo
                                        ; implicit-def: $sgpr31
	v_cmpx_eq_u16_e32 0x80, v106
; %bb.10312:                            ;   in Loop: Header=BB6_9353 Depth=3
	s_mov_b32 s31, 0x7f800001
	s_xor_b32 s13, exec_lo, -1
; %bb.10313:                            ;   in Loop: Header=BB6_9353 Depth=3
	s_or_b32 exec_lo, exec_lo, s35
	s_delay_alu instid0(SALU_CYCLE_1)
	s_and_b32 s13, s13, exec_lo
                                        ; implicit-def: $vgpr106
	s_or_saveexec_b32 s34, s34
	v_mov_b32_e32 v105, s31
	s_xor_b32 exec_lo, exec_lo, s34
	s_cbranch_execz .LBB6_9414
.LBB6_10314:                            ;   in Loop: Header=BB6_9353 Depth=3
	v_cmp_ne_u16_e32 vcc_lo, 0, v106
	v_mov_b32_e32 v105, 0
	s_and_not1_b32 s13, s13, exec_lo
	s_and_b32 vcc_lo, vcc_lo, exec_lo
	s_delay_alu instid0(SALU_CYCLE_1)
	s_or_b32 s13, s13, vcc_lo
	s_or_b32 exec_lo, exec_lo, s34
	s_and_saveexec_b32 s31, s13
	s_cbranch_execnz .LBB6_9415
	s_branch .LBB6_9416
.LBB6_10315:                            ;   in Loop: Header=BB6_9353 Depth=3
	s_mov_b32 s13, -1
	s_mov_b32 s35, exec_lo
                                        ; implicit-def: $sgpr31
	v_cmpx_eq_u16_e32 0x80, v107
; %bb.10316:                            ;   in Loop: Header=BB6_9353 Depth=3
	s_mov_b32 s31, 0x7f800001
	s_xor_b32 s13, exec_lo, -1
; %bb.10317:                            ;   in Loop: Header=BB6_9353 Depth=3
	s_or_b32 exec_lo, exec_lo, s35
	s_delay_alu instid0(SALU_CYCLE_1)
	s_and_b32 s13, s13, exec_lo
                                        ; implicit-def: $vgpr107
	s_or_saveexec_b32 s34, s34
	v_mov_b32_e32 v106, s31
	s_xor_b32 exec_lo, exec_lo, s34
	s_cbranch_execz .LBB6_9418
.LBB6_10318:                            ;   in Loop: Header=BB6_9353 Depth=3
	v_cmp_ne_u16_e32 vcc_lo, 0, v107
	v_mov_b32_e32 v106, 0
	s_and_not1_b32 s13, s13, exec_lo
	s_and_b32 vcc_lo, vcc_lo, exec_lo
	s_delay_alu instid0(SALU_CYCLE_1)
	s_or_b32 s13, s13, vcc_lo
	s_or_b32 exec_lo, exec_lo, s34
	s_and_saveexec_b32 s31, s13
	s_cbranch_execnz .LBB6_9419
	s_branch .LBB6_9420
.LBB6_10319:                            ;   in Loop: Header=BB6_9353 Depth=3
	s_mov_b32 s13, -1
	s_mov_b32 s35, exec_lo
                                        ; implicit-def: $sgpr31
	v_cmpx_eq_u16_e32 0x80, v106
; %bb.10320:                            ;   in Loop: Header=BB6_9353 Depth=3
	s_mov_b32 s31, 0x7f800001
	s_xor_b32 s13, exec_lo, -1
; %bb.10321:                            ;   in Loop: Header=BB6_9353 Depth=3
	s_or_b32 exec_lo, exec_lo, s35
	s_delay_alu instid0(SALU_CYCLE_1)
	s_and_b32 s13, s13, exec_lo
                                        ; implicit-def: $vgpr106
	s_or_saveexec_b32 s34, s34
	v_mov_b32_e32 v105, s31
	s_xor_b32 exec_lo, exec_lo, s34
	s_cbranch_execz .LBB6_9425
.LBB6_10322:                            ;   in Loop: Header=BB6_9353 Depth=3
	v_cmp_ne_u16_e32 vcc_lo, 0, v106
	v_mov_b32_e32 v105, 0
	s_and_not1_b32 s13, s13, exec_lo
	s_and_b32 vcc_lo, vcc_lo, exec_lo
	s_delay_alu instid0(SALU_CYCLE_1)
	s_or_b32 s13, s13, vcc_lo
	s_or_b32 exec_lo, exec_lo, s34
	s_and_saveexec_b32 s31, s13
	s_cbranch_execnz .LBB6_9426
	s_branch .LBB6_9427
.LBB6_10323:                            ;   in Loop: Header=BB6_9353 Depth=3
	s_mov_b32 s13, -1
	s_mov_b32 s35, exec_lo
                                        ; implicit-def: $sgpr31
	v_cmpx_eq_u16_e32 0x80, v106
; %bb.10324:                            ;   in Loop: Header=BB6_9353 Depth=3
	s_mov_b32 s31, 0x7f800001
	s_xor_b32 s13, exec_lo, -1
; %bb.10325:                            ;   in Loop: Header=BB6_9353 Depth=3
	s_or_b32 exec_lo, exec_lo, s35
	s_delay_alu instid0(SALU_CYCLE_1)
	s_and_b32 s13, s13, exec_lo
                                        ; implicit-def: $vgpr106
	s_or_saveexec_b32 s34, s34
	v_mov_b32_e32 v104, s31
	s_xor_b32 exec_lo, exec_lo, s34
	s_cbranch_execz .LBB6_9429
.LBB6_10326:                            ;   in Loop: Header=BB6_9353 Depth=3
	v_cmp_ne_u16_e32 vcc_lo, 0, v106
	v_mov_b32_e32 v104, 0
	s_and_not1_b32 s13, s13, exec_lo
	s_and_b32 vcc_lo, vcc_lo, exec_lo
	s_delay_alu instid0(SALU_CYCLE_1)
	s_or_b32 s13, s13, vcc_lo
	s_or_b32 exec_lo, exec_lo, s34
	s_and_saveexec_b32 s31, s13
	s_cbranch_execnz .LBB6_9430
	s_branch .LBB6_9431
.LBB6_10327:                            ;   in Loop: Header=BB6_9353 Depth=3
	s_mov_b32 s13, -1
	s_mov_b32 s35, exec_lo
                                        ; implicit-def: $sgpr31
	v_cmpx_eq_u16_e32 0x80, v105
; %bb.10328:                            ;   in Loop: Header=BB6_9353 Depth=3
	s_mov_b32 s31, 0x7f800001
	s_xor_b32 s13, exec_lo, -1
; %bb.10329:                            ;   in Loop: Header=BB6_9353 Depth=3
	s_or_b32 exec_lo, exec_lo, s35
	s_delay_alu instid0(SALU_CYCLE_1)
	s_and_b32 s13, s13, exec_lo
                                        ; implicit-def: $vgpr105
	s_or_saveexec_b32 s34, s34
	v_mov_b32_e32 v104, s31
	s_xor_b32 exec_lo, exec_lo, s34
	s_cbranch_execz .LBB6_9443
.LBB6_10330:                            ;   in Loop: Header=BB6_9353 Depth=3
	v_cmp_ne_u16_e32 vcc_lo, 0, v105
	v_mov_b32_e32 v104, 0
	s_and_not1_b32 s13, s13, exec_lo
	s_and_b32 vcc_lo, vcc_lo, exec_lo
	s_delay_alu instid0(SALU_CYCLE_1)
	s_or_b32 s13, s13, vcc_lo
	s_or_b32 exec_lo, exec_lo, s34
	s_and_saveexec_b32 s31, s13
	s_cbranch_execnz .LBB6_9444
	s_branch .LBB6_9445
.LBB6_10331:                            ;   in Loop: Header=BB6_9353 Depth=3
	s_mov_b32 s13, -1
	s_mov_b32 s35, exec_lo
                                        ; implicit-def: $sgpr31
	v_cmpx_eq_u16_e32 0x80, v106
; %bb.10332:                            ;   in Loop: Header=BB6_9353 Depth=3
	s_mov_b32 s31, 0x7f800001
	s_xor_b32 s13, exec_lo, -1
; %bb.10333:                            ;   in Loop: Header=BB6_9353 Depth=3
	s_or_b32 exec_lo, exec_lo, s35
	s_delay_alu instid0(SALU_CYCLE_1)
	s_and_b32 s13, s13, exec_lo
                                        ; implicit-def: $vgpr106
	s_or_saveexec_b32 s34, s34
	v_mov_b32_e32 v105, s31
	s_xor_b32 exec_lo, exec_lo, s34
	s_cbranch_execz .LBB6_9447
.LBB6_10334:                            ;   in Loop: Header=BB6_9353 Depth=3
	v_cmp_ne_u16_e32 vcc_lo, 0, v106
	v_mov_b32_e32 v105, 0
	s_and_not1_b32 s13, s13, exec_lo
	s_and_b32 vcc_lo, vcc_lo, exec_lo
	s_delay_alu instid0(SALU_CYCLE_1)
	s_or_b32 s13, s13, vcc_lo
	s_or_b32 exec_lo, exec_lo, s34
	s_and_saveexec_b32 s31, s13
	s_cbranch_execnz .LBB6_9448
	s_branch .LBB6_9449
.LBB6_10335:                            ;   in Loop: Header=BB6_9353 Depth=3
	s_mov_b32 s13, -1
	s_mov_b32 s35, exec_lo
                                        ; implicit-def: $sgpr31
	v_cmpx_eq_u16_e32 0x80, v105
; %bb.10336:                            ;   in Loop: Header=BB6_9353 Depth=3
	s_mov_b32 s31, 0x7f800001
	s_xor_b32 s13, exec_lo, -1
; %bb.10337:                            ;   in Loop: Header=BB6_9353 Depth=3
	s_or_b32 exec_lo, exec_lo, s35
	s_delay_alu instid0(SALU_CYCLE_1)
	s_and_b32 s13, s13, exec_lo
                                        ; implicit-def: $vgpr105
	s_or_saveexec_b32 s34, s34
	v_mov_b32_e32 v104, s31
	s_xor_b32 exec_lo, exec_lo, s34
	s_cbranch_execz .LBB6_9454
.LBB6_10338:                            ;   in Loop: Header=BB6_9353 Depth=3
	v_cmp_ne_u16_e32 vcc_lo, 0, v105
	v_mov_b32_e32 v104, 0
	s_and_not1_b32 s13, s13, exec_lo
	s_and_b32 vcc_lo, vcc_lo, exec_lo
	s_delay_alu instid0(SALU_CYCLE_1)
	s_or_b32 s13, s13, vcc_lo
	s_or_b32 exec_lo, exec_lo, s34
	s_and_saveexec_b32 s31, s13
	s_cbranch_execnz .LBB6_9455
	s_branch .LBB6_9456
.LBB6_10339:                            ;   in Loop: Header=BB6_9353 Depth=3
	s_mov_b32 s13, -1
	s_mov_b32 s35, exec_lo
                                        ; implicit-def: $sgpr31
	v_cmpx_eq_u16_e32 0x80, v105
; %bb.10340:                            ;   in Loop: Header=BB6_9353 Depth=3
	s_mov_b32 s31, 0x7f800001
	s_xor_b32 s13, exec_lo, -1
; %bb.10341:                            ;   in Loop: Header=BB6_9353 Depth=3
	s_or_b32 exec_lo, exec_lo, s35
	s_delay_alu instid0(SALU_CYCLE_1)
	s_and_b32 s13, s13, exec_lo
                                        ; implicit-def: $vgpr105
	s_or_saveexec_b32 s34, s34
	v_mov_b32_e32 v95, s31
	s_xor_b32 exec_lo, exec_lo, s34
	s_cbranch_execz .LBB6_9458
.LBB6_10342:                            ;   in Loop: Header=BB6_9353 Depth=3
	v_cmp_ne_u16_e32 vcc_lo, 0, v105
	v_mov_b32_e32 v95, 0
	s_and_not1_b32 s13, s13, exec_lo
	s_and_b32 vcc_lo, vcc_lo, exec_lo
	s_delay_alu instid0(SALU_CYCLE_1)
	s_or_b32 s13, s13, vcc_lo
	s_or_b32 exec_lo, exec_lo, s34
	s_and_saveexec_b32 s31, s13
	s_cbranch_execnz .LBB6_9459
	s_branch .LBB6_9460
.LBB6_10343:                            ;   in Loop: Header=BB6_9353 Depth=3
	s_mov_b32 s13, -1
	s_mov_b32 s35, exec_lo
                                        ; implicit-def: $sgpr31
	v_cmpx_eq_u16_e32 0x80, v104
; %bb.10344:                            ;   in Loop: Header=BB6_9353 Depth=3
	s_mov_b32 s31, 0x7f800001
	s_xor_b32 s13, exec_lo, -1
; %bb.10345:                            ;   in Loop: Header=BB6_9353 Depth=3
	s_or_b32 exec_lo, exec_lo, s35
	s_delay_alu instid0(SALU_CYCLE_1)
	s_and_b32 s13, s13, exec_lo
                                        ; implicit-def: $vgpr104
	s_or_saveexec_b32 s34, s34
	v_mov_b32_e32 v95, s31
	s_xor_b32 exec_lo, exec_lo, s34
	s_cbranch_execz .LBB6_9472
.LBB6_10346:                            ;   in Loop: Header=BB6_9353 Depth=3
	v_cmp_ne_u16_e32 vcc_lo, 0, v104
	v_mov_b32_e32 v95, 0
	s_and_not1_b32 s13, s13, exec_lo
	s_and_b32 vcc_lo, vcc_lo, exec_lo
	s_delay_alu instid0(SALU_CYCLE_1)
	s_or_b32 s13, s13, vcc_lo
	s_or_b32 exec_lo, exec_lo, s34
	s_and_saveexec_b32 s31, s13
	s_cbranch_execnz .LBB6_9473
	s_branch .LBB6_9474
.LBB6_10347:                            ;   in Loop: Header=BB6_9353 Depth=3
	s_mov_b32 s13, -1
	s_mov_b32 s35, exec_lo
                                        ; implicit-def: $sgpr31
	v_cmpx_eq_u16_e32 0x80, v105
; %bb.10348:                            ;   in Loop: Header=BB6_9353 Depth=3
	s_mov_b32 s31, 0x7f800001
	s_xor_b32 s13, exec_lo, -1
; %bb.10349:                            ;   in Loop: Header=BB6_9353 Depth=3
	s_or_b32 exec_lo, exec_lo, s35
	s_delay_alu instid0(SALU_CYCLE_1)
	s_and_b32 s13, s13, exec_lo
                                        ; implicit-def: $vgpr105
	s_or_saveexec_b32 s34, s34
	v_mov_b32_e32 v104, s31
	s_xor_b32 exec_lo, exec_lo, s34
	s_cbranch_execz .LBB6_9476
.LBB6_10350:                            ;   in Loop: Header=BB6_9353 Depth=3
	v_cmp_ne_u16_e32 vcc_lo, 0, v105
	v_mov_b32_e32 v104, 0
	s_and_not1_b32 s13, s13, exec_lo
	s_and_b32 vcc_lo, vcc_lo, exec_lo
	s_delay_alu instid0(SALU_CYCLE_1)
	s_or_b32 s13, s13, vcc_lo
	s_or_b32 exec_lo, exec_lo, s34
	s_and_saveexec_b32 s31, s13
	s_cbranch_execnz .LBB6_9477
	s_branch .LBB6_9478
.LBB6_10351:                            ;   in Loop: Header=BB6_9353 Depth=3
	s_mov_b32 s13, -1
	s_mov_b32 s35, exec_lo
                                        ; implicit-def: $sgpr31
	v_cmpx_eq_u16_e32 0x80, v104
; %bb.10352:                            ;   in Loop: Header=BB6_9353 Depth=3
	s_mov_b32 s31, 0x7f800001
	s_xor_b32 s13, exec_lo, -1
; %bb.10353:                            ;   in Loop: Header=BB6_9353 Depth=3
	s_or_b32 exec_lo, exec_lo, s35
	s_delay_alu instid0(SALU_CYCLE_1)
	s_and_b32 s13, s13, exec_lo
                                        ; implicit-def: $vgpr104
	s_or_saveexec_b32 s34, s34
	v_mov_b32_e32 v95, s31
	s_xor_b32 exec_lo, exec_lo, s34
	s_cbranch_execz .LBB6_9483
.LBB6_10354:                            ;   in Loop: Header=BB6_9353 Depth=3
	v_cmp_ne_u16_e32 vcc_lo, 0, v104
	v_mov_b32_e32 v95, 0
	s_and_not1_b32 s13, s13, exec_lo
	s_and_b32 vcc_lo, vcc_lo, exec_lo
	s_delay_alu instid0(SALU_CYCLE_1)
	s_or_b32 s13, s13, vcc_lo
	s_or_b32 exec_lo, exec_lo, s34
	s_and_saveexec_b32 s31, s13
	s_cbranch_execnz .LBB6_9484
	s_branch .LBB6_9485
.LBB6_10355:                            ;   in Loop: Header=BB6_9353 Depth=3
	s_mov_b32 s13, -1
	s_mov_b32 s35, exec_lo
                                        ; implicit-def: $sgpr31
	v_cmpx_eq_u16_e32 0x80, v104
; %bb.10356:                            ;   in Loop: Header=BB6_9353 Depth=3
	s_mov_b32 s31, 0x7f800001
	s_xor_b32 s13, exec_lo, -1
; %bb.10357:                            ;   in Loop: Header=BB6_9353 Depth=3
	s_or_b32 exec_lo, exec_lo, s35
	s_delay_alu instid0(SALU_CYCLE_1)
	s_and_b32 s13, s13, exec_lo
                                        ; implicit-def: $vgpr104
	s_or_saveexec_b32 s34, s34
	v_mov_b32_e32 v94, s31
	s_xor_b32 exec_lo, exec_lo, s34
	s_cbranch_execz .LBB6_9487
.LBB6_10358:                            ;   in Loop: Header=BB6_9353 Depth=3
	v_cmp_ne_u16_e32 vcc_lo, 0, v104
	v_mov_b32_e32 v94, 0
	s_and_not1_b32 s13, s13, exec_lo
	s_and_b32 vcc_lo, vcc_lo, exec_lo
	s_delay_alu instid0(SALU_CYCLE_1)
	s_or_b32 s13, s13, vcc_lo
	s_or_b32 exec_lo, exec_lo, s34
	s_and_saveexec_b32 s31, s13
	s_cbranch_execnz .LBB6_9488
	s_branch .LBB6_9489
.LBB6_10359:                            ;   in Loop: Header=BB6_9353 Depth=3
	s_mov_b32 s13, -1
	s_mov_b32 s35, exec_lo
                                        ; implicit-def: $sgpr31
	v_cmpx_eq_u16_e32 0x80, v95
; %bb.10360:                            ;   in Loop: Header=BB6_9353 Depth=3
	s_mov_b32 s31, 0x7f800001
	s_xor_b32 s13, exec_lo, -1
; %bb.10361:                            ;   in Loop: Header=BB6_9353 Depth=3
	s_or_b32 exec_lo, exec_lo, s35
	s_delay_alu instid0(SALU_CYCLE_1)
	s_and_b32 s13, s13, exec_lo
                                        ; implicit-def: $vgpr95
	s_or_saveexec_b32 s34, s34
	v_mov_b32_e32 v94, s31
	s_xor_b32 exec_lo, exec_lo, s34
	s_cbranch_execz .LBB6_9501
.LBB6_10362:                            ;   in Loop: Header=BB6_9353 Depth=3
	v_cmp_ne_u16_e32 vcc_lo, 0, v95
	v_mov_b32_e32 v94, 0
	s_and_not1_b32 s13, s13, exec_lo
	s_and_b32 vcc_lo, vcc_lo, exec_lo
	s_delay_alu instid0(SALU_CYCLE_1)
	s_or_b32 s13, s13, vcc_lo
	s_or_b32 exec_lo, exec_lo, s34
	s_and_saveexec_b32 s31, s13
	s_cbranch_execnz .LBB6_9502
	s_branch .LBB6_9503
.LBB6_10363:                            ;   in Loop: Header=BB6_9353 Depth=3
	s_mov_b32 s13, -1
	s_mov_b32 s35, exec_lo
                                        ; implicit-def: $sgpr31
	v_cmpx_eq_u16_e32 0x80, v104
; %bb.10364:                            ;   in Loop: Header=BB6_9353 Depth=3
	s_mov_b32 s31, 0x7f800001
	s_xor_b32 s13, exec_lo, -1
; %bb.10365:                            ;   in Loop: Header=BB6_9353 Depth=3
	s_or_b32 exec_lo, exec_lo, s35
	s_delay_alu instid0(SALU_CYCLE_1)
	s_and_b32 s13, s13, exec_lo
                                        ; implicit-def: $vgpr104
	s_or_saveexec_b32 s34, s34
	v_mov_b32_e32 v95, s31
	s_xor_b32 exec_lo, exec_lo, s34
	s_cbranch_execz .LBB6_9505
.LBB6_10366:                            ;   in Loop: Header=BB6_9353 Depth=3
	v_cmp_ne_u16_e32 vcc_lo, 0, v104
	v_mov_b32_e32 v95, 0
	s_and_not1_b32 s13, s13, exec_lo
	s_and_b32 vcc_lo, vcc_lo, exec_lo
	s_delay_alu instid0(SALU_CYCLE_1)
	s_or_b32 s13, s13, vcc_lo
	s_or_b32 exec_lo, exec_lo, s34
	s_and_saveexec_b32 s31, s13
	s_cbranch_execnz .LBB6_9506
	s_branch .LBB6_9507
.LBB6_10367:                            ;   in Loop: Header=BB6_9353 Depth=3
	s_mov_b32 s13, -1
	s_mov_b32 s35, exec_lo
                                        ; implicit-def: $sgpr31
	v_cmpx_eq_u16_e32 0x80, v95
; %bb.10368:                            ;   in Loop: Header=BB6_9353 Depth=3
	s_mov_b32 s31, 0x7f800001
	s_xor_b32 s13, exec_lo, -1
; %bb.10369:                            ;   in Loop: Header=BB6_9353 Depth=3
	s_or_b32 exec_lo, exec_lo, s35
	s_delay_alu instid0(SALU_CYCLE_1)
	s_and_b32 s13, s13, exec_lo
                                        ; implicit-def: $vgpr95
	s_or_saveexec_b32 s34, s34
	v_mov_b32_e32 v94, s31
	s_xor_b32 exec_lo, exec_lo, s34
	s_cbranch_execz .LBB6_9512
.LBB6_10370:                            ;   in Loop: Header=BB6_9353 Depth=3
	v_cmp_ne_u16_e32 vcc_lo, 0, v95
	v_mov_b32_e32 v94, 0
	s_and_not1_b32 s13, s13, exec_lo
	s_and_b32 vcc_lo, vcc_lo, exec_lo
	s_delay_alu instid0(SALU_CYCLE_1)
	s_or_b32 s13, s13, vcc_lo
	s_or_b32 exec_lo, exec_lo, s34
	s_and_saveexec_b32 s31, s13
	s_cbranch_execnz .LBB6_9513
	s_branch .LBB6_9514
.LBB6_10371:                            ;   in Loop: Header=BB6_9353 Depth=3
	s_mov_b32 s13, -1
	s_mov_b32 s35, exec_lo
                                        ; implicit-def: $sgpr31
	v_cmpx_eq_u16_e32 0x80, v95
; %bb.10372:                            ;   in Loop: Header=BB6_9353 Depth=3
	s_mov_b32 s31, 0x7f800001
	s_xor_b32 s13, exec_lo, -1
; %bb.10373:                            ;   in Loop: Header=BB6_9353 Depth=3
	s_or_b32 exec_lo, exec_lo, s35
	s_delay_alu instid0(SALU_CYCLE_1)
	s_and_b32 s13, s13, exec_lo
                                        ; implicit-def: $vgpr95
	s_or_saveexec_b32 s34, s34
	v_mov_b32_e32 v93, s31
	s_xor_b32 exec_lo, exec_lo, s34
	s_cbranch_execz .LBB6_9516
.LBB6_10374:                            ;   in Loop: Header=BB6_9353 Depth=3
	v_cmp_ne_u16_e32 vcc_lo, 0, v95
	v_mov_b32_e32 v93, 0
	s_and_not1_b32 s13, s13, exec_lo
	s_and_b32 vcc_lo, vcc_lo, exec_lo
	s_delay_alu instid0(SALU_CYCLE_1)
	s_or_b32 s13, s13, vcc_lo
	s_or_b32 exec_lo, exec_lo, s34
	s_and_saveexec_b32 s31, s13
	s_cbranch_execnz .LBB6_9517
	s_branch .LBB6_9518
.LBB6_10375:                            ;   in Loop: Header=BB6_9353 Depth=3
	s_mov_b32 s13, -1
	s_mov_b32 s35, exec_lo
                                        ; implicit-def: $sgpr31
	v_cmpx_eq_u16_e32 0x80, v94
; %bb.10376:                            ;   in Loop: Header=BB6_9353 Depth=3
	s_mov_b32 s31, 0x7f800001
	s_xor_b32 s13, exec_lo, -1
; %bb.10377:                            ;   in Loop: Header=BB6_9353 Depth=3
	s_or_b32 exec_lo, exec_lo, s35
	s_delay_alu instid0(SALU_CYCLE_1)
	s_and_b32 s13, s13, exec_lo
                                        ; implicit-def: $vgpr94
	s_or_saveexec_b32 s34, s34
	v_mov_b32_e32 v93, s31
	s_xor_b32 exec_lo, exec_lo, s34
	s_cbranch_execz .LBB6_9530
.LBB6_10378:                            ;   in Loop: Header=BB6_9353 Depth=3
	v_cmp_ne_u16_e32 vcc_lo, 0, v94
	v_mov_b32_e32 v93, 0
	s_and_not1_b32 s13, s13, exec_lo
	s_and_b32 vcc_lo, vcc_lo, exec_lo
	s_delay_alu instid0(SALU_CYCLE_1)
	s_or_b32 s13, s13, vcc_lo
	s_or_b32 exec_lo, exec_lo, s34
	s_and_saveexec_b32 s31, s13
	s_cbranch_execnz .LBB6_9531
	s_branch .LBB6_9532
.LBB6_10379:                            ;   in Loop: Header=BB6_9353 Depth=3
	s_mov_b32 s13, -1
	s_mov_b32 s35, exec_lo
                                        ; implicit-def: $sgpr31
	v_cmpx_eq_u16_e32 0x80, v95
; %bb.10380:                            ;   in Loop: Header=BB6_9353 Depth=3
	s_mov_b32 s31, 0x7f800001
	s_xor_b32 s13, exec_lo, -1
; %bb.10381:                            ;   in Loop: Header=BB6_9353 Depth=3
	s_or_b32 exec_lo, exec_lo, s35
	s_delay_alu instid0(SALU_CYCLE_1)
	s_and_b32 s13, s13, exec_lo
                                        ; implicit-def: $vgpr95
	s_or_saveexec_b32 s34, s34
	v_mov_b32_e32 v94, s31
	s_xor_b32 exec_lo, exec_lo, s34
	s_cbranch_execz .LBB6_9534
.LBB6_10382:                            ;   in Loop: Header=BB6_9353 Depth=3
	v_cmp_ne_u16_e32 vcc_lo, 0, v95
	v_mov_b32_e32 v94, 0
	s_and_not1_b32 s13, s13, exec_lo
	s_and_b32 vcc_lo, vcc_lo, exec_lo
	s_delay_alu instid0(SALU_CYCLE_1)
	s_or_b32 s13, s13, vcc_lo
	s_or_b32 exec_lo, exec_lo, s34
	s_and_saveexec_b32 s31, s13
	s_cbranch_execnz .LBB6_9535
	s_branch .LBB6_9536
.LBB6_10383:                            ;   in Loop: Header=BB6_9353 Depth=3
	s_mov_b32 s13, -1
	s_mov_b32 s35, exec_lo
                                        ; implicit-def: $sgpr31
	v_cmpx_eq_u16_e32 0x80, v94
; %bb.10384:                            ;   in Loop: Header=BB6_9353 Depth=3
	s_mov_b32 s31, 0x7f800001
	s_xor_b32 s13, exec_lo, -1
; %bb.10385:                            ;   in Loop: Header=BB6_9353 Depth=3
	s_or_b32 exec_lo, exec_lo, s35
	s_delay_alu instid0(SALU_CYCLE_1)
	s_and_b32 s13, s13, exec_lo
                                        ; implicit-def: $vgpr94
	s_or_saveexec_b32 s34, s34
	v_mov_b32_e32 v93, s31
	s_xor_b32 exec_lo, exec_lo, s34
	s_cbranch_execz .LBB6_9541
.LBB6_10386:                            ;   in Loop: Header=BB6_9353 Depth=3
	v_cmp_ne_u16_e32 vcc_lo, 0, v94
	v_mov_b32_e32 v93, 0
	s_and_not1_b32 s13, s13, exec_lo
	s_and_b32 vcc_lo, vcc_lo, exec_lo
	s_delay_alu instid0(SALU_CYCLE_1)
	s_or_b32 s13, s13, vcc_lo
	s_or_b32 exec_lo, exec_lo, s34
	s_and_saveexec_b32 s31, s13
	s_cbranch_execnz .LBB6_9542
	s_branch .LBB6_9543
.LBB6_10387:                            ;   in Loop: Header=BB6_9353 Depth=3
	s_mov_b32 s13, -1
	s_mov_b32 s35, exec_lo
                                        ; implicit-def: $sgpr31
	v_cmpx_eq_u16_e32 0x80, v94
; %bb.10388:                            ;   in Loop: Header=BB6_9353 Depth=3
	s_mov_b32 s31, 0x7f800001
	s_xor_b32 s13, exec_lo, -1
; %bb.10389:                            ;   in Loop: Header=BB6_9353 Depth=3
	s_or_b32 exec_lo, exec_lo, s35
	s_delay_alu instid0(SALU_CYCLE_1)
	s_and_b32 s13, s13, exec_lo
                                        ; implicit-def: $vgpr94
	s_or_saveexec_b32 s34, s34
	v_mov_b32_e32 v92, s31
	s_xor_b32 exec_lo, exec_lo, s34
	s_cbranch_execz .LBB6_9545
.LBB6_10390:                            ;   in Loop: Header=BB6_9353 Depth=3
	v_cmp_ne_u16_e32 vcc_lo, 0, v94
	v_mov_b32_e32 v92, 0
	s_and_not1_b32 s13, s13, exec_lo
	s_and_b32 vcc_lo, vcc_lo, exec_lo
	s_delay_alu instid0(SALU_CYCLE_1)
	s_or_b32 s13, s13, vcc_lo
	s_or_b32 exec_lo, exec_lo, s34
	s_and_saveexec_b32 s31, s13
	s_cbranch_execnz .LBB6_9546
	s_branch .LBB6_9547
.LBB6_10391:                            ;   in Loop: Header=BB6_9353 Depth=3
	s_mov_b32 s13, -1
	s_mov_b32 s35, exec_lo
                                        ; implicit-def: $sgpr31
	v_cmpx_eq_u16_e32 0x80, v93
; %bb.10392:                            ;   in Loop: Header=BB6_9353 Depth=3
	s_mov_b32 s31, 0x7f800001
	s_xor_b32 s13, exec_lo, -1
; %bb.10393:                            ;   in Loop: Header=BB6_9353 Depth=3
	s_or_b32 exec_lo, exec_lo, s35
	s_delay_alu instid0(SALU_CYCLE_1)
	s_and_b32 s13, s13, exec_lo
                                        ; implicit-def: $vgpr93
	s_or_saveexec_b32 s34, s34
	v_mov_b32_e32 v92, s31
	s_xor_b32 exec_lo, exec_lo, s34
	s_cbranch_execz .LBB6_9559
.LBB6_10394:                            ;   in Loop: Header=BB6_9353 Depth=3
	v_cmp_ne_u16_e32 vcc_lo, 0, v93
	v_mov_b32_e32 v92, 0
	s_and_not1_b32 s13, s13, exec_lo
	s_and_b32 vcc_lo, vcc_lo, exec_lo
	s_delay_alu instid0(SALU_CYCLE_1)
	s_or_b32 s13, s13, vcc_lo
	s_or_b32 exec_lo, exec_lo, s34
	s_and_saveexec_b32 s31, s13
	s_cbranch_execnz .LBB6_9560
	s_branch .LBB6_9561
.LBB6_10395:                            ;   in Loop: Header=BB6_9353 Depth=3
	s_mov_b32 s13, -1
	s_mov_b32 s35, exec_lo
                                        ; implicit-def: $sgpr31
	v_cmpx_eq_u16_e32 0x80, v94
; %bb.10396:                            ;   in Loop: Header=BB6_9353 Depth=3
	s_mov_b32 s31, 0x7f800001
	s_xor_b32 s13, exec_lo, -1
; %bb.10397:                            ;   in Loop: Header=BB6_9353 Depth=3
	s_or_b32 exec_lo, exec_lo, s35
	s_delay_alu instid0(SALU_CYCLE_1)
	s_and_b32 s13, s13, exec_lo
                                        ; implicit-def: $vgpr94
	s_or_saveexec_b32 s34, s34
	v_mov_b32_e32 v93, s31
	s_xor_b32 exec_lo, exec_lo, s34
	s_cbranch_execz .LBB6_9563
.LBB6_10398:                            ;   in Loop: Header=BB6_9353 Depth=3
	v_cmp_ne_u16_e32 vcc_lo, 0, v94
	v_mov_b32_e32 v93, 0
	s_and_not1_b32 s13, s13, exec_lo
	s_and_b32 vcc_lo, vcc_lo, exec_lo
	s_delay_alu instid0(SALU_CYCLE_1)
	s_or_b32 s13, s13, vcc_lo
	s_or_b32 exec_lo, exec_lo, s34
	s_and_saveexec_b32 s31, s13
	s_cbranch_execnz .LBB6_9564
	s_branch .LBB6_9565
.LBB6_10399:                            ;   in Loop: Header=BB6_9353 Depth=3
	s_mov_b32 s13, -1
	s_mov_b32 s35, exec_lo
                                        ; implicit-def: $sgpr31
	v_cmpx_eq_u16_e32 0x80, v93
; %bb.10400:                            ;   in Loop: Header=BB6_9353 Depth=3
	s_mov_b32 s31, 0x7f800001
	s_xor_b32 s13, exec_lo, -1
; %bb.10401:                            ;   in Loop: Header=BB6_9353 Depth=3
	s_or_b32 exec_lo, exec_lo, s35
	s_delay_alu instid0(SALU_CYCLE_1)
	s_and_b32 s13, s13, exec_lo
                                        ; implicit-def: $vgpr93
	s_or_saveexec_b32 s34, s34
	v_mov_b32_e32 v92, s31
	s_xor_b32 exec_lo, exec_lo, s34
	s_cbranch_execz .LBB6_9570
.LBB6_10402:                            ;   in Loop: Header=BB6_9353 Depth=3
	v_cmp_ne_u16_e32 vcc_lo, 0, v93
	v_mov_b32_e32 v92, 0
	s_and_not1_b32 s13, s13, exec_lo
	s_and_b32 vcc_lo, vcc_lo, exec_lo
	s_delay_alu instid0(SALU_CYCLE_1)
	s_or_b32 s13, s13, vcc_lo
	s_or_b32 exec_lo, exec_lo, s34
	s_and_saveexec_b32 s31, s13
	s_cbranch_execnz .LBB6_9571
	s_branch .LBB6_9572
.LBB6_10403:                            ;   in Loop: Header=BB6_9353 Depth=3
	s_mov_b32 s13, -1
	s_mov_b32 s35, exec_lo
                                        ; implicit-def: $sgpr31
	v_cmpx_eq_u16_e32 0x80, v93
; %bb.10404:                            ;   in Loop: Header=BB6_9353 Depth=3
	s_mov_b32 s31, 0x7f800001
	s_xor_b32 s13, exec_lo, -1
; %bb.10405:                            ;   in Loop: Header=BB6_9353 Depth=3
	s_or_b32 exec_lo, exec_lo, s35
	s_delay_alu instid0(SALU_CYCLE_1)
	s_and_b32 s13, s13, exec_lo
                                        ; implicit-def: $vgpr93
	s_or_saveexec_b32 s34, s34
	v_mov_b32_e32 v91, s31
	s_xor_b32 exec_lo, exec_lo, s34
	s_cbranch_execz .LBB6_9574
.LBB6_10406:                            ;   in Loop: Header=BB6_9353 Depth=3
	v_cmp_ne_u16_e32 vcc_lo, 0, v93
	v_mov_b32_e32 v91, 0
	s_and_not1_b32 s13, s13, exec_lo
	s_and_b32 vcc_lo, vcc_lo, exec_lo
	s_delay_alu instid0(SALU_CYCLE_1)
	s_or_b32 s13, s13, vcc_lo
	s_or_b32 exec_lo, exec_lo, s34
	s_and_saveexec_b32 s31, s13
	s_cbranch_execnz .LBB6_9575
	s_branch .LBB6_9576
.LBB6_10407:                            ;   in Loop: Header=BB6_9353 Depth=3
	s_mov_b32 s13, -1
	s_mov_b32 s35, exec_lo
                                        ; implicit-def: $sgpr31
	v_cmpx_eq_u16_e32 0x80, v92
; %bb.10408:                            ;   in Loop: Header=BB6_9353 Depth=3
	s_mov_b32 s31, 0x7f800001
	s_xor_b32 s13, exec_lo, -1
; %bb.10409:                            ;   in Loop: Header=BB6_9353 Depth=3
	s_or_b32 exec_lo, exec_lo, s35
	s_delay_alu instid0(SALU_CYCLE_1)
	s_and_b32 s13, s13, exec_lo
                                        ; implicit-def: $vgpr92
	s_or_saveexec_b32 s34, s34
	v_mov_b32_e32 v91, s31
	s_xor_b32 exec_lo, exec_lo, s34
	s_cbranch_execz .LBB6_9588
.LBB6_10410:                            ;   in Loop: Header=BB6_9353 Depth=3
	v_cmp_ne_u16_e32 vcc_lo, 0, v92
	v_mov_b32_e32 v91, 0
	s_and_not1_b32 s13, s13, exec_lo
	s_and_b32 vcc_lo, vcc_lo, exec_lo
	s_delay_alu instid0(SALU_CYCLE_1)
	s_or_b32 s13, s13, vcc_lo
	s_or_b32 exec_lo, exec_lo, s34
	s_and_saveexec_b32 s31, s13
	s_cbranch_execnz .LBB6_9589
	s_branch .LBB6_9590
.LBB6_10411:                            ;   in Loop: Header=BB6_9353 Depth=3
	s_mov_b32 s13, -1
	s_mov_b32 s35, exec_lo
                                        ; implicit-def: $sgpr31
	v_cmpx_eq_u16_e32 0x80, v93
; %bb.10412:                            ;   in Loop: Header=BB6_9353 Depth=3
	s_mov_b32 s31, 0x7f800001
	s_xor_b32 s13, exec_lo, -1
; %bb.10413:                            ;   in Loop: Header=BB6_9353 Depth=3
	s_or_b32 exec_lo, exec_lo, s35
	s_delay_alu instid0(SALU_CYCLE_1)
	s_and_b32 s13, s13, exec_lo
                                        ; implicit-def: $vgpr93
	s_or_saveexec_b32 s34, s34
	v_mov_b32_e32 v92, s31
	s_xor_b32 exec_lo, exec_lo, s34
	s_cbranch_execz .LBB6_9592
.LBB6_10414:                            ;   in Loop: Header=BB6_9353 Depth=3
	v_cmp_ne_u16_e32 vcc_lo, 0, v93
	v_mov_b32_e32 v92, 0
	s_and_not1_b32 s13, s13, exec_lo
	s_and_b32 vcc_lo, vcc_lo, exec_lo
	s_delay_alu instid0(SALU_CYCLE_1)
	s_or_b32 s13, s13, vcc_lo
	s_or_b32 exec_lo, exec_lo, s34
	s_and_saveexec_b32 s31, s13
	s_cbranch_execnz .LBB6_9593
	s_branch .LBB6_9594
.LBB6_10415:                            ;   in Loop: Header=BB6_9353 Depth=3
	s_mov_b32 s13, -1
	s_mov_b32 s35, exec_lo
                                        ; implicit-def: $sgpr31
	v_cmpx_eq_u16_e32 0x80, v92
; %bb.10416:                            ;   in Loop: Header=BB6_9353 Depth=3
	s_mov_b32 s31, 0x7f800001
	s_xor_b32 s13, exec_lo, -1
; %bb.10417:                            ;   in Loop: Header=BB6_9353 Depth=3
	s_or_b32 exec_lo, exec_lo, s35
	s_delay_alu instid0(SALU_CYCLE_1)
	s_and_b32 s13, s13, exec_lo
                                        ; implicit-def: $vgpr92
	s_or_saveexec_b32 s34, s34
	v_mov_b32_e32 v91, s31
	s_xor_b32 exec_lo, exec_lo, s34
	s_cbranch_execz .LBB6_9599
.LBB6_10418:                            ;   in Loop: Header=BB6_9353 Depth=3
	v_cmp_ne_u16_e32 vcc_lo, 0, v92
	v_mov_b32_e32 v91, 0
	s_and_not1_b32 s13, s13, exec_lo
	s_and_b32 vcc_lo, vcc_lo, exec_lo
	s_delay_alu instid0(SALU_CYCLE_1)
	s_or_b32 s13, s13, vcc_lo
	s_or_b32 exec_lo, exec_lo, s34
	s_and_saveexec_b32 s31, s13
	s_cbranch_execnz .LBB6_9600
	s_branch .LBB6_9601
.LBB6_10419:                            ;   in Loop: Header=BB6_9353 Depth=3
	s_mov_b32 s13, -1
	s_mov_b32 s35, exec_lo
                                        ; implicit-def: $sgpr31
	v_cmpx_eq_u16_e32 0x80, v92
; %bb.10420:                            ;   in Loop: Header=BB6_9353 Depth=3
	s_mov_b32 s31, 0x7f800001
	s_xor_b32 s13, exec_lo, -1
; %bb.10421:                            ;   in Loop: Header=BB6_9353 Depth=3
	s_or_b32 exec_lo, exec_lo, s35
	s_delay_alu instid0(SALU_CYCLE_1)
	s_and_b32 s13, s13, exec_lo
                                        ; implicit-def: $vgpr92
	s_or_saveexec_b32 s34, s34
	v_mov_b32_e32 v90, s31
	s_xor_b32 exec_lo, exec_lo, s34
	s_cbranch_execz .LBB6_9603
.LBB6_10422:                            ;   in Loop: Header=BB6_9353 Depth=3
	v_cmp_ne_u16_e32 vcc_lo, 0, v92
	v_mov_b32_e32 v90, 0
	s_and_not1_b32 s13, s13, exec_lo
	s_and_b32 vcc_lo, vcc_lo, exec_lo
	s_delay_alu instid0(SALU_CYCLE_1)
	s_or_b32 s13, s13, vcc_lo
	s_or_b32 exec_lo, exec_lo, s34
	s_and_saveexec_b32 s31, s13
	s_cbranch_execnz .LBB6_9604
	s_branch .LBB6_9605
.LBB6_10423:                            ;   in Loop: Header=BB6_9353 Depth=3
	s_mov_b32 s13, -1
	s_mov_b32 s35, exec_lo
                                        ; implicit-def: $sgpr31
	v_cmpx_eq_u16_e32 0x80, v91
; %bb.10424:                            ;   in Loop: Header=BB6_9353 Depth=3
	s_mov_b32 s31, 0x7f800001
	s_xor_b32 s13, exec_lo, -1
; %bb.10425:                            ;   in Loop: Header=BB6_9353 Depth=3
	s_or_b32 exec_lo, exec_lo, s35
	s_delay_alu instid0(SALU_CYCLE_1)
	s_and_b32 s13, s13, exec_lo
                                        ; implicit-def: $vgpr91
	s_or_saveexec_b32 s34, s34
	v_mov_b32_e32 v90, s31
	s_xor_b32 exec_lo, exec_lo, s34
	s_cbranch_execz .LBB6_9617
.LBB6_10426:                            ;   in Loop: Header=BB6_9353 Depth=3
	v_cmp_ne_u16_e32 vcc_lo, 0, v91
	v_mov_b32_e32 v90, 0
	s_and_not1_b32 s13, s13, exec_lo
	s_and_b32 vcc_lo, vcc_lo, exec_lo
	s_delay_alu instid0(SALU_CYCLE_1)
	s_or_b32 s13, s13, vcc_lo
	s_or_b32 exec_lo, exec_lo, s34
	s_and_saveexec_b32 s31, s13
	s_cbranch_execnz .LBB6_9618
	s_branch .LBB6_9619
.LBB6_10427:                            ;   in Loop: Header=BB6_9353 Depth=3
	s_mov_b32 s13, -1
	s_mov_b32 s35, exec_lo
                                        ; implicit-def: $sgpr31
	v_cmpx_eq_u16_e32 0x80, v92
; %bb.10428:                            ;   in Loop: Header=BB6_9353 Depth=3
	s_mov_b32 s31, 0x7f800001
	s_xor_b32 s13, exec_lo, -1
; %bb.10429:                            ;   in Loop: Header=BB6_9353 Depth=3
	s_or_b32 exec_lo, exec_lo, s35
	s_delay_alu instid0(SALU_CYCLE_1)
	s_and_b32 s13, s13, exec_lo
                                        ; implicit-def: $vgpr92
	s_or_saveexec_b32 s34, s34
	v_mov_b32_e32 v91, s31
	s_xor_b32 exec_lo, exec_lo, s34
	s_cbranch_execz .LBB6_9621
.LBB6_10430:                            ;   in Loop: Header=BB6_9353 Depth=3
	v_cmp_ne_u16_e32 vcc_lo, 0, v92
	v_mov_b32_e32 v91, 0
	s_and_not1_b32 s13, s13, exec_lo
	s_and_b32 vcc_lo, vcc_lo, exec_lo
	s_delay_alu instid0(SALU_CYCLE_1)
	s_or_b32 s13, s13, vcc_lo
	s_or_b32 exec_lo, exec_lo, s34
	s_and_saveexec_b32 s31, s13
	s_cbranch_execnz .LBB6_9622
	s_branch .LBB6_9623
.LBB6_10431:                            ;   in Loop: Header=BB6_9353 Depth=3
	s_mov_b32 s13, -1
	s_mov_b32 s35, exec_lo
                                        ; implicit-def: $sgpr31
	v_cmpx_eq_u16_e32 0x80, v91
; %bb.10432:                            ;   in Loop: Header=BB6_9353 Depth=3
	s_mov_b32 s31, 0x7f800001
	s_xor_b32 s13, exec_lo, -1
; %bb.10433:                            ;   in Loop: Header=BB6_9353 Depth=3
	s_or_b32 exec_lo, exec_lo, s35
	s_delay_alu instid0(SALU_CYCLE_1)
	s_and_b32 s13, s13, exec_lo
                                        ; implicit-def: $vgpr91
	s_or_saveexec_b32 s34, s34
	v_mov_b32_e32 v90, s31
	s_xor_b32 exec_lo, exec_lo, s34
	s_cbranch_execz .LBB6_9628
.LBB6_10434:                            ;   in Loop: Header=BB6_9353 Depth=3
	v_cmp_ne_u16_e32 vcc_lo, 0, v91
	v_mov_b32_e32 v90, 0
	s_and_not1_b32 s13, s13, exec_lo
	s_and_b32 vcc_lo, vcc_lo, exec_lo
	s_delay_alu instid0(SALU_CYCLE_1)
	s_or_b32 s13, s13, vcc_lo
	s_or_b32 exec_lo, exec_lo, s34
	s_and_saveexec_b32 s31, s13
	s_cbranch_execnz .LBB6_9629
	s_branch .LBB6_9630
.LBB6_10435:                            ;   in Loop: Header=BB6_9353 Depth=3
	s_mov_b32 s13, -1
	s_mov_b32 s35, exec_lo
                                        ; implicit-def: $sgpr31
	v_cmpx_eq_u16_e32 0x80, v91
; %bb.10436:                            ;   in Loop: Header=BB6_9353 Depth=3
	s_mov_b32 s31, 0x7f800001
	s_xor_b32 s13, exec_lo, -1
; %bb.10437:                            ;   in Loop: Header=BB6_9353 Depth=3
	s_or_b32 exec_lo, exec_lo, s35
	s_delay_alu instid0(SALU_CYCLE_1)
	s_and_b32 s13, s13, exec_lo
                                        ; implicit-def: $vgpr91
	s_or_saveexec_b32 s34, s34
	v_mov_b32_e32 v89, s31
	s_xor_b32 exec_lo, exec_lo, s34
	s_cbranch_execz .LBB6_9632
.LBB6_10438:                            ;   in Loop: Header=BB6_9353 Depth=3
	v_cmp_ne_u16_e32 vcc_lo, 0, v91
	v_mov_b32_e32 v89, 0
	s_and_not1_b32 s13, s13, exec_lo
	s_and_b32 vcc_lo, vcc_lo, exec_lo
	s_delay_alu instid0(SALU_CYCLE_1)
	s_or_b32 s13, s13, vcc_lo
	s_or_b32 exec_lo, exec_lo, s34
	s_and_saveexec_b32 s31, s13
	s_cbranch_execnz .LBB6_9633
	s_branch .LBB6_9634
.LBB6_10439:                            ;   in Loop: Header=BB6_9353 Depth=3
	s_mov_b32 s13, -1
	s_mov_b32 s35, exec_lo
                                        ; implicit-def: $sgpr31
	v_cmpx_eq_u16_e32 0x80, v90
; %bb.10440:                            ;   in Loop: Header=BB6_9353 Depth=3
	s_mov_b32 s31, 0x7f800001
	s_xor_b32 s13, exec_lo, -1
; %bb.10441:                            ;   in Loop: Header=BB6_9353 Depth=3
	s_or_b32 exec_lo, exec_lo, s35
	s_delay_alu instid0(SALU_CYCLE_1)
	s_and_b32 s13, s13, exec_lo
                                        ; implicit-def: $vgpr90
	s_or_saveexec_b32 s34, s34
	v_mov_b32_e32 v89, s31
	s_xor_b32 exec_lo, exec_lo, s34
	s_cbranch_execz .LBB6_9646
.LBB6_10442:                            ;   in Loop: Header=BB6_9353 Depth=3
	v_cmp_ne_u16_e32 vcc_lo, 0, v90
	v_mov_b32_e32 v89, 0
	s_and_not1_b32 s13, s13, exec_lo
	s_and_b32 vcc_lo, vcc_lo, exec_lo
	s_delay_alu instid0(SALU_CYCLE_1)
	s_or_b32 s13, s13, vcc_lo
	s_or_b32 exec_lo, exec_lo, s34
	s_and_saveexec_b32 s31, s13
	s_cbranch_execnz .LBB6_9647
	s_branch .LBB6_9648
.LBB6_10443:                            ;   in Loop: Header=BB6_9353 Depth=3
	s_mov_b32 s13, -1
	s_mov_b32 s35, exec_lo
                                        ; implicit-def: $sgpr31
	v_cmpx_eq_u16_e32 0x80, v91
; %bb.10444:                            ;   in Loop: Header=BB6_9353 Depth=3
	s_mov_b32 s31, 0x7f800001
	s_xor_b32 s13, exec_lo, -1
; %bb.10445:                            ;   in Loop: Header=BB6_9353 Depth=3
	s_or_b32 exec_lo, exec_lo, s35
	s_delay_alu instid0(SALU_CYCLE_1)
	s_and_b32 s13, s13, exec_lo
                                        ; implicit-def: $vgpr91
	s_or_saveexec_b32 s34, s34
	v_mov_b32_e32 v90, s31
	s_xor_b32 exec_lo, exec_lo, s34
	s_cbranch_execz .LBB6_9650
.LBB6_10446:                            ;   in Loop: Header=BB6_9353 Depth=3
	v_cmp_ne_u16_e32 vcc_lo, 0, v91
	v_mov_b32_e32 v90, 0
	s_and_not1_b32 s13, s13, exec_lo
	s_and_b32 vcc_lo, vcc_lo, exec_lo
	s_delay_alu instid0(SALU_CYCLE_1)
	s_or_b32 s13, s13, vcc_lo
	s_or_b32 exec_lo, exec_lo, s34
	s_and_saveexec_b32 s31, s13
	s_cbranch_execnz .LBB6_9651
	s_branch .LBB6_9652
.LBB6_10447:                            ;   in Loop: Header=BB6_9353 Depth=3
	s_mov_b32 s13, -1
	s_mov_b32 s35, exec_lo
                                        ; implicit-def: $sgpr31
	v_cmpx_eq_u16_e32 0x80, v90
; %bb.10448:                            ;   in Loop: Header=BB6_9353 Depth=3
	s_mov_b32 s31, 0x7f800001
	s_xor_b32 s13, exec_lo, -1
; %bb.10449:                            ;   in Loop: Header=BB6_9353 Depth=3
	s_or_b32 exec_lo, exec_lo, s35
	s_delay_alu instid0(SALU_CYCLE_1)
	s_and_b32 s13, s13, exec_lo
                                        ; implicit-def: $vgpr90
	s_or_saveexec_b32 s34, s34
	v_mov_b32_e32 v89, s31
	s_xor_b32 exec_lo, exec_lo, s34
	s_cbranch_execz .LBB6_9657
.LBB6_10450:                            ;   in Loop: Header=BB6_9353 Depth=3
	v_cmp_ne_u16_e32 vcc_lo, 0, v90
	v_mov_b32_e32 v89, 0
	s_and_not1_b32 s13, s13, exec_lo
	s_and_b32 vcc_lo, vcc_lo, exec_lo
	s_delay_alu instid0(SALU_CYCLE_1)
	s_or_b32 s13, s13, vcc_lo
	s_or_b32 exec_lo, exec_lo, s34
	s_and_saveexec_b32 s31, s13
	s_cbranch_execnz .LBB6_9658
	s_branch .LBB6_9659
.LBB6_10451:                            ;   in Loop: Header=BB6_9353 Depth=3
	s_mov_b32 s13, -1
	s_mov_b32 s35, exec_lo
                                        ; implicit-def: $sgpr31
	v_cmpx_eq_u16_e32 0x80, v90
; %bb.10452:                            ;   in Loop: Header=BB6_9353 Depth=3
	s_mov_b32 s31, 0x7f800001
	s_xor_b32 s13, exec_lo, -1
; %bb.10453:                            ;   in Loop: Header=BB6_9353 Depth=3
	s_or_b32 exec_lo, exec_lo, s35
	s_delay_alu instid0(SALU_CYCLE_1)
	s_and_b32 s13, s13, exec_lo
                                        ; implicit-def: $vgpr90
	s_or_saveexec_b32 s34, s34
	v_mov_b32_e32 v88, s31
	s_xor_b32 exec_lo, exec_lo, s34
	s_cbranch_execz .LBB6_9661
.LBB6_10454:                            ;   in Loop: Header=BB6_9353 Depth=3
	v_cmp_ne_u16_e32 vcc_lo, 0, v90
	v_mov_b32_e32 v88, 0
	s_and_not1_b32 s13, s13, exec_lo
	s_and_b32 vcc_lo, vcc_lo, exec_lo
	s_delay_alu instid0(SALU_CYCLE_1)
	s_or_b32 s13, s13, vcc_lo
	s_or_b32 exec_lo, exec_lo, s34
	s_and_saveexec_b32 s31, s13
	s_cbranch_execnz .LBB6_9662
	s_branch .LBB6_9663
.LBB6_10455:                            ;   in Loop: Header=BB6_9353 Depth=3
	s_mov_b32 s13, -1
	s_mov_b32 s35, exec_lo
                                        ; implicit-def: $sgpr31
	v_cmpx_eq_u16_e32 0x80, v89
; %bb.10456:                            ;   in Loop: Header=BB6_9353 Depth=3
	s_mov_b32 s31, 0x7f800001
	s_xor_b32 s13, exec_lo, -1
; %bb.10457:                            ;   in Loop: Header=BB6_9353 Depth=3
	s_or_b32 exec_lo, exec_lo, s35
	s_delay_alu instid0(SALU_CYCLE_1)
	s_and_b32 s13, s13, exec_lo
                                        ; implicit-def: $vgpr89
	s_or_saveexec_b32 s34, s34
	v_mov_b32_e32 v88, s31
	s_xor_b32 exec_lo, exec_lo, s34
	s_cbranch_execz .LBB6_9675
.LBB6_10458:                            ;   in Loop: Header=BB6_9353 Depth=3
	v_cmp_ne_u16_e32 vcc_lo, 0, v89
	v_mov_b32_e32 v88, 0
	s_and_not1_b32 s13, s13, exec_lo
	s_and_b32 vcc_lo, vcc_lo, exec_lo
	s_delay_alu instid0(SALU_CYCLE_1)
	s_or_b32 s13, s13, vcc_lo
	s_or_b32 exec_lo, exec_lo, s34
	s_and_saveexec_b32 s31, s13
	s_cbranch_execnz .LBB6_9676
	s_branch .LBB6_9677
.LBB6_10459:                            ;   in Loop: Header=BB6_9353 Depth=3
	s_mov_b32 s13, -1
	s_mov_b32 s35, exec_lo
                                        ; implicit-def: $sgpr31
	v_cmpx_eq_u16_e32 0x80, v90
; %bb.10460:                            ;   in Loop: Header=BB6_9353 Depth=3
	s_mov_b32 s31, 0x7f800001
	s_xor_b32 s13, exec_lo, -1
; %bb.10461:                            ;   in Loop: Header=BB6_9353 Depth=3
	s_or_b32 exec_lo, exec_lo, s35
	s_delay_alu instid0(SALU_CYCLE_1)
	s_and_b32 s13, s13, exec_lo
                                        ; implicit-def: $vgpr90
	s_or_saveexec_b32 s34, s34
	v_mov_b32_e32 v89, s31
	s_xor_b32 exec_lo, exec_lo, s34
	s_cbranch_execz .LBB6_9679
.LBB6_10462:                            ;   in Loop: Header=BB6_9353 Depth=3
	v_cmp_ne_u16_e32 vcc_lo, 0, v90
	v_mov_b32_e32 v89, 0
	s_and_not1_b32 s13, s13, exec_lo
	s_and_b32 vcc_lo, vcc_lo, exec_lo
	s_delay_alu instid0(SALU_CYCLE_1)
	s_or_b32 s13, s13, vcc_lo
	s_or_b32 exec_lo, exec_lo, s34
	s_and_saveexec_b32 s31, s13
	s_cbranch_execnz .LBB6_9680
	s_branch .LBB6_9681
.LBB6_10463:                            ;   in Loop: Header=BB6_9353 Depth=3
	s_mov_b32 s13, -1
	s_mov_b32 s35, exec_lo
                                        ; implicit-def: $sgpr31
	v_cmpx_eq_u16_e32 0x80, v89
; %bb.10464:                            ;   in Loop: Header=BB6_9353 Depth=3
	s_mov_b32 s31, 0x7f800001
	s_xor_b32 s13, exec_lo, -1
; %bb.10465:                            ;   in Loop: Header=BB6_9353 Depth=3
	s_or_b32 exec_lo, exec_lo, s35
	s_delay_alu instid0(SALU_CYCLE_1)
	s_and_b32 s13, s13, exec_lo
                                        ; implicit-def: $vgpr89
	s_or_saveexec_b32 s34, s34
	v_mov_b32_e32 v88, s31
	s_xor_b32 exec_lo, exec_lo, s34
	s_cbranch_execz .LBB6_9686
.LBB6_10466:                            ;   in Loop: Header=BB6_9353 Depth=3
	v_cmp_ne_u16_e32 vcc_lo, 0, v89
	v_mov_b32_e32 v88, 0
	s_and_not1_b32 s13, s13, exec_lo
	s_and_b32 vcc_lo, vcc_lo, exec_lo
	s_delay_alu instid0(SALU_CYCLE_1)
	s_or_b32 s13, s13, vcc_lo
	s_or_b32 exec_lo, exec_lo, s34
	s_and_saveexec_b32 s31, s13
	s_cbranch_execnz .LBB6_9687
	s_branch .LBB6_9688
.LBB6_10467:                            ;   in Loop: Header=BB6_9353 Depth=3
	s_mov_b32 s13, -1
	s_mov_b32 s35, exec_lo
                                        ; implicit-def: $sgpr31
	v_cmpx_eq_u16_e32 0x80, v89
; %bb.10468:                            ;   in Loop: Header=BB6_9353 Depth=3
	s_mov_b32 s31, 0x7f800001
	s_xor_b32 s13, exec_lo, -1
; %bb.10469:                            ;   in Loop: Header=BB6_9353 Depth=3
	s_or_b32 exec_lo, exec_lo, s35
	s_delay_alu instid0(SALU_CYCLE_1)
	s_and_b32 s13, s13, exec_lo
                                        ; implicit-def: $vgpr89
	s_or_saveexec_b32 s34, s34
	v_mov_b32_e32 v79, s31
	s_xor_b32 exec_lo, exec_lo, s34
	s_cbranch_execz .LBB6_9690
.LBB6_10470:                            ;   in Loop: Header=BB6_9353 Depth=3
	v_cmp_ne_u16_e32 vcc_lo, 0, v89
	v_mov_b32_e32 v79, 0
	s_and_not1_b32 s13, s13, exec_lo
	s_and_b32 vcc_lo, vcc_lo, exec_lo
	s_delay_alu instid0(SALU_CYCLE_1)
	s_or_b32 s13, s13, vcc_lo
	s_or_b32 exec_lo, exec_lo, s34
	s_and_saveexec_b32 s31, s13
	s_cbranch_execnz .LBB6_9691
	s_branch .LBB6_9692
.LBB6_10471:                            ;   in Loop: Header=BB6_9353 Depth=3
	s_mov_b32 s13, -1
	s_mov_b32 s35, exec_lo
                                        ; implicit-def: $sgpr31
	v_cmpx_eq_u16_e32 0x80, v88
; %bb.10472:                            ;   in Loop: Header=BB6_9353 Depth=3
	s_mov_b32 s31, 0x7f800001
	s_xor_b32 s13, exec_lo, -1
; %bb.10473:                            ;   in Loop: Header=BB6_9353 Depth=3
	s_or_b32 exec_lo, exec_lo, s35
	s_delay_alu instid0(SALU_CYCLE_1)
	s_and_b32 s13, s13, exec_lo
                                        ; implicit-def: $vgpr88
	s_or_saveexec_b32 s34, s34
	v_mov_b32_e32 v79, s31
	s_xor_b32 exec_lo, exec_lo, s34
	s_cbranch_execz .LBB6_9704
.LBB6_10474:                            ;   in Loop: Header=BB6_9353 Depth=3
	v_cmp_ne_u16_e32 vcc_lo, 0, v88
	v_mov_b32_e32 v79, 0
	s_and_not1_b32 s13, s13, exec_lo
	s_and_b32 vcc_lo, vcc_lo, exec_lo
	s_delay_alu instid0(SALU_CYCLE_1)
	s_or_b32 s13, s13, vcc_lo
	s_or_b32 exec_lo, exec_lo, s34
	s_and_saveexec_b32 s31, s13
	s_cbranch_execnz .LBB6_9705
	s_branch .LBB6_9706
.LBB6_10475:                            ;   in Loop: Header=BB6_9353 Depth=3
	s_mov_b32 s13, -1
	s_mov_b32 s35, exec_lo
                                        ; implicit-def: $sgpr31
	v_cmpx_eq_u16_e32 0x80, v89
; %bb.10476:                            ;   in Loop: Header=BB6_9353 Depth=3
	s_mov_b32 s31, 0x7f800001
	s_xor_b32 s13, exec_lo, -1
; %bb.10477:                            ;   in Loop: Header=BB6_9353 Depth=3
	s_or_b32 exec_lo, exec_lo, s35
	s_delay_alu instid0(SALU_CYCLE_1)
	s_and_b32 s13, s13, exec_lo
                                        ; implicit-def: $vgpr89
	s_or_saveexec_b32 s34, s34
	v_mov_b32_e32 v88, s31
	s_xor_b32 exec_lo, exec_lo, s34
	s_cbranch_execz .LBB6_9708
.LBB6_10478:                            ;   in Loop: Header=BB6_9353 Depth=3
	v_cmp_ne_u16_e32 vcc_lo, 0, v89
	v_mov_b32_e32 v88, 0
	s_and_not1_b32 s13, s13, exec_lo
	s_and_b32 vcc_lo, vcc_lo, exec_lo
	s_delay_alu instid0(SALU_CYCLE_1)
	s_or_b32 s13, s13, vcc_lo
	s_or_b32 exec_lo, exec_lo, s34
	s_and_saveexec_b32 s31, s13
	s_cbranch_execnz .LBB6_9709
	s_branch .LBB6_9710
.LBB6_10479:                            ;   in Loop: Header=BB6_9353 Depth=3
	s_mov_b32 s13, -1
	s_mov_b32 s35, exec_lo
                                        ; implicit-def: $sgpr31
	v_cmpx_eq_u16_e32 0x80, v88
; %bb.10480:                            ;   in Loop: Header=BB6_9353 Depth=3
	s_mov_b32 s31, 0x7f800001
	s_xor_b32 s13, exec_lo, -1
; %bb.10481:                            ;   in Loop: Header=BB6_9353 Depth=3
	s_or_b32 exec_lo, exec_lo, s35
	s_delay_alu instid0(SALU_CYCLE_1)
	s_and_b32 s13, s13, exec_lo
                                        ; implicit-def: $vgpr88
	s_or_saveexec_b32 s34, s34
	v_mov_b32_e32 v79, s31
	s_xor_b32 exec_lo, exec_lo, s34
	s_cbranch_execz .LBB6_9715
.LBB6_10482:                            ;   in Loop: Header=BB6_9353 Depth=3
	v_cmp_ne_u16_e32 vcc_lo, 0, v88
	v_mov_b32_e32 v79, 0
	s_and_not1_b32 s13, s13, exec_lo
	s_and_b32 vcc_lo, vcc_lo, exec_lo
	s_delay_alu instid0(SALU_CYCLE_1)
	s_or_b32 s13, s13, vcc_lo
	s_or_b32 exec_lo, exec_lo, s34
	s_and_saveexec_b32 s31, s13
	s_cbranch_execnz .LBB6_9716
	s_branch .LBB6_9717
.LBB6_10483:                            ;   in Loop: Header=BB6_9353 Depth=3
	s_mov_b32 s13, -1
	s_mov_b32 s35, exec_lo
                                        ; implicit-def: $sgpr31
	v_cmpx_eq_u16_e32 0x80, v88
; %bb.10484:                            ;   in Loop: Header=BB6_9353 Depth=3
	s_mov_b32 s31, 0x7f800001
	s_xor_b32 s13, exec_lo, -1
; %bb.10485:                            ;   in Loop: Header=BB6_9353 Depth=3
	s_or_b32 exec_lo, exec_lo, s35
	s_delay_alu instid0(SALU_CYCLE_1)
	s_and_b32 s13, s13, exec_lo
                                        ; implicit-def: $vgpr88
	s_or_saveexec_b32 s34, s34
	v_mov_b32_e32 v78, s31
	s_xor_b32 exec_lo, exec_lo, s34
	s_cbranch_execz .LBB6_9719
.LBB6_10486:                            ;   in Loop: Header=BB6_9353 Depth=3
	v_cmp_ne_u16_e32 vcc_lo, 0, v88
	v_mov_b32_e32 v78, 0
	s_and_not1_b32 s13, s13, exec_lo
	s_and_b32 vcc_lo, vcc_lo, exec_lo
	s_delay_alu instid0(SALU_CYCLE_1)
	s_or_b32 s13, s13, vcc_lo
	s_or_b32 exec_lo, exec_lo, s34
	s_and_saveexec_b32 s31, s13
	s_cbranch_execnz .LBB6_9720
	s_branch .LBB6_9721
.LBB6_10487:                            ;   in Loop: Header=BB6_9353 Depth=3
	s_mov_b32 s13, -1
	s_mov_b32 s35, exec_lo
                                        ; implicit-def: $sgpr31
	v_cmpx_eq_u16_e32 0x80, v79
; %bb.10488:                            ;   in Loop: Header=BB6_9353 Depth=3
	s_mov_b32 s31, 0x7f800001
	s_xor_b32 s13, exec_lo, -1
; %bb.10489:                            ;   in Loop: Header=BB6_9353 Depth=3
	s_or_b32 exec_lo, exec_lo, s35
	s_delay_alu instid0(SALU_CYCLE_1)
	s_and_b32 s13, s13, exec_lo
                                        ; implicit-def: $vgpr79
	s_or_saveexec_b32 s34, s34
	v_mov_b32_e32 v78, s31
	s_xor_b32 exec_lo, exec_lo, s34
	s_cbranch_execz .LBB6_9733
.LBB6_10490:                            ;   in Loop: Header=BB6_9353 Depth=3
	v_cmp_ne_u16_e32 vcc_lo, 0, v79
	v_mov_b32_e32 v78, 0
	s_and_not1_b32 s13, s13, exec_lo
	s_and_b32 vcc_lo, vcc_lo, exec_lo
	s_delay_alu instid0(SALU_CYCLE_1)
	s_or_b32 s13, s13, vcc_lo
	s_or_b32 exec_lo, exec_lo, s34
	s_and_saveexec_b32 s31, s13
	s_cbranch_execnz .LBB6_9734
	s_branch .LBB6_9735
.LBB6_10491:                            ;   in Loop: Header=BB6_9353 Depth=3
	s_mov_b32 s13, -1
	s_mov_b32 s35, exec_lo
                                        ; implicit-def: $sgpr31
	v_cmpx_eq_u16_e32 0x80, v88
; %bb.10492:                            ;   in Loop: Header=BB6_9353 Depth=3
	s_mov_b32 s31, 0x7f800001
	s_xor_b32 s13, exec_lo, -1
; %bb.10493:                            ;   in Loop: Header=BB6_9353 Depth=3
	s_or_b32 exec_lo, exec_lo, s35
	s_delay_alu instid0(SALU_CYCLE_1)
	s_and_b32 s13, s13, exec_lo
                                        ; implicit-def: $vgpr88
	s_or_saveexec_b32 s34, s34
	v_mov_b32_e32 v79, s31
	s_xor_b32 exec_lo, exec_lo, s34
	s_cbranch_execz .LBB6_9737
.LBB6_10494:                            ;   in Loop: Header=BB6_9353 Depth=3
	v_cmp_ne_u16_e32 vcc_lo, 0, v88
	v_mov_b32_e32 v79, 0
	s_and_not1_b32 s13, s13, exec_lo
	s_and_b32 vcc_lo, vcc_lo, exec_lo
	s_delay_alu instid0(SALU_CYCLE_1)
	s_or_b32 s13, s13, vcc_lo
	s_or_b32 exec_lo, exec_lo, s34
	s_and_saveexec_b32 s31, s13
	s_cbranch_execnz .LBB6_9738
	s_branch .LBB6_9739
.LBB6_10495:                            ;   in Loop: Header=BB6_9353 Depth=3
	s_mov_b32 s13, -1
	s_mov_b32 s35, exec_lo
                                        ; implicit-def: $sgpr31
	v_cmpx_eq_u16_e32 0x80, v79
; %bb.10496:                            ;   in Loop: Header=BB6_9353 Depth=3
	s_mov_b32 s31, 0x7f800001
	s_xor_b32 s13, exec_lo, -1
; %bb.10497:                            ;   in Loop: Header=BB6_9353 Depth=3
	s_or_b32 exec_lo, exec_lo, s35
	s_delay_alu instid0(SALU_CYCLE_1)
	s_and_b32 s13, s13, exec_lo
                                        ; implicit-def: $vgpr79
	s_or_saveexec_b32 s34, s34
	v_mov_b32_e32 v78, s31
	s_xor_b32 exec_lo, exec_lo, s34
	s_cbranch_execz .LBB6_9744
.LBB6_10498:                            ;   in Loop: Header=BB6_9353 Depth=3
	v_cmp_ne_u16_e32 vcc_lo, 0, v79
	v_mov_b32_e32 v78, 0
	s_and_not1_b32 s13, s13, exec_lo
	s_and_b32 vcc_lo, vcc_lo, exec_lo
	s_delay_alu instid0(SALU_CYCLE_1)
	s_or_b32 s13, s13, vcc_lo
	s_or_b32 exec_lo, exec_lo, s34
	s_and_saveexec_b32 s31, s13
	s_cbranch_execnz .LBB6_9745
	s_branch .LBB6_9746
.LBB6_10499:                            ;   in Loop: Header=BB6_9353 Depth=3
	s_mov_b32 s13, -1
	s_mov_b32 s35, exec_lo
                                        ; implicit-def: $sgpr31
	v_cmpx_eq_u16_e32 0x80, v79
; %bb.10500:                            ;   in Loop: Header=BB6_9353 Depth=3
	s_mov_b32 s31, 0x7f800001
	s_xor_b32 s13, exec_lo, -1
; %bb.10501:                            ;   in Loop: Header=BB6_9353 Depth=3
	s_or_b32 exec_lo, exec_lo, s35
	s_delay_alu instid0(SALU_CYCLE_1)
	s_and_b32 s13, s13, exec_lo
                                        ; implicit-def: $vgpr79
	s_or_saveexec_b32 s34, s34
	v_mov_b32_e32 v77, s31
	s_xor_b32 exec_lo, exec_lo, s34
	s_cbranch_execz .LBB6_9748
.LBB6_10502:                            ;   in Loop: Header=BB6_9353 Depth=3
	v_cmp_ne_u16_e32 vcc_lo, 0, v79
	v_mov_b32_e32 v77, 0
	s_and_not1_b32 s13, s13, exec_lo
	s_and_b32 vcc_lo, vcc_lo, exec_lo
	s_delay_alu instid0(SALU_CYCLE_1)
	s_or_b32 s13, s13, vcc_lo
	s_or_b32 exec_lo, exec_lo, s34
	s_and_saveexec_b32 s31, s13
	s_cbranch_execnz .LBB6_9749
	s_branch .LBB6_9750
.LBB6_10503:                            ;   in Loop: Header=BB6_9353 Depth=3
	s_mov_b32 s13, -1
	s_mov_b32 s35, exec_lo
                                        ; implicit-def: $sgpr31
	v_cmpx_eq_u16_e32 0x80, v78
; %bb.10504:                            ;   in Loop: Header=BB6_9353 Depth=3
	s_mov_b32 s31, 0x7f800001
	s_xor_b32 s13, exec_lo, -1
; %bb.10505:                            ;   in Loop: Header=BB6_9353 Depth=3
	s_or_b32 exec_lo, exec_lo, s35
	s_delay_alu instid0(SALU_CYCLE_1)
	s_and_b32 s13, s13, exec_lo
                                        ; implicit-def: $vgpr78
	s_or_saveexec_b32 s34, s34
	v_mov_b32_e32 v77, s31
	s_xor_b32 exec_lo, exec_lo, s34
	s_cbranch_execz .LBB6_9762
.LBB6_10506:                            ;   in Loop: Header=BB6_9353 Depth=3
	v_cmp_ne_u16_e32 vcc_lo, 0, v78
	v_mov_b32_e32 v77, 0
	s_and_not1_b32 s13, s13, exec_lo
	s_and_b32 vcc_lo, vcc_lo, exec_lo
	s_delay_alu instid0(SALU_CYCLE_1)
	s_or_b32 s13, s13, vcc_lo
	s_or_b32 exec_lo, exec_lo, s34
	s_and_saveexec_b32 s31, s13
	s_cbranch_execnz .LBB6_9763
	s_branch .LBB6_9764
.LBB6_10507:                            ;   in Loop: Header=BB6_9353 Depth=3
	s_mov_b32 s13, -1
	s_mov_b32 s35, exec_lo
                                        ; implicit-def: $sgpr31
	v_cmpx_eq_u16_e32 0x80, v79
; %bb.10508:                            ;   in Loop: Header=BB6_9353 Depth=3
	s_mov_b32 s31, 0x7f800001
	s_xor_b32 s13, exec_lo, -1
; %bb.10509:                            ;   in Loop: Header=BB6_9353 Depth=3
	s_or_b32 exec_lo, exec_lo, s35
	s_delay_alu instid0(SALU_CYCLE_1)
	s_and_b32 s13, s13, exec_lo
                                        ; implicit-def: $vgpr79
	s_or_saveexec_b32 s34, s34
	v_mov_b32_e32 v78, s31
	s_xor_b32 exec_lo, exec_lo, s34
	s_cbranch_execz .LBB6_9766
.LBB6_10510:                            ;   in Loop: Header=BB6_9353 Depth=3
	v_cmp_ne_u16_e32 vcc_lo, 0, v79
	v_mov_b32_e32 v78, 0
	s_and_not1_b32 s13, s13, exec_lo
	s_and_b32 vcc_lo, vcc_lo, exec_lo
	s_delay_alu instid0(SALU_CYCLE_1)
	s_or_b32 s13, s13, vcc_lo
	s_or_b32 exec_lo, exec_lo, s34
	s_and_saveexec_b32 s31, s13
	s_cbranch_execnz .LBB6_9767
	s_branch .LBB6_9768
.LBB6_10511:                            ;   in Loop: Header=BB6_9353 Depth=3
	s_mov_b32 s13, -1
	s_mov_b32 s35, exec_lo
                                        ; implicit-def: $sgpr31
	v_cmpx_eq_u16_e32 0x80, v78
; %bb.10512:                            ;   in Loop: Header=BB6_9353 Depth=3
	s_mov_b32 s31, 0x7f800001
	s_xor_b32 s13, exec_lo, -1
; %bb.10513:                            ;   in Loop: Header=BB6_9353 Depth=3
	s_or_b32 exec_lo, exec_lo, s35
	s_delay_alu instid0(SALU_CYCLE_1)
	s_and_b32 s13, s13, exec_lo
                                        ; implicit-def: $vgpr78
	s_or_saveexec_b32 s34, s34
	v_mov_b32_e32 v77, s31
	s_xor_b32 exec_lo, exec_lo, s34
	s_cbranch_execz .LBB6_9773
.LBB6_10514:                            ;   in Loop: Header=BB6_9353 Depth=3
	v_cmp_ne_u16_e32 vcc_lo, 0, v78
	v_mov_b32_e32 v77, 0
	s_and_not1_b32 s13, s13, exec_lo
	s_and_b32 vcc_lo, vcc_lo, exec_lo
	s_delay_alu instid0(SALU_CYCLE_1)
	s_or_b32 s13, s13, vcc_lo
	s_or_b32 exec_lo, exec_lo, s34
	s_and_saveexec_b32 s31, s13
	s_cbranch_execnz .LBB6_9774
	s_branch .LBB6_9775
.LBB6_10515:                            ;   in Loop: Header=BB6_9353 Depth=3
	s_mov_b32 s13, -1
	s_mov_b32 s35, exec_lo
                                        ; implicit-def: $sgpr31
	v_cmpx_eq_u16_e32 0x80, v78
; %bb.10516:                            ;   in Loop: Header=BB6_9353 Depth=3
	s_mov_b32 s31, 0x7f800001
	s_xor_b32 s13, exec_lo, -1
; %bb.10517:                            ;   in Loop: Header=BB6_9353 Depth=3
	s_or_b32 exec_lo, exec_lo, s35
	s_delay_alu instid0(SALU_CYCLE_1)
	s_and_b32 s13, s13, exec_lo
                                        ; implicit-def: $vgpr78
	s_or_saveexec_b32 s34, s34
	v_mov_b32_e32 v76, s31
	s_xor_b32 exec_lo, exec_lo, s34
	s_cbranch_execz .LBB6_9777
.LBB6_10518:                            ;   in Loop: Header=BB6_9353 Depth=3
	v_cmp_ne_u16_e32 vcc_lo, 0, v78
	v_mov_b32_e32 v76, 0
	s_and_not1_b32 s13, s13, exec_lo
	s_and_b32 vcc_lo, vcc_lo, exec_lo
	s_delay_alu instid0(SALU_CYCLE_1)
	s_or_b32 s13, s13, vcc_lo
	s_or_b32 exec_lo, exec_lo, s34
	s_and_saveexec_b32 s31, s13
	s_cbranch_execnz .LBB6_9778
	s_branch .LBB6_9779
.LBB6_10519:                            ;   in Loop: Header=BB6_9353 Depth=3
	s_mov_b32 s13, -1
	s_mov_b32 s35, exec_lo
                                        ; implicit-def: $sgpr31
	v_cmpx_eq_u16_e32 0x80, v77
; %bb.10520:                            ;   in Loop: Header=BB6_9353 Depth=3
	s_mov_b32 s31, 0x7f800001
	s_xor_b32 s13, exec_lo, -1
; %bb.10521:                            ;   in Loop: Header=BB6_9353 Depth=3
	s_or_b32 exec_lo, exec_lo, s35
	s_delay_alu instid0(SALU_CYCLE_1)
	s_and_b32 s13, s13, exec_lo
                                        ; implicit-def: $vgpr77
	s_or_saveexec_b32 s34, s34
	v_mov_b32_e32 v76, s31
	s_xor_b32 exec_lo, exec_lo, s34
	s_cbranch_execz .LBB6_9791
.LBB6_10522:                            ;   in Loop: Header=BB6_9353 Depth=3
	v_cmp_ne_u16_e32 vcc_lo, 0, v77
	v_mov_b32_e32 v76, 0
	s_and_not1_b32 s13, s13, exec_lo
	s_and_b32 vcc_lo, vcc_lo, exec_lo
	s_delay_alu instid0(SALU_CYCLE_1)
	s_or_b32 s13, s13, vcc_lo
	s_or_b32 exec_lo, exec_lo, s34
	s_and_saveexec_b32 s31, s13
	s_cbranch_execnz .LBB6_9792
	s_branch .LBB6_9793
.LBB6_10523:                            ;   in Loop: Header=BB6_9353 Depth=3
	s_mov_b32 s13, -1
	s_mov_b32 s35, exec_lo
                                        ; implicit-def: $sgpr31
	v_cmpx_eq_u16_e32 0x80, v78
; %bb.10524:                            ;   in Loop: Header=BB6_9353 Depth=3
	s_mov_b32 s31, 0x7f800001
	s_xor_b32 s13, exec_lo, -1
; %bb.10525:                            ;   in Loop: Header=BB6_9353 Depth=3
	s_or_b32 exec_lo, exec_lo, s35
	s_delay_alu instid0(SALU_CYCLE_1)
	s_and_b32 s13, s13, exec_lo
                                        ; implicit-def: $vgpr78
	s_or_saveexec_b32 s34, s34
	v_mov_b32_e32 v77, s31
	s_xor_b32 exec_lo, exec_lo, s34
	s_cbranch_execz .LBB6_9795
.LBB6_10526:                            ;   in Loop: Header=BB6_9353 Depth=3
	v_cmp_ne_u16_e32 vcc_lo, 0, v78
	v_mov_b32_e32 v77, 0
	s_and_not1_b32 s13, s13, exec_lo
	s_and_b32 vcc_lo, vcc_lo, exec_lo
	s_delay_alu instid0(SALU_CYCLE_1)
	s_or_b32 s13, s13, vcc_lo
	s_or_b32 exec_lo, exec_lo, s34
	s_and_saveexec_b32 s31, s13
	s_cbranch_execnz .LBB6_9796
	s_branch .LBB6_9797
.LBB6_10527:                            ;   in Loop: Header=BB6_9353 Depth=3
	s_mov_b32 s13, -1
	s_mov_b32 s35, exec_lo
                                        ; implicit-def: $sgpr31
	v_cmpx_eq_u16_e32 0x80, v77
; %bb.10528:                            ;   in Loop: Header=BB6_9353 Depth=3
	s_mov_b32 s31, 0x7f800001
	s_xor_b32 s13, exec_lo, -1
; %bb.10529:                            ;   in Loop: Header=BB6_9353 Depth=3
	s_or_b32 exec_lo, exec_lo, s35
	s_delay_alu instid0(SALU_CYCLE_1)
	s_and_b32 s13, s13, exec_lo
                                        ; implicit-def: $vgpr77
	s_or_saveexec_b32 s34, s34
	v_mov_b32_e32 v76, s31
	s_xor_b32 exec_lo, exec_lo, s34
	s_cbranch_execz .LBB6_9802
.LBB6_10530:                            ;   in Loop: Header=BB6_9353 Depth=3
	v_cmp_ne_u16_e32 vcc_lo, 0, v77
	v_mov_b32_e32 v76, 0
	s_and_not1_b32 s13, s13, exec_lo
	s_and_b32 vcc_lo, vcc_lo, exec_lo
	s_delay_alu instid0(SALU_CYCLE_1)
	s_or_b32 s13, s13, vcc_lo
	s_or_b32 exec_lo, exec_lo, s34
	s_and_saveexec_b32 s31, s13
	s_cbranch_execnz .LBB6_9803
	s_branch .LBB6_9804
.LBB6_10531:                            ;   in Loop: Header=BB6_9353 Depth=3
	s_mov_b32 s13, -1
	s_mov_b32 s35, exec_lo
                                        ; implicit-def: $sgpr31
	v_cmpx_eq_u16_e32 0x80, v77
; %bb.10532:                            ;   in Loop: Header=BB6_9353 Depth=3
	s_mov_b32 s31, 0x7f800001
	s_xor_b32 s13, exec_lo, -1
; %bb.10533:                            ;   in Loop: Header=BB6_9353 Depth=3
	s_or_b32 exec_lo, exec_lo, s35
	s_delay_alu instid0(SALU_CYCLE_1)
	s_and_b32 s13, s13, exec_lo
                                        ; implicit-def: $vgpr77
	s_or_saveexec_b32 s34, s34
	v_mov_b32_e32 v75, s31
	s_xor_b32 exec_lo, exec_lo, s34
	s_cbranch_execz .LBB6_9806
.LBB6_10534:                            ;   in Loop: Header=BB6_9353 Depth=3
	v_cmp_ne_u16_e32 vcc_lo, 0, v77
	v_mov_b32_e32 v75, 0
	s_and_not1_b32 s13, s13, exec_lo
	s_and_b32 vcc_lo, vcc_lo, exec_lo
	s_delay_alu instid0(SALU_CYCLE_1)
	s_or_b32 s13, s13, vcc_lo
	s_or_b32 exec_lo, exec_lo, s34
	s_and_saveexec_b32 s31, s13
	s_cbranch_execnz .LBB6_9807
	s_branch .LBB6_9808
.LBB6_10535:                            ;   in Loop: Header=BB6_9353 Depth=3
	s_mov_b32 s13, -1
	s_mov_b32 s35, exec_lo
                                        ; implicit-def: $sgpr31
	v_cmpx_eq_u16_e32 0x80, v76
; %bb.10536:                            ;   in Loop: Header=BB6_9353 Depth=3
	s_mov_b32 s31, 0x7f800001
	s_xor_b32 s13, exec_lo, -1
; %bb.10537:                            ;   in Loop: Header=BB6_9353 Depth=3
	s_or_b32 exec_lo, exec_lo, s35
	s_delay_alu instid0(SALU_CYCLE_1)
	s_and_b32 s13, s13, exec_lo
                                        ; implicit-def: $vgpr76
	s_or_saveexec_b32 s34, s34
	v_mov_b32_e32 v75, s31
	s_xor_b32 exec_lo, exec_lo, s34
	s_cbranch_execz .LBB6_9820
.LBB6_10538:                            ;   in Loop: Header=BB6_9353 Depth=3
	v_cmp_ne_u16_e32 vcc_lo, 0, v76
	v_mov_b32_e32 v75, 0
	s_and_not1_b32 s13, s13, exec_lo
	s_and_b32 vcc_lo, vcc_lo, exec_lo
	s_delay_alu instid0(SALU_CYCLE_1)
	s_or_b32 s13, s13, vcc_lo
	s_or_b32 exec_lo, exec_lo, s34
	s_and_saveexec_b32 s31, s13
	s_cbranch_execnz .LBB6_9821
	s_branch .LBB6_9822
.LBB6_10539:                            ;   in Loop: Header=BB6_9353 Depth=3
	s_mov_b32 s13, -1
	s_mov_b32 s35, exec_lo
                                        ; implicit-def: $sgpr31
	v_cmpx_eq_u16_e32 0x80, v77
; %bb.10540:                            ;   in Loop: Header=BB6_9353 Depth=3
	s_mov_b32 s31, 0x7f800001
	s_xor_b32 s13, exec_lo, -1
; %bb.10541:                            ;   in Loop: Header=BB6_9353 Depth=3
	s_or_b32 exec_lo, exec_lo, s35
	s_delay_alu instid0(SALU_CYCLE_1)
	s_and_b32 s13, s13, exec_lo
                                        ; implicit-def: $vgpr77
	s_or_saveexec_b32 s34, s34
	v_mov_b32_e32 v76, s31
	s_xor_b32 exec_lo, exec_lo, s34
	s_cbranch_execz .LBB6_9824
.LBB6_10542:                            ;   in Loop: Header=BB6_9353 Depth=3
	v_cmp_ne_u16_e32 vcc_lo, 0, v77
	v_mov_b32_e32 v76, 0
	s_and_not1_b32 s13, s13, exec_lo
	s_and_b32 vcc_lo, vcc_lo, exec_lo
	s_delay_alu instid0(SALU_CYCLE_1)
	s_or_b32 s13, s13, vcc_lo
	s_or_b32 exec_lo, exec_lo, s34
	s_and_saveexec_b32 s31, s13
	s_cbranch_execnz .LBB6_9825
	s_branch .LBB6_9826
.LBB6_10543:                            ;   in Loop: Header=BB6_9353 Depth=3
	s_mov_b32 s13, -1
	s_mov_b32 s35, exec_lo
                                        ; implicit-def: $sgpr31
	v_cmpx_eq_u16_e32 0x80, v76
; %bb.10544:                            ;   in Loop: Header=BB6_9353 Depth=3
	s_mov_b32 s31, 0x7f800001
	s_xor_b32 s13, exec_lo, -1
; %bb.10545:                            ;   in Loop: Header=BB6_9353 Depth=3
	s_or_b32 exec_lo, exec_lo, s35
	s_delay_alu instid0(SALU_CYCLE_1)
	s_and_b32 s13, s13, exec_lo
                                        ; implicit-def: $vgpr76
	s_or_saveexec_b32 s34, s34
	v_mov_b32_e32 v75, s31
	s_xor_b32 exec_lo, exec_lo, s34
	s_cbranch_execz .LBB6_9831
.LBB6_10546:                            ;   in Loop: Header=BB6_9353 Depth=3
	v_cmp_ne_u16_e32 vcc_lo, 0, v76
	v_mov_b32_e32 v75, 0
	s_and_not1_b32 s13, s13, exec_lo
	s_and_b32 vcc_lo, vcc_lo, exec_lo
	s_delay_alu instid0(SALU_CYCLE_1)
	s_or_b32 s13, s13, vcc_lo
	s_or_b32 exec_lo, exec_lo, s34
	s_and_saveexec_b32 s31, s13
	s_cbranch_execnz .LBB6_9832
	s_branch .LBB6_9833
.LBB6_10547:                            ;   in Loop: Header=BB6_9353 Depth=3
	s_mov_b32 s13, -1
	s_mov_b32 s35, exec_lo
                                        ; implicit-def: $sgpr31
	v_cmpx_eq_u16_e32 0x80, v76
; %bb.10548:                            ;   in Loop: Header=BB6_9353 Depth=3
	s_mov_b32 s31, 0x7f800001
	s_xor_b32 s13, exec_lo, -1
; %bb.10549:                            ;   in Loop: Header=BB6_9353 Depth=3
	s_or_b32 exec_lo, exec_lo, s35
	s_delay_alu instid0(SALU_CYCLE_1)
	s_and_b32 s13, s13, exec_lo
                                        ; implicit-def: $vgpr76
	s_or_saveexec_b32 s34, s34
	v_mov_b32_e32 v73, s31
	s_xor_b32 exec_lo, exec_lo, s34
	s_cbranch_execz .LBB6_9835
.LBB6_10550:                            ;   in Loop: Header=BB6_9353 Depth=3
	v_cmp_ne_u16_e32 vcc_lo, 0, v76
	v_mov_b32_e32 v73, 0
	s_and_not1_b32 s13, s13, exec_lo
	s_and_b32 vcc_lo, vcc_lo, exec_lo
	s_delay_alu instid0(SALU_CYCLE_1)
	s_or_b32 s13, s13, vcc_lo
	s_or_b32 exec_lo, exec_lo, s34
	s_and_saveexec_b32 s31, s13
	s_cbranch_execnz .LBB6_9836
	s_branch .LBB6_9837
.LBB6_10551:                            ;   in Loop: Header=BB6_9353 Depth=3
	s_mov_b32 s13, -1
	s_mov_b32 s35, exec_lo
                                        ; implicit-def: $sgpr31
	v_cmpx_eq_u16_e32 0x80, v75
; %bb.10552:                            ;   in Loop: Header=BB6_9353 Depth=3
	s_mov_b32 s31, 0x7f800001
	s_xor_b32 s13, exec_lo, -1
; %bb.10553:                            ;   in Loop: Header=BB6_9353 Depth=3
	s_or_b32 exec_lo, exec_lo, s35
	s_delay_alu instid0(SALU_CYCLE_1)
	s_and_b32 s13, s13, exec_lo
                                        ; implicit-def: $vgpr75
	s_or_saveexec_b32 s34, s34
	v_mov_b32_e32 v73, s31
	s_xor_b32 exec_lo, exec_lo, s34
	s_cbranch_execz .LBB6_9849
.LBB6_10554:                            ;   in Loop: Header=BB6_9353 Depth=3
	v_cmp_ne_u16_e32 vcc_lo, 0, v75
	v_mov_b32_e32 v73, 0
	s_and_not1_b32 s13, s13, exec_lo
	s_and_b32 vcc_lo, vcc_lo, exec_lo
	s_delay_alu instid0(SALU_CYCLE_1)
	s_or_b32 s13, s13, vcc_lo
	s_or_b32 exec_lo, exec_lo, s34
	s_and_saveexec_b32 s31, s13
	s_cbranch_execnz .LBB6_9850
	s_branch .LBB6_9851
.LBB6_10555:                            ;   in Loop: Header=BB6_9353 Depth=3
	s_mov_b32 s13, -1
	s_mov_b32 s35, exec_lo
                                        ; implicit-def: $sgpr31
	v_cmpx_eq_u16_e32 0x80, v76
; %bb.10556:                            ;   in Loop: Header=BB6_9353 Depth=3
	s_mov_b32 s31, 0x7f800001
	s_xor_b32 s13, exec_lo, -1
; %bb.10557:                            ;   in Loop: Header=BB6_9353 Depth=3
	s_or_b32 exec_lo, exec_lo, s35
	s_delay_alu instid0(SALU_CYCLE_1)
	s_and_b32 s13, s13, exec_lo
                                        ; implicit-def: $vgpr76
	s_or_saveexec_b32 s34, s34
	v_mov_b32_e32 v75, s31
	s_xor_b32 exec_lo, exec_lo, s34
	s_cbranch_execz .LBB6_9853
.LBB6_10558:                            ;   in Loop: Header=BB6_9353 Depth=3
	v_cmp_ne_u16_e32 vcc_lo, 0, v76
	v_mov_b32_e32 v75, 0
	s_and_not1_b32 s13, s13, exec_lo
	s_and_b32 vcc_lo, vcc_lo, exec_lo
	s_delay_alu instid0(SALU_CYCLE_1)
	s_or_b32 s13, s13, vcc_lo
	s_or_b32 exec_lo, exec_lo, s34
	s_and_saveexec_b32 s31, s13
	s_cbranch_execnz .LBB6_9854
	s_branch .LBB6_9855
.LBB6_10559:                            ;   in Loop: Header=BB6_9353 Depth=3
	s_mov_b32 s13, -1
	s_mov_b32 s35, exec_lo
                                        ; implicit-def: $sgpr31
	v_cmpx_eq_u16_e32 0x80, v75
; %bb.10560:                            ;   in Loop: Header=BB6_9353 Depth=3
	s_mov_b32 s31, 0x7f800001
	s_xor_b32 s13, exec_lo, -1
; %bb.10561:                            ;   in Loop: Header=BB6_9353 Depth=3
	s_or_b32 exec_lo, exec_lo, s35
	s_delay_alu instid0(SALU_CYCLE_1)
	s_and_b32 s13, s13, exec_lo
                                        ; implicit-def: $vgpr75
	s_or_saveexec_b32 s34, s34
	v_mov_b32_e32 v73, s31
	s_xor_b32 exec_lo, exec_lo, s34
	s_cbranch_execz .LBB6_9860
.LBB6_10562:                            ;   in Loop: Header=BB6_9353 Depth=3
	v_cmp_ne_u16_e32 vcc_lo, 0, v75
	v_mov_b32_e32 v73, 0
	s_and_not1_b32 s13, s13, exec_lo
	s_and_b32 vcc_lo, vcc_lo, exec_lo
	s_delay_alu instid0(SALU_CYCLE_1)
	s_or_b32 s13, s13, vcc_lo
	s_or_b32 exec_lo, exec_lo, s34
	s_and_saveexec_b32 s31, s13
	s_cbranch_execnz .LBB6_9861
	s_branch .LBB6_9862
.LBB6_10563:                            ;   in Loop: Header=BB6_9353 Depth=3
	s_mov_b32 s13, -1
	s_mov_b32 s35, exec_lo
                                        ; implicit-def: $sgpr31
	v_cmpx_eq_u16_e32 0x80, v75
; %bb.10564:                            ;   in Loop: Header=BB6_9353 Depth=3
	s_mov_b32 s31, 0x7f800001
	s_xor_b32 s13, exec_lo, -1
; %bb.10565:                            ;   in Loop: Header=BB6_9353 Depth=3
	s_or_b32 exec_lo, exec_lo, s35
	s_delay_alu instid0(SALU_CYCLE_1)
	s_and_b32 s13, s13, exec_lo
                                        ; implicit-def: $vgpr75
	s_or_saveexec_b32 s34, s34
	v_mov_b32_e32 v62, s31
	s_xor_b32 exec_lo, exec_lo, s34
	s_cbranch_execz .LBB6_9864
.LBB6_10566:                            ;   in Loop: Header=BB6_9353 Depth=3
	v_cmp_ne_u16_e32 vcc_lo, 0, v75
	v_mov_b32_e32 v62, 0
	s_and_not1_b32 s13, s13, exec_lo
	s_and_b32 vcc_lo, vcc_lo, exec_lo
	s_delay_alu instid0(SALU_CYCLE_1)
	s_or_b32 s13, s13, vcc_lo
	s_or_b32 exec_lo, exec_lo, s34
	s_and_saveexec_b32 s31, s13
	s_cbranch_execnz .LBB6_9865
	s_branch .LBB6_9866
.LBB6_10567:                            ;   in Loop: Header=BB6_9353 Depth=3
	s_mov_b32 s13, -1
	s_mov_b32 s35, exec_lo
                                        ; implicit-def: $sgpr31
	v_cmpx_eq_u16_e32 0x80, v73
; %bb.10568:                            ;   in Loop: Header=BB6_9353 Depth=3
	s_mov_b32 s31, 0x7f800001
	s_xor_b32 s13, exec_lo, -1
; %bb.10569:                            ;   in Loop: Header=BB6_9353 Depth=3
	s_or_b32 exec_lo, exec_lo, s35
	s_delay_alu instid0(SALU_CYCLE_1)
	s_and_b32 s13, s13, exec_lo
                                        ; implicit-def: $vgpr73
	s_or_saveexec_b32 s34, s34
	v_mov_b32_e32 v62, s31
	s_xor_b32 exec_lo, exec_lo, s34
	s_cbranch_execz .LBB6_9878
.LBB6_10570:                            ;   in Loop: Header=BB6_9353 Depth=3
	v_cmp_ne_u16_e32 vcc_lo, 0, v73
	v_mov_b32_e32 v62, 0
	s_and_not1_b32 s13, s13, exec_lo
	s_and_b32 vcc_lo, vcc_lo, exec_lo
	s_delay_alu instid0(SALU_CYCLE_1)
	s_or_b32 s13, s13, vcc_lo
	s_or_b32 exec_lo, exec_lo, s34
	s_and_saveexec_b32 s31, s13
	s_cbranch_execnz .LBB6_9879
	s_branch .LBB6_9880
.LBB6_10571:                            ;   in Loop: Header=BB6_9353 Depth=3
	s_mov_b32 s13, -1
	s_mov_b32 s35, exec_lo
                                        ; implicit-def: $sgpr31
	v_cmpx_eq_u16_e32 0x80, v75
; %bb.10572:                            ;   in Loop: Header=BB6_9353 Depth=3
	s_mov_b32 s31, 0x7f800001
	s_xor_b32 s13, exec_lo, -1
; %bb.10573:                            ;   in Loop: Header=BB6_9353 Depth=3
	s_or_b32 exec_lo, exec_lo, s35
	s_delay_alu instid0(SALU_CYCLE_1)
	s_and_b32 s13, s13, exec_lo
                                        ; implicit-def: $vgpr75
	s_or_saveexec_b32 s34, s34
	v_mov_b32_e32 v73, s31
	s_xor_b32 exec_lo, exec_lo, s34
	s_cbranch_execz .LBB6_9882
.LBB6_10574:                            ;   in Loop: Header=BB6_9353 Depth=3
	v_cmp_ne_u16_e32 vcc_lo, 0, v75
	v_mov_b32_e32 v73, 0
	s_and_not1_b32 s13, s13, exec_lo
	s_and_b32 vcc_lo, vcc_lo, exec_lo
	s_delay_alu instid0(SALU_CYCLE_1)
	s_or_b32 s13, s13, vcc_lo
	s_or_b32 exec_lo, exec_lo, s34
	s_and_saveexec_b32 s31, s13
	s_cbranch_execnz .LBB6_9883
	s_branch .LBB6_9884
.LBB6_10575:                            ;   in Loop: Header=BB6_9353 Depth=3
	s_mov_b32 s13, -1
	s_mov_b32 s35, exec_lo
                                        ; implicit-def: $sgpr31
	v_cmpx_eq_u16_e32 0x80, v73
; %bb.10576:                            ;   in Loop: Header=BB6_9353 Depth=3
	s_mov_b32 s31, 0x7f800001
	s_xor_b32 s13, exec_lo, -1
; %bb.10577:                            ;   in Loop: Header=BB6_9353 Depth=3
	s_or_b32 exec_lo, exec_lo, s35
	s_delay_alu instid0(SALU_CYCLE_1)
	s_and_b32 s13, s13, exec_lo
                                        ; implicit-def: $vgpr73
	s_or_saveexec_b32 s34, s34
	v_mov_b32_e32 v62, s31
	s_xor_b32 exec_lo, exec_lo, s34
	s_cbranch_execz .LBB6_9889
.LBB6_10578:                            ;   in Loop: Header=BB6_9353 Depth=3
	v_cmp_ne_u16_e32 vcc_lo, 0, v73
	v_mov_b32_e32 v62, 0
	s_and_not1_b32 s13, s13, exec_lo
	s_and_b32 vcc_lo, vcc_lo, exec_lo
	s_delay_alu instid0(SALU_CYCLE_1)
	s_or_b32 s13, s13, vcc_lo
	s_or_b32 exec_lo, exec_lo, s34
	s_and_saveexec_b32 s31, s13
	s_cbranch_execnz .LBB6_9890
	s_branch .LBB6_9891
.LBB6_10579:                            ;   in Loop: Header=BB6_9353 Depth=3
	s_mov_b32 s13, -1
	s_mov_b32 s35, exec_lo
                                        ; implicit-def: $sgpr31
	v_cmpx_eq_u16_e32 0x80, v73
; %bb.10580:                            ;   in Loop: Header=BB6_9353 Depth=3
	s_mov_b32 s31, 0x7f800001
	s_xor_b32 s13, exec_lo, -1
; %bb.10581:                            ;   in Loop: Header=BB6_9353 Depth=3
	s_or_b32 exec_lo, exec_lo, s35
	s_delay_alu instid0(SALU_CYCLE_1)
	s_and_b32 s13, s13, exec_lo
                                        ; implicit-def: $vgpr73
	s_or_saveexec_b32 s34, s34
	v_mov_b32_e32 v59, s31
	s_xor_b32 exec_lo, exec_lo, s34
	s_cbranch_execz .LBB6_9893
.LBB6_10582:                            ;   in Loop: Header=BB6_9353 Depth=3
	v_cmp_ne_u16_e32 vcc_lo, 0, v73
	v_mov_b32_e32 v59, 0
	s_and_not1_b32 s13, s13, exec_lo
	s_and_b32 vcc_lo, vcc_lo, exec_lo
	s_delay_alu instid0(SALU_CYCLE_1)
	s_or_b32 s13, s13, vcc_lo
	s_or_b32 exec_lo, exec_lo, s34
	s_and_saveexec_b32 s31, s13
	s_cbranch_execnz .LBB6_9894
	s_branch .LBB6_9895
.LBB6_10583:                            ;   in Loop: Header=BB6_9353 Depth=3
	s_mov_b32 s13, -1
	s_mov_b32 s35, exec_lo
                                        ; implicit-def: $sgpr31
	v_cmpx_eq_u16_e32 0x80, v62
; %bb.10584:                            ;   in Loop: Header=BB6_9353 Depth=3
	s_mov_b32 s31, 0x7f800001
	s_xor_b32 s13, exec_lo, -1
; %bb.10585:                            ;   in Loop: Header=BB6_9353 Depth=3
	s_or_b32 exec_lo, exec_lo, s35
	s_delay_alu instid0(SALU_CYCLE_1)
	s_and_b32 s13, s13, exec_lo
                                        ; implicit-def: $vgpr62
	s_or_saveexec_b32 s34, s34
	v_mov_b32_e32 v59, s31
	s_xor_b32 exec_lo, exec_lo, s34
	s_cbranch_execz .LBB6_9907
.LBB6_10586:                            ;   in Loop: Header=BB6_9353 Depth=3
	v_cmp_ne_u16_e32 vcc_lo, 0, v62
	v_mov_b32_e32 v59, 0
	s_and_not1_b32 s13, s13, exec_lo
	s_and_b32 vcc_lo, vcc_lo, exec_lo
	s_delay_alu instid0(SALU_CYCLE_1)
	s_or_b32 s13, s13, vcc_lo
	s_or_b32 exec_lo, exec_lo, s34
	s_and_saveexec_b32 s31, s13
	s_cbranch_execnz .LBB6_9908
	s_branch .LBB6_9909
.LBB6_10587:                            ;   in Loop: Header=BB6_9353 Depth=3
	s_mov_b32 s13, -1
	s_mov_b32 s35, exec_lo
                                        ; implicit-def: $sgpr31
	v_cmpx_eq_u16_e32 0x80, v73
; %bb.10588:                            ;   in Loop: Header=BB6_9353 Depth=3
	s_mov_b32 s31, 0x7f800001
	s_xor_b32 s13, exec_lo, -1
; %bb.10589:                            ;   in Loop: Header=BB6_9353 Depth=3
	s_or_b32 exec_lo, exec_lo, s35
	s_delay_alu instid0(SALU_CYCLE_1)
	s_and_b32 s13, s13, exec_lo
                                        ; implicit-def: $vgpr73
	s_or_saveexec_b32 s34, s34
	v_mov_b32_e32 v62, s31
	s_xor_b32 exec_lo, exec_lo, s34
	s_cbranch_execz .LBB6_9911
.LBB6_10590:                            ;   in Loop: Header=BB6_9353 Depth=3
	v_cmp_ne_u16_e32 vcc_lo, 0, v73
	v_mov_b32_e32 v62, 0
	s_and_not1_b32 s13, s13, exec_lo
	s_and_b32 vcc_lo, vcc_lo, exec_lo
	s_delay_alu instid0(SALU_CYCLE_1)
	s_or_b32 s13, s13, vcc_lo
	s_or_b32 exec_lo, exec_lo, s34
	s_and_saveexec_b32 s31, s13
	s_cbranch_execnz .LBB6_9912
	s_branch .LBB6_9913
.LBB6_10591:                            ;   in Loop: Header=BB6_9353 Depth=3
	s_mov_b32 s13, -1
	s_mov_b32 s35, exec_lo
                                        ; implicit-def: $sgpr31
	v_cmpx_eq_u16_e32 0x80, v62
; %bb.10592:                            ;   in Loop: Header=BB6_9353 Depth=3
	s_mov_b32 s31, 0x7f800001
	s_xor_b32 s13, exec_lo, -1
; %bb.10593:                            ;   in Loop: Header=BB6_9353 Depth=3
	s_or_b32 exec_lo, exec_lo, s35
	s_delay_alu instid0(SALU_CYCLE_1)
	s_and_b32 s13, s13, exec_lo
                                        ; implicit-def: $vgpr62
	s_or_saveexec_b32 s34, s34
	v_mov_b32_e32 v59, s31
	s_xor_b32 exec_lo, exec_lo, s34
	s_cbranch_execz .LBB6_9918
.LBB6_10594:                            ;   in Loop: Header=BB6_9353 Depth=3
	v_cmp_ne_u16_e32 vcc_lo, 0, v62
	v_mov_b32_e32 v59, 0
	s_and_not1_b32 s13, s13, exec_lo
	s_and_b32 vcc_lo, vcc_lo, exec_lo
	s_delay_alu instid0(SALU_CYCLE_1)
	s_or_b32 s13, s13, vcc_lo
	s_or_b32 exec_lo, exec_lo, s34
	s_and_saveexec_b32 s31, s13
	s_cbranch_execnz .LBB6_9919
	s_branch .LBB6_9920
.LBB6_10595:                            ;   in Loop: Header=BB6_9353 Depth=3
	s_mov_b32 s13, -1
	s_mov_b32 s35, exec_lo
                                        ; implicit-def: $sgpr31
	v_cmpx_eq_u16_e32 0x80, v62
; %bb.10596:                            ;   in Loop: Header=BB6_9353 Depth=3
	s_mov_b32 s31, 0x7f800001
	s_xor_b32 s13, exec_lo, -1
; %bb.10597:                            ;   in Loop: Header=BB6_9353 Depth=3
	s_or_b32 exec_lo, exec_lo, s35
	s_delay_alu instid0(SALU_CYCLE_1)
	s_and_b32 s13, s13, exec_lo
                                        ; implicit-def: $vgpr62
	s_or_saveexec_b32 s34, s34
	v_mov_b32_e32 v56, s31
	s_xor_b32 exec_lo, exec_lo, s34
	s_cbranch_execz .LBB6_9922
.LBB6_10598:                            ;   in Loop: Header=BB6_9353 Depth=3
	v_cmp_ne_u16_e32 vcc_lo, 0, v62
	v_mov_b32_e32 v56, 0
	s_and_not1_b32 s13, s13, exec_lo
	s_and_b32 vcc_lo, vcc_lo, exec_lo
	s_delay_alu instid0(SALU_CYCLE_1)
	s_or_b32 s13, s13, vcc_lo
	s_or_b32 exec_lo, exec_lo, s34
	s_and_saveexec_b32 s31, s13
	s_cbranch_execnz .LBB6_9923
	s_branch .LBB6_9924
.LBB6_10599:                            ;   in Loop: Header=BB6_9353 Depth=3
	s_mov_b32 s13, -1
	s_mov_b32 s35, exec_lo
                                        ; implicit-def: $sgpr31
	v_cmpx_eq_u16_e32 0x80, v59
; %bb.10600:                            ;   in Loop: Header=BB6_9353 Depth=3
	s_mov_b32 s31, 0x7f800001
	s_xor_b32 s13, exec_lo, -1
; %bb.10601:                            ;   in Loop: Header=BB6_9353 Depth=3
	s_or_b32 exec_lo, exec_lo, s35
	s_delay_alu instid0(SALU_CYCLE_1)
	s_and_b32 s13, s13, exec_lo
                                        ; implicit-def: $vgpr59
	s_or_saveexec_b32 s34, s34
	v_mov_b32_e32 v56, s31
	s_xor_b32 exec_lo, exec_lo, s34
	s_cbranch_execz .LBB6_9936
.LBB6_10602:                            ;   in Loop: Header=BB6_9353 Depth=3
	v_cmp_ne_u16_e32 vcc_lo, 0, v59
	v_mov_b32_e32 v56, 0
	s_and_not1_b32 s13, s13, exec_lo
	s_and_b32 vcc_lo, vcc_lo, exec_lo
	s_delay_alu instid0(SALU_CYCLE_1)
	s_or_b32 s13, s13, vcc_lo
	s_or_b32 exec_lo, exec_lo, s34
	s_and_saveexec_b32 s31, s13
	s_cbranch_execnz .LBB6_9937
	s_branch .LBB6_9938
.LBB6_10603:                            ;   in Loop: Header=BB6_9353 Depth=3
	s_mov_b32 s13, -1
	s_mov_b32 s35, exec_lo
                                        ; implicit-def: $sgpr31
	v_cmpx_eq_u16_e32 0x80, v62
; %bb.10604:                            ;   in Loop: Header=BB6_9353 Depth=3
	s_mov_b32 s31, 0x7f800001
	s_xor_b32 s13, exec_lo, -1
; %bb.10605:                            ;   in Loop: Header=BB6_9353 Depth=3
	s_or_b32 exec_lo, exec_lo, s35
	s_delay_alu instid0(SALU_CYCLE_1)
	s_and_b32 s13, s13, exec_lo
                                        ; implicit-def: $vgpr62
	s_or_saveexec_b32 s34, s34
	v_mov_b32_e32 v59, s31
	s_xor_b32 exec_lo, exec_lo, s34
	s_cbranch_execz .LBB6_9940
.LBB6_10606:                            ;   in Loop: Header=BB6_9353 Depth=3
	v_cmp_ne_u16_e32 vcc_lo, 0, v62
	v_mov_b32_e32 v59, 0
	s_and_not1_b32 s13, s13, exec_lo
	s_and_b32 vcc_lo, vcc_lo, exec_lo
	s_delay_alu instid0(SALU_CYCLE_1)
	s_or_b32 s13, s13, vcc_lo
	s_or_b32 exec_lo, exec_lo, s34
	s_and_saveexec_b32 s31, s13
	s_cbranch_execnz .LBB6_9941
	s_branch .LBB6_9942
.LBB6_10607:                            ;   in Loop: Header=BB6_9353 Depth=3
	s_mov_b32 s13, -1
	s_mov_b32 s35, exec_lo
                                        ; implicit-def: $sgpr31
	v_cmpx_eq_u16_e32 0x80, v59
; %bb.10608:                            ;   in Loop: Header=BB6_9353 Depth=3
	s_mov_b32 s31, 0x7f800001
	s_xor_b32 s13, exec_lo, -1
; %bb.10609:                            ;   in Loop: Header=BB6_9353 Depth=3
	s_or_b32 exec_lo, exec_lo, s35
	s_delay_alu instid0(SALU_CYCLE_1)
	s_and_b32 s13, s13, exec_lo
                                        ; implicit-def: $vgpr59
	s_or_saveexec_b32 s34, s34
	v_mov_b32_e32 v56, s31
	s_xor_b32 exec_lo, exec_lo, s34
	s_cbranch_execz .LBB6_9947
.LBB6_10610:                            ;   in Loop: Header=BB6_9353 Depth=3
	v_cmp_ne_u16_e32 vcc_lo, 0, v59
	v_mov_b32_e32 v56, 0
	s_and_not1_b32 s13, s13, exec_lo
	s_and_b32 vcc_lo, vcc_lo, exec_lo
	s_delay_alu instid0(SALU_CYCLE_1)
	s_or_b32 s13, s13, vcc_lo
	s_or_b32 exec_lo, exec_lo, s34
	s_and_saveexec_b32 s31, s13
	s_cbranch_execnz .LBB6_9948
	s_branch .LBB6_9949
.LBB6_10611:                            ;   in Loop: Header=BB6_9353 Depth=3
	s_mov_b32 s13, -1
	s_mov_b32 s35, exec_lo
                                        ; implicit-def: $sgpr31
	v_cmpx_eq_u16_e32 0x80, v59
; %bb.10612:                            ;   in Loop: Header=BB6_9353 Depth=3
	s_mov_b32 s31, 0x7f800001
	s_xor_b32 s13, exec_lo, -1
; %bb.10613:                            ;   in Loop: Header=BB6_9353 Depth=3
	s_or_b32 exec_lo, exec_lo, s35
	s_delay_alu instid0(SALU_CYCLE_1)
	s_and_b32 s13, s13, exec_lo
                                        ; implicit-def: $vgpr59
	s_or_saveexec_b32 s34, s34
	v_mov_b32_e32 v45, s31
	s_xor_b32 exec_lo, exec_lo, s34
	s_cbranch_execz .LBB6_9951
.LBB6_10614:                            ;   in Loop: Header=BB6_9353 Depth=3
	v_cmp_ne_u16_e32 vcc_lo, 0, v59
	v_mov_b32_e32 v45, 0
	s_and_not1_b32 s13, s13, exec_lo
	s_and_b32 vcc_lo, vcc_lo, exec_lo
	s_delay_alu instid0(SALU_CYCLE_1)
	s_or_b32 s13, s13, vcc_lo
	s_or_b32 exec_lo, exec_lo, s34
	s_and_saveexec_b32 s31, s13
	s_cbranch_execnz .LBB6_9952
	s_branch .LBB6_9953
.LBB6_10615:                            ;   in Loop: Header=BB6_9353 Depth=3
	s_mov_b32 s13, -1
	s_mov_b32 s35, exec_lo
                                        ; implicit-def: $sgpr31
	v_cmpx_eq_u16_e32 0x80, v56
; %bb.10616:                            ;   in Loop: Header=BB6_9353 Depth=3
	s_mov_b32 s31, 0x7f800001
	s_xor_b32 s13, exec_lo, -1
; %bb.10617:                            ;   in Loop: Header=BB6_9353 Depth=3
	s_or_b32 exec_lo, exec_lo, s35
	s_delay_alu instid0(SALU_CYCLE_1)
	s_and_b32 s13, s13, exec_lo
                                        ; implicit-def: $vgpr56
	s_or_saveexec_b32 s34, s34
	v_mov_b32_e32 v45, s31
	s_xor_b32 exec_lo, exec_lo, s34
	s_cbranch_execz .LBB6_9965
.LBB6_10618:                            ;   in Loop: Header=BB6_9353 Depth=3
	v_cmp_ne_u16_e32 vcc_lo, 0, v56
	v_mov_b32_e32 v45, 0
	s_and_not1_b32 s13, s13, exec_lo
	s_and_b32 vcc_lo, vcc_lo, exec_lo
	s_delay_alu instid0(SALU_CYCLE_1)
	s_or_b32 s13, s13, vcc_lo
	s_or_b32 exec_lo, exec_lo, s34
	s_and_saveexec_b32 s31, s13
	s_cbranch_execnz .LBB6_9966
	s_branch .LBB6_9967
.LBB6_10619:                            ;   in Loop: Header=BB6_9353 Depth=3
	s_mov_b32 s13, -1
	s_mov_b32 s35, exec_lo
                                        ; implicit-def: $sgpr31
	v_cmpx_eq_u16_e32 0x80, v59
; %bb.10620:                            ;   in Loop: Header=BB6_9353 Depth=3
	s_mov_b32 s31, 0x7f800001
	s_xor_b32 s13, exec_lo, -1
; %bb.10621:                            ;   in Loop: Header=BB6_9353 Depth=3
	s_or_b32 exec_lo, exec_lo, s35
	s_delay_alu instid0(SALU_CYCLE_1)
	s_and_b32 s13, s13, exec_lo
                                        ; implicit-def: $vgpr59
	s_or_saveexec_b32 s34, s34
	v_mov_b32_e32 v56, s31
	s_xor_b32 exec_lo, exec_lo, s34
	s_cbranch_execz .LBB6_9969
.LBB6_10622:                            ;   in Loop: Header=BB6_9353 Depth=3
	v_cmp_ne_u16_e32 vcc_lo, 0, v59
	v_mov_b32_e32 v56, 0
	s_and_not1_b32 s13, s13, exec_lo
	s_and_b32 vcc_lo, vcc_lo, exec_lo
	s_delay_alu instid0(SALU_CYCLE_1)
	s_or_b32 s13, s13, vcc_lo
	s_or_b32 exec_lo, exec_lo, s34
	s_and_saveexec_b32 s31, s13
	s_cbranch_execnz .LBB6_9970
	s_branch .LBB6_9971
.LBB6_10623:                            ;   in Loop: Header=BB6_9353 Depth=3
	s_mov_b32 s13, -1
	s_mov_b32 s35, exec_lo
                                        ; implicit-def: $sgpr31
	v_cmpx_eq_u16_e32 0x80, v56
; %bb.10624:                            ;   in Loop: Header=BB6_9353 Depth=3
	s_mov_b32 s31, 0x7f800001
	s_xor_b32 s13, exec_lo, -1
; %bb.10625:                            ;   in Loop: Header=BB6_9353 Depth=3
	s_or_b32 exec_lo, exec_lo, s35
	s_delay_alu instid0(SALU_CYCLE_1)
	s_and_b32 s13, s13, exec_lo
                                        ; implicit-def: $vgpr56
	s_or_saveexec_b32 s34, s34
	v_mov_b32_e32 v45, s31
	s_xor_b32 exec_lo, exec_lo, s34
	s_cbranch_execz .LBB6_9976
.LBB6_10626:                            ;   in Loop: Header=BB6_9353 Depth=3
	v_cmp_ne_u16_e32 vcc_lo, 0, v56
	v_mov_b32_e32 v45, 0
	s_and_not1_b32 s13, s13, exec_lo
	s_and_b32 vcc_lo, vcc_lo, exec_lo
	s_delay_alu instid0(SALU_CYCLE_1)
	s_or_b32 s13, s13, vcc_lo
	s_or_b32 exec_lo, exec_lo, s34
	s_and_saveexec_b32 s31, s13
	s_cbranch_execnz .LBB6_9977
	s_branch .LBB6_9978
.LBB6_10627:                            ;   in Loop: Header=BB6_9353 Depth=3
	s_mov_b32 s13, -1
	s_mov_b32 s35, exec_lo
                                        ; implicit-def: $sgpr31
	v_cmpx_eq_u16_e32 0x80, v56
; %bb.10628:                            ;   in Loop: Header=BB6_9353 Depth=3
	s_mov_b32 s31, 0x7f800001
	s_xor_b32 s13, exec_lo, -1
; %bb.10629:                            ;   in Loop: Header=BB6_9353 Depth=3
	s_or_b32 exec_lo, exec_lo, s35
	s_delay_alu instid0(SALU_CYCLE_1)
	s_and_b32 s13, s13, exec_lo
                                        ; implicit-def: $vgpr56
	s_or_saveexec_b32 s34, s34
	v_mov_b32_e32 v42, s31
	s_xor_b32 exec_lo, exec_lo, s34
	s_cbranch_execz .LBB6_9980
.LBB6_10630:                            ;   in Loop: Header=BB6_9353 Depth=3
	v_cmp_ne_u16_e32 vcc_lo, 0, v56
	v_mov_b32_e32 v42, 0
	s_and_not1_b32 s13, s13, exec_lo
	s_and_b32 vcc_lo, vcc_lo, exec_lo
	s_delay_alu instid0(SALU_CYCLE_1)
	s_or_b32 s13, s13, vcc_lo
	s_or_b32 exec_lo, exec_lo, s34
	s_and_saveexec_b32 s31, s13
	s_cbranch_execnz .LBB6_9981
	s_branch .LBB6_9982
.LBB6_10631:                            ;   in Loop: Header=BB6_9353 Depth=3
	s_mov_b32 s13, -1
	s_mov_b32 s35, exec_lo
                                        ; implicit-def: $sgpr31
	v_cmpx_eq_u16_e32 0x80, v45
; %bb.10632:                            ;   in Loop: Header=BB6_9353 Depth=3
	s_mov_b32 s31, 0x7f800001
	s_xor_b32 s13, exec_lo, -1
; %bb.10633:                            ;   in Loop: Header=BB6_9353 Depth=3
	s_or_b32 exec_lo, exec_lo, s35
	s_delay_alu instid0(SALU_CYCLE_1)
	s_and_b32 s13, s13, exec_lo
                                        ; implicit-def: $vgpr45
	s_or_saveexec_b32 s34, s34
	v_mov_b32_e32 v42, s31
	s_xor_b32 exec_lo, exec_lo, s34
	s_cbranch_execz .LBB6_9994
.LBB6_10634:                            ;   in Loop: Header=BB6_9353 Depth=3
	v_cmp_ne_u16_e32 vcc_lo, 0, v45
	v_mov_b32_e32 v42, 0
	s_and_not1_b32 s13, s13, exec_lo
	s_and_b32 vcc_lo, vcc_lo, exec_lo
	s_delay_alu instid0(SALU_CYCLE_1)
	s_or_b32 s13, s13, vcc_lo
	s_or_b32 exec_lo, exec_lo, s34
	s_and_saveexec_b32 s31, s13
	s_cbranch_execnz .LBB6_9995
	s_branch .LBB6_9996
.LBB6_10635:                            ;   in Loop: Header=BB6_9353 Depth=3
	s_mov_b32 s13, -1
	s_mov_b32 s35, exec_lo
                                        ; implicit-def: $sgpr31
	v_cmpx_eq_u16_e32 0x80, v56
; %bb.10636:                            ;   in Loop: Header=BB6_9353 Depth=3
	s_mov_b32 s31, 0x7f800001
	s_xor_b32 s13, exec_lo, -1
; %bb.10637:                            ;   in Loop: Header=BB6_9353 Depth=3
	s_or_b32 exec_lo, exec_lo, s35
	s_delay_alu instid0(SALU_CYCLE_1)
	s_and_b32 s13, s13, exec_lo
                                        ; implicit-def: $vgpr56
	s_or_saveexec_b32 s34, s34
	v_mov_b32_e32 v45, s31
	s_xor_b32 exec_lo, exec_lo, s34
	s_cbranch_execz .LBB6_9998
.LBB6_10638:                            ;   in Loop: Header=BB6_9353 Depth=3
	v_cmp_ne_u16_e32 vcc_lo, 0, v56
	v_mov_b32_e32 v45, 0
	s_and_not1_b32 s13, s13, exec_lo
	s_and_b32 vcc_lo, vcc_lo, exec_lo
	s_delay_alu instid0(SALU_CYCLE_1)
	s_or_b32 s13, s13, vcc_lo
	s_or_b32 exec_lo, exec_lo, s34
	s_and_saveexec_b32 s31, s13
	s_cbranch_execnz .LBB6_9999
	s_branch .LBB6_10000
.LBB6_10639:                            ;   in Loop: Header=BB6_9353 Depth=3
	s_mov_b32 s13, -1
	s_mov_b32 s35, exec_lo
                                        ; implicit-def: $sgpr31
	v_cmpx_eq_u16_e32 0x80, v45
; %bb.10640:                            ;   in Loop: Header=BB6_9353 Depth=3
	s_mov_b32 s31, 0x7f800001
	s_xor_b32 s13, exec_lo, -1
; %bb.10641:                            ;   in Loop: Header=BB6_9353 Depth=3
	s_or_b32 exec_lo, exec_lo, s35
	s_delay_alu instid0(SALU_CYCLE_1)
	s_and_b32 s13, s13, exec_lo
                                        ; implicit-def: $vgpr45
	s_or_saveexec_b32 s34, s34
	v_mov_b32_e32 v42, s31
	s_xor_b32 exec_lo, exec_lo, s34
	s_cbranch_execz .LBB6_10005
.LBB6_10642:                            ;   in Loop: Header=BB6_9353 Depth=3
	v_cmp_ne_u16_e32 vcc_lo, 0, v45
	v_mov_b32_e32 v42, 0
	s_and_not1_b32 s13, s13, exec_lo
	s_and_b32 vcc_lo, vcc_lo, exec_lo
	s_delay_alu instid0(SALU_CYCLE_1)
	s_or_b32 s13, s13, vcc_lo
	s_or_b32 exec_lo, exec_lo, s34
	s_and_saveexec_b32 s31, s13
	s_cbranch_execnz .LBB6_10006
	s_branch .LBB6_10007
.LBB6_10643:                            ;   in Loop: Header=BB6_9353 Depth=3
	s_mov_b32 s13, -1
	s_mov_b32 s35, exec_lo
                                        ; implicit-def: $sgpr31
	v_cmpx_eq_u16_e32 0x80, v45
; %bb.10644:                            ;   in Loop: Header=BB6_9353 Depth=3
	s_mov_b32 s31, 0x7f800001
	s_xor_b32 s13, exec_lo, -1
; %bb.10645:                            ;   in Loop: Header=BB6_9353 Depth=3
	s_or_b32 exec_lo, exec_lo, s35
	s_delay_alu instid0(SALU_CYCLE_1)
	s_and_b32 s13, s13, exec_lo
                                        ; implicit-def: $vgpr45
	s_or_saveexec_b32 s34, s34
	v_mov_b32_e32 v183, s31
	s_xor_b32 exec_lo, exec_lo, s34
	s_cbranch_execz .LBB6_10009
.LBB6_10646:                            ;   in Loop: Header=BB6_9353 Depth=3
	v_cmp_ne_u16_e32 vcc_lo, 0, v45
	v_mov_b32_e32 v183, 0
	s_and_not1_b32 s13, s13, exec_lo
	s_and_b32 vcc_lo, vcc_lo, exec_lo
	s_delay_alu instid0(SALU_CYCLE_1)
	s_or_b32 s13, s13, vcc_lo
	s_or_b32 exec_lo, exec_lo, s34
	s_and_saveexec_b32 s31, s13
	s_cbranch_execnz .LBB6_10010
	s_branch .LBB6_10011
.LBB6_10647:                            ;   in Loop: Header=BB6_9353 Depth=3
	s_mov_b32 s13, -1
	s_mov_b32 s35, exec_lo
                                        ; implicit-def: $sgpr31
	v_cmpx_eq_u16_e32 0x80, v42
; %bb.10648:                            ;   in Loop: Header=BB6_9353 Depth=3
	s_mov_b32 s31, 0x7f800001
	s_xor_b32 s13, exec_lo, -1
; %bb.10649:                            ;   in Loop: Header=BB6_9353 Depth=3
	s_or_b32 exec_lo, exec_lo, s35
	s_delay_alu instid0(SALU_CYCLE_1)
	s_and_b32 s13, s13, exec_lo
                                        ; implicit-def: $vgpr42
	s_or_saveexec_b32 s34, s34
	v_mov_b32_e32 v183, s31
	s_xor_b32 exec_lo, exec_lo, s34
	s_cbranch_execz .LBB6_10023
.LBB6_10650:                            ;   in Loop: Header=BB6_9353 Depth=3
	v_cmp_ne_u16_e32 vcc_lo, 0, v42
	v_mov_b32_e32 v183, 0
	s_and_not1_b32 s13, s13, exec_lo
	s_and_b32 vcc_lo, vcc_lo, exec_lo
	s_delay_alu instid0(SALU_CYCLE_1)
	s_or_b32 s13, s13, vcc_lo
	s_or_b32 exec_lo, exec_lo, s34
	s_and_saveexec_b32 s31, s13
	s_cbranch_execnz .LBB6_10024
	s_branch .LBB6_10025
.LBB6_10651:                            ;   in Loop: Header=BB6_9353 Depth=3
	s_mov_b32 s13, -1
	s_mov_b32 s35, exec_lo
                                        ; implicit-def: $sgpr31
	v_cmpx_eq_u16_e32 0x80, v45
; %bb.10652:                            ;   in Loop: Header=BB6_9353 Depth=3
	s_mov_b32 s31, 0x7f800001
	s_xor_b32 s13, exec_lo, -1
; %bb.10653:                            ;   in Loop: Header=BB6_9353 Depth=3
	s_or_b32 exec_lo, exec_lo, s35
	s_delay_alu instid0(SALU_CYCLE_1)
	s_and_b32 s13, s13, exec_lo
                                        ; implicit-def: $vgpr45
	s_or_saveexec_b32 s34, s34
	v_mov_b32_e32 v42, s31
	s_xor_b32 exec_lo, exec_lo, s34
	s_cbranch_execz .LBB6_10027
.LBB6_10654:                            ;   in Loop: Header=BB6_9353 Depth=3
	v_cmp_ne_u16_e32 vcc_lo, 0, v45
	v_mov_b32_e32 v42, 0
	s_and_not1_b32 s13, s13, exec_lo
	s_and_b32 vcc_lo, vcc_lo, exec_lo
	s_delay_alu instid0(SALU_CYCLE_1)
	s_or_b32 s13, s13, vcc_lo
	s_or_b32 exec_lo, exec_lo, s34
	s_and_saveexec_b32 s31, s13
	s_cbranch_execnz .LBB6_10028
	s_branch .LBB6_10029
.LBB6_10655:                            ;   in Loop: Header=BB6_9353 Depth=3
	s_mov_b32 s13, -1
	s_mov_b32 s35, exec_lo
                                        ; implicit-def: $sgpr31
	v_cmpx_eq_u16_e32 0x80, v42
; %bb.10656:                            ;   in Loop: Header=BB6_9353 Depth=3
	s_mov_b32 s31, 0x7f800001
	s_xor_b32 s13, exec_lo, -1
; %bb.10657:                            ;   in Loop: Header=BB6_9353 Depth=3
	s_or_b32 exec_lo, exec_lo, s35
	s_delay_alu instid0(SALU_CYCLE_1)
	s_and_b32 s13, s13, exec_lo
                                        ; implicit-def: $vgpr42
	s_or_saveexec_b32 s34, s34
	v_mov_b32_e32 v183, s31
	s_xor_b32 exec_lo, exec_lo, s34
	s_cbranch_execz .LBB6_10034
.LBB6_10658:                            ;   in Loop: Header=BB6_9353 Depth=3
	v_cmp_ne_u16_e32 vcc_lo, 0, v42
	v_mov_b32_e32 v183, 0
	s_and_not1_b32 s13, s13, exec_lo
	s_and_b32 vcc_lo, vcc_lo, exec_lo
	s_delay_alu instid0(SALU_CYCLE_1)
	s_or_b32 s13, s13, vcc_lo
	s_or_b32 exec_lo, exec_lo, s34
	s_and_saveexec_b32 s31, s13
	s_cbranch_execnz .LBB6_10035
	s_branch .LBB6_10036
.LBB6_10659:                            ;   in Loop: Header=BB6_9353 Depth=3
	s_mov_b32 s13, -1
	s_mov_b32 s35, exec_lo
                                        ; implicit-def: $sgpr31
	v_cmpx_eq_u16_e32 0x80, v42
; %bb.10660:                            ;   in Loop: Header=BB6_9353 Depth=3
	s_mov_b32 s31, 0x7f800001
	s_xor_b32 s13, exec_lo, -1
; %bb.10661:                            ;   in Loop: Header=BB6_9353 Depth=3
	s_or_b32 exec_lo, exec_lo, s35
	s_delay_alu instid0(SALU_CYCLE_1)
	s_and_b32 s13, s13, exec_lo
                                        ; implicit-def: $vgpr42
	s_or_saveexec_b32 s34, s34
	v_mov_b32_e32 v115, s31
	s_xor_b32 exec_lo, exec_lo, s34
	s_cbranch_execz .LBB6_10038
.LBB6_10662:                            ;   in Loop: Header=BB6_9353 Depth=3
	v_cmp_ne_u16_e32 vcc_lo, 0, v42
	v_mov_b32_e32 v115, 0
	s_and_not1_b32 s13, s13, exec_lo
	s_and_b32 vcc_lo, vcc_lo, exec_lo
	s_delay_alu instid0(SALU_CYCLE_1)
	s_or_b32 s13, s13, vcc_lo
	s_or_b32 exec_lo, exec_lo, s34
	s_and_saveexec_b32 s31, s13
	s_cbranch_execnz .LBB6_10039
	s_branch .LBB6_10040
.LBB6_10663:                            ;   in Loop: Header=BB6_9353 Depth=3
	s_mov_b32 s13, -1
	s_mov_b32 s35, exec_lo
                                        ; implicit-def: $sgpr31
	v_cmpx_eq_u16_e64 0x80, v183
; %bb.10664:                            ;   in Loop: Header=BB6_9353 Depth=3
	s_mov_b32 s31, 0x7f800001
	s_xor_b32 s13, exec_lo, -1
; %bb.10665:                            ;   in Loop: Header=BB6_9353 Depth=3
	s_or_b32 exec_lo, exec_lo, s35
	s_delay_alu instid0(SALU_CYCLE_1)
	s_and_b32 s13, s13, exec_lo
                                        ; implicit-def: $vgpr183
	s_or_saveexec_b32 s34, s34
	v_mov_b32_e32 v115, s31
	s_xor_b32 exec_lo, exec_lo, s34
	s_cbranch_execz .LBB6_10052
.LBB6_10666:                            ;   in Loop: Header=BB6_9353 Depth=3
	v_cmp_ne_u16_e64 vcc_lo, 0, v183
	v_mov_b32_e32 v115, 0
	s_and_not1_b32 s13, s13, exec_lo
	s_delay_alu instid0(VALU_DEP_2) | instskip(NEXT) | instid1(SALU_CYCLE_1)
	s_and_b32 vcc_lo, vcc_lo, exec_lo
	s_or_b32 s13, s13, vcc_lo
	s_or_b32 exec_lo, exec_lo, s34
	s_and_saveexec_b32 s31, s13
	s_cbranch_execnz .LBB6_10053
	s_branch .LBB6_10054
.LBB6_10667:                            ;   in Loop: Header=BB6_9353 Depth=3
	s_mov_b32 s13, -1
	s_mov_b32 s35, exec_lo
                                        ; implicit-def: $sgpr31
	v_cmpx_eq_u16_e32 0x80, v42
; %bb.10668:                            ;   in Loop: Header=BB6_9353 Depth=3
	s_mov_b32 s31, 0x7f800001
	s_xor_b32 s13, exec_lo, -1
; %bb.10669:                            ;   in Loop: Header=BB6_9353 Depth=3
	s_or_b32 exec_lo, exec_lo, s35
	s_delay_alu instid0(SALU_CYCLE_1)
	s_and_b32 s13, s13, exec_lo
                                        ; implicit-def: $vgpr42
	s_or_saveexec_b32 s34, s34
	v_mov_b32_e32 v183, s31
	s_xor_b32 exec_lo, exec_lo, s34
	s_cbranch_execz .LBB6_10056
.LBB6_10670:                            ;   in Loop: Header=BB6_9353 Depth=3
	v_cmp_ne_u16_e32 vcc_lo, 0, v42
	v_mov_b32_e32 v183, 0
	s_and_not1_b32 s13, s13, exec_lo
	s_and_b32 vcc_lo, vcc_lo, exec_lo
	s_delay_alu instid0(SALU_CYCLE_1)
	s_or_b32 s13, s13, vcc_lo
	s_or_b32 exec_lo, exec_lo, s34
	s_and_saveexec_b32 s31, s13
	s_cbranch_execnz .LBB6_10057
	s_branch .LBB6_10058
.LBB6_10671:                            ;   in Loop: Header=BB6_9353 Depth=3
	s_mov_b32 s13, -1
	s_mov_b32 s35, exec_lo
                                        ; implicit-def: $sgpr31
	v_cmpx_eq_u16_e64 0x80, v183
; %bb.10672:                            ;   in Loop: Header=BB6_9353 Depth=3
	s_mov_b32 s31, 0x7f800001
	s_xor_b32 s13, exec_lo, -1
; %bb.10673:                            ;   in Loop: Header=BB6_9353 Depth=3
	s_or_b32 exec_lo, exec_lo, s35
	s_delay_alu instid0(SALU_CYCLE_1)
	s_and_b32 s13, s13, exec_lo
                                        ; implicit-def: $vgpr183
	s_or_saveexec_b32 s34, s34
	v_mov_b32_e32 v115, s31
	s_xor_b32 exec_lo, exec_lo, s34
	s_cbranch_execz .LBB6_10063
.LBB6_10674:                            ;   in Loop: Header=BB6_9353 Depth=3
	v_cmp_ne_u16_e64 vcc_lo, 0, v183
	v_mov_b32_e32 v115, 0
	s_and_not1_b32 s13, s13, exec_lo
	s_delay_alu instid0(VALU_DEP_2) | instskip(NEXT) | instid1(SALU_CYCLE_1)
	s_and_b32 vcc_lo, vcc_lo, exec_lo
	s_or_b32 s13, s13, vcc_lo
	s_or_b32 exec_lo, exec_lo, s34
	s_and_saveexec_b32 s31, s13
	s_cbranch_execnz .LBB6_10064
	s_branch .LBB6_10065
.LBB6_10675:                            ;   in Loop: Header=BB6_9353 Depth=3
	s_mov_b32 s13, -1
	s_mov_b32 s35, exec_lo
                                        ; implicit-def: $sgpr31
	v_cmpx_eq_u16_e64 0x80, v183
; %bb.10676:                            ;   in Loop: Header=BB6_9353 Depth=3
	s_mov_b32 s31, 0x7f800001
	s_xor_b32 s13, exec_lo, -1
; %bb.10677:                            ;   in Loop: Header=BB6_9353 Depth=3
	s_or_b32 exec_lo, exec_lo, s35
	s_delay_alu instid0(SALU_CYCLE_1)
	s_and_b32 s13, s13, exec_lo
                                        ; implicit-def: $vgpr183
	s_or_saveexec_b32 s34, s34
	v_mov_b32_e32 v112, s31
	s_xor_b32 exec_lo, exec_lo, s34
	s_cbranch_execz .LBB6_10067
.LBB6_10678:                            ;   in Loop: Header=BB6_9353 Depth=3
	v_cmp_ne_u16_e64 vcc_lo, 0, v183
	v_mov_b32_e32 v112, 0
	s_and_not1_b32 s13, s13, exec_lo
	s_delay_alu instid0(VALU_DEP_2) | instskip(NEXT) | instid1(SALU_CYCLE_1)
	s_and_b32 vcc_lo, vcc_lo, exec_lo
	s_or_b32 s13, s13, vcc_lo
	s_or_b32 exec_lo, exec_lo, s34
	s_and_saveexec_b32 s31, s13
	s_cbranch_execnz .LBB6_10068
	s_branch .LBB6_10069
.LBB6_10679:                            ;   in Loop: Header=BB6_9353 Depth=3
	s_mov_b32 s13, -1
	s_mov_b32 s35, exec_lo
                                        ; implicit-def: $sgpr31
	v_cmpx_eq_u16_e32 0x80, v115
; %bb.10680:                            ;   in Loop: Header=BB6_9353 Depth=3
	s_mov_b32 s31, 0x7f800001
	s_xor_b32 s13, exec_lo, -1
; %bb.10681:                            ;   in Loop: Header=BB6_9353 Depth=3
	s_or_b32 exec_lo, exec_lo, s35
	s_delay_alu instid0(SALU_CYCLE_1)
	s_and_b32 s13, s13, exec_lo
                                        ; implicit-def: $vgpr115
	s_or_saveexec_b32 s34, s34
	v_mov_b32_e32 v112, s31
	s_xor_b32 exec_lo, exec_lo, s34
	s_cbranch_execz .LBB6_10081
.LBB6_10682:                            ;   in Loop: Header=BB6_9353 Depth=3
	v_cmp_ne_u16_e32 vcc_lo, 0, v115
	v_mov_b32_e32 v112, 0
	s_and_not1_b32 s13, s13, exec_lo
	s_and_b32 vcc_lo, vcc_lo, exec_lo
	s_delay_alu instid0(SALU_CYCLE_1)
	s_or_b32 s13, s13, vcc_lo
	s_or_b32 exec_lo, exec_lo, s34
	s_and_saveexec_b32 s31, s13
	s_cbranch_execnz .LBB6_10082
	s_branch .LBB6_10083
.LBB6_10683:                            ;   in Loop: Header=BB6_9353 Depth=3
	s_mov_b32 s13, -1
	s_mov_b32 s35, exec_lo
                                        ; implicit-def: $sgpr31
	v_cmpx_eq_u16_e64 0x80, v183
; %bb.10684:                            ;   in Loop: Header=BB6_9353 Depth=3
	s_mov_b32 s31, 0x7f800001
	s_xor_b32 s13, exec_lo, -1
; %bb.10685:                            ;   in Loop: Header=BB6_9353 Depth=3
	s_or_b32 exec_lo, exec_lo, s35
	s_delay_alu instid0(SALU_CYCLE_1)
	s_and_b32 s13, s13, exec_lo
                                        ; implicit-def: $vgpr183
	s_or_saveexec_b32 s34, s34
	v_mov_b32_e32 v115, s31
	s_xor_b32 exec_lo, exec_lo, s34
	s_cbranch_execz .LBB6_10085
.LBB6_10686:                            ;   in Loop: Header=BB6_9353 Depth=3
	v_cmp_ne_u16_e64 vcc_lo, 0, v183
	v_mov_b32_e32 v115, 0
	s_and_not1_b32 s13, s13, exec_lo
	s_delay_alu instid0(VALU_DEP_2) | instskip(NEXT) | instid1(SALU_CYCLE_1)
	s_and_b32 vcc_lo, vcc_lo, exec_lo
	s_or_b32 s13, s13, vcc_lo
	s_or_b32 exec_lo, exec_lo, s34
	s_and_saveexec_b32 s31, s13
	s_cbranch_execnz .LBB6_10086
	s_branch .LBB6_10087
.LBB6_10687:                            ;   in Loop: Header=BB6_9353 Depth=3
	s_mov_b32 s13, -1
	s_mov_b32 s35, exec_lo
                                        ; implicit-def: $sgpr31
	v_cmpx_eq_u16_e32 0x80, v115
; %bb.10688:                            ;   in Loop: Header=BB6_9353 Depth=3
	s_mov_b32 s31, 0x7f800001
	s_xor_b32 s13, exec_lo, -1
; %bb.10689:                            ;   in Loop: Header=BB6_9353 Depth=3
	s_or_b32 exec_lo, exec_lo, s35
	s_delay_alu instid0(SALU_CYCLE_1)
	s_and_b32 s13, s13, exec_lo
                                        ; implicit-def: $vgpr115
	s_or_saveexec_b32 s34, s34
	v_mov_b32_e32 v112, s31
	s_xor_b32 exec_lo, exec_lo, s34
	s_cbranch_execz .LBB6_10092
.LBB6_10690:                            ;   in Loop: Header=BB6_9353 Depth=3
	v_cmp_ne_u16_e32 vcc_lo, 0, v115
	v_mov_b32_e32 v112, 0
	s_and_not1_b32 s13, s13, exec_lo
	s_and_b32 vcc_lo, vcc_lo, exec_lo
	s_delay_alu instid0(SALU_CYCLE_1)
	s_or_b32 s13, s13, vcc_lo
	s_or_b32 exec_lo, exec_lo, s34
	s_and_saveexec_b32 s31, s13
	s_cbranch_execnz .LBB6_10093
	s_branch .LBB6_10094
.LBB6_10691:                            ;   in Loop: Header=BB6_9353 Depth=3
	s_mov_b32 s13, -1
	s_mov_b32 s35, exec_lo
                                        ; implicit-def: $sgpr31
	v_cmpx_eq_u16_e32 0x80, v115
; %bb.10692:                            ;   in Loop: Header=BB6_9353 Depth=3
	s_mov_b32 s31, 0x7f800001
	s_xor_b32 s13, exec_lo, -1
; %bb.10693:                            ;   in Loop: Header=BB6_9353 Depth=3
	s_or_b32 exec_lo, exec_lo, s35
	s_delay_alu instid0(SALU_CYCLE_1)
	s_and_b32 s13, s13, exec_lo
                                        ; implicit-def: $vgpr115
	s_or_saveexec_b32 s34, s34
	v_mov_b32_e32 v51, s31
	s_xor_b32 exec_lo, exec_lo, s34
	s_cbranch_execz .LBB6_10096
.LBB6_10694:                            ;   in Loop: Header=BB6_9353 Depth=3
	v_cmp_ne_u16_e32 vcc_lo, 0, v115
	v_mov_b32_e32 v51, 0
	s_and_not1_b32 s13, s13, exec_lo
	s_and_b32 vcc_lo, vcc_lo, exec_lo
	s_delay_alu instid0(SALU_CYCLE_1)
	s_or_b32 s13, s13, vcc_lo
	s_or_b32 exec_lo, exec_lo, s34
	s_and_saveexec_b32 s31, s13
	s_cbranch_execnz .LBB6_10097
	s_branch .LBB6_10098
.LBB6_10695:                            ;   in Loop: Header=BB6_9353 Depth=3
	s_mov_b32 s13, -1
	s_mov_b32 s35, exec_lo
                                        ; implicit-def: $sgpr31
	v_cmpx_eq_u16_e32 0x80, v112
; %bb.10696:                            ;   in Loop: Header=BB6_9353 Depth=3
	s_mov_b32 s31, 0x7f800001
	s_xor_b32 s13, exec_lo, -1
; %bb.10697:                            ;   in Loop: Header=BB6_9353 Depth=3
	s_or_b32 exec_lo, exec_lo, s35
	s_delay_alu instid0(SALU_CYCLE_1)
	s_and_b32 s13, s13, exec_lo
                                        ; implicit-def: $vgpr112
	s_or_saveexec_b32 s34, s34
	v_mov_b32_e32 v51, s31
	s_xor_b32 exec_lo, exec_lo, s34
	s_cbranch_execz .LBB6_10110
.LBB6_10698:                            ;   in Loop: Header=BB6_9353 Depth=3
	v_cmp_ne_u16_e32 vcc_lo, 0, v112
	v_mov_b32_e32 v51, 0
	s_and_not1_b32 s13, s13, exec_lo
	s_and_b32 vcc_lo, vcc_lo, exec_lo
	s_delay_alu instid0(SALU_CYCLE_1)
	s_or_b32 s13, s13, vcc_lo
	s_or_b32 exec_lo, exec_lo, s34
	s_and_saveexec_b32 s31, s13
	s_cbranch_execnz .LBB6_10111
	s_branch .LBB6_10112
.LBB6_10699:                            ;   in Loop: Header=BB6_9353 Depth=3
	s_mov_b32 s13, -1
	s_mov_b32 s35, exec_lo
                                        ; implicit-def: $sgpr31
	v_cmpx_eq_u16_e32 0x80, v115
; %bb.10700:                            ;   in Loop: Header=BB6_9353 Depth=3
	s_mov_b32 s31, 0x7f800001
	s_xor_b32 s13, exec_lo, -1
; %bb.10701:                            ;   in Loop: Header=BB6_9353 Depth=3
	s_or_b32 exec_lo, exec_lo, s35
	s_delay_alu instid0(SALU_CYCLE_1)
	s_and_b32 s13, s13, exec_lo
                                        ; implicit-def: $vgpr115
	s_or_saveexec_b32 s34, s34
	v_mov_b32_e32 v112, s31
	s_xor_b32 exec_lo, exec_lo, s34
	s_cbranch_execz .LBB6_10114
.LBB6_10702:                            ;   in Loop: Header=BB6_9353 Depth=3
	v_cmp_ne_u16_e32 vcc_lo, 0, v115
	v_mov_b32_e32 v112, 0
	s_and_not1_b32 s13, s13, exec_lo
	s_and_b32 vcc_lo, vcc_lo, exec_lo
	s_delay_alu instid0(SALU_CYCLE_1)
	s_or_b32 s13, s13, vcc_lo
	s_or_b32 exec_lo, exec_lo, s34
	s_and_saveexec_b32 s31, s13
	s_cbranch_execnz .LBB6_10115
	s_branch .LBB6_10116
.LBB6_10703:                            ;   in Loop: Header=BB6_9353 Depth=3
	s_mov_b32 s13, -1
	s_mov_b32 s35, exec_lo
                                        ; implicit-def: $sgpr31
	v_cmpx_eq_u16_e32 0x80, v112
; %bb.10704:                            ;   in Loop: Header=BB6_9353 Depth=3
	s_mov_b32 s31, 0x7f800001
	s_xor_b32 s13, exec_lo, -1
; %bb.10705:                            ;   in Loop: Header=BB6_9353 Depth=3
	s_or_b32 exec_lo, exec_lo, s35
	s_delay_alu instid0(SALU_CYCLE_1)
	s_and_b32 s13, s13, exec_lo
                                        ; implicit-def: $vgpr112
	s_or_saveexec_b32 s34, s34
	v_mov_b32_e32 v51, s31
	s_xor_b32 exec_lo, exec_lo, s34
	s_cbranch_execz .LBB6_10121
.LBB6_10706:                            ;   in Loop: Header=BB6_9353 Depth=3
	v_cmp_ne_u16_e32 vcc_lo, 0, v112
	v_mov_b32_e32 v51, 0
	s_and_not1_b32 s13, s13, exec_lo
	s_and_b32 vcc_lo, vcc_lo, exec_lo
	s_delay_alu instid0(SALU_CYCLE_1)
	s_or_b32 s13, s13, vcc_lo
	s_or_b32 exec_lo, exec_lo, s34
	s_and_saveexec_b32 s31, s13
	s_cbranch_execnz .LBB6_10122
	s_branch .LBB6_10123
.LBB6_10707:                            ;   in Loop: Header=BB6_9353 Depth=3
	s_mov_b32 s13, -1
	s_mov_b32 s35, exec_lo
                                        ; implicit-def: $sgpr31
	v_cmpx_eq_u16_e32 0x80, v112
; %bb.10708:                            ;   in Loop: Header=BB6_9353 Depth=3
	s_mov_b32 s31, 0x7f800001
	s_xor_b32 s13, exec_lo, -1
; %bb.10709:                            ;   in Loop: Header=BB6_9353 Depth=3
	s_or_b32 exec_lo, exec_lo, s35
	s_delay_alu instid0(SALU_CYCLE_1)
	s_and_b32 s13, s13, exec_lo
                                        ; implicit-def: $vgpr112
	s_or_saveexec_b32 s34, s34
	v_mov_b32_e32 v48, s31
	s_xor_b32 exec_lo, exec_lo, s34
	s_cbranch_execz .LBB6_10125
.LBB6_10710:                            ;   in Loop: Header=BB6_9353 Depth=3
	v_cmp_ne_u16_e32 vcc_lo, 0, v112
	v_mov_b32_e32 v48, 0
	s_and_not1_b32 s13, s13, exec_lo
	s_and_b32 vcc_lo, vcc_lo, exec_lo
	s_delay_alu instid0(SALU_CYCLE_1)
	s_or_b32 s13, s13, vcc_lo
	s_or_b32 exec_lo, exec_lo, s34
	s_and_saveexec_b32 s31, s13
	s_cbranch_execnz .LBB6_10126
	s_branch .LBB6_10127
.LBB6_10711:                            ;   in Loop: Header=BB6_9353 Depth=3
	s_mov_b32 s13, -1
	s_mov_b32 s35, exec_lo
                                        ; implicit-def: $sgpr31
	v_cmpx_eq_u16_e32 0x80, v51
; %bb.10712:                            ;   in Loop: Header=BB6_9353 Depth=3
	s_mov_b32 s31, 0x7f800001
	s_xor_b32 s13, exec_lo, -1
; %bb.10713:                            ;   in Loop: Header=BB6_9353 Depth=3
	s_or_b32 exec_lo, exec_lo, s35
	s_delay_alu instid0(SALU_CYCLE_1)
	s_and_b32 s13, s13, exec_lo
                                        ; implicit-def: $vgpr51
	s_or_saveexec_b32 s34, s34
	v_mov_b32_e32 v48, s31
	s_xor_b32 exec_lo, exec_lo, s34
	s_cbranch_execz .LBB6_10139
.LBB6_10714:                            ;   in Loop: Header=BB6_9353 Depth=3
	v_cmp_ne_u16_e32 vcc_lo, 0, v51
	v_mov_b32_e32 v48, 0
	s_and_not1_b32 s13, s13, exec_lo
	s_and_b32 vcc_lo, vcc_lo, exec_lo
	s_delay_alu instid0(SALU_CYCLE_1)
	s_or_b32 s13, s13, vcc_lo
	s_or_b32 exec_lo, exec_lo, s34
	s_and_saveexec_b32 s31, s13
	s_cbranch_execnz .LBB6_10140
	s_branch .LBB6_10141
.LBB6_10715:                            ;   in Loop: Header=BB6_9353 Depth=3
	s_mov_b32 s13, -1
	s_mov_b32 s35, exec_lo
                                        ; implicit-def: $sgpr31
	v_cmpx_eq_u16_e32 0x80, v112
; %bb.10716:                            ;   in Loop: Header=BB6_9353 Depth=3
	s_mov_b32 s31, 0x7f800001
	s_xor_b32 s13, exec_lo, -1
; %bb.10717:                            ;   in Loop: Header=BB6_9353 Depth=3
	s_or_b32 exec_lo, exec_lo, s35
	s_delay_alu instid0(SALU_CYCLE_1)
	s_and_b32 s13, s13, exec_lo
                                        ; implicit-def: $vgpr112
	s_or_saveexec_b32 s34, s34
	v_mov_b32_e32 v51, s31
	s_xor_b32 exec_lo, exec_lo, s34
	s_cbranch_execz .LBB6_10143
.LBB6_10718:                            ;   in Loop: Header=BB6_9353 Depth=3
	v_cmp_ne_u16_e32 vcc_lo, 0, v112
	v_mov_b32_e32 v51, 0
	s_and_not1_b32 s13, s13, exec_lo
	s_and_b32 vcc_lo, vcc_lo, exec_lo
	s_delay_alu instid0(SALU_CYCLE_1)
	s_or_b32 s13, s13, vcc_lo
	s_or_b32 exec_lo, exec_lo, s34
	s_and_saveexec_b32 s31, s13
	s_cbranch_execnz .LBB6_10144
	s_branch .LBB6_10145
.LBB6_10719:                            ;   in Loop: Header=BB6_9353 Depth=3
	s_mov_b32 s13, -1
	s_mov_b32 s35, exec_lo
                                        ; implicit-def: $sgpr31
	v_cmpx_eq_u16_e32 0x80, v51
; %bb.10720:                            ;   in Loop: Header=BB6_9353 Depth=3
	s_mov_b32 s31, 0x7f800001
	s_xor_b32 s13, exec_lo, -1
; %bb.10721:                            ;   in Loop: Header=BB6_9353 Depth=3
	s_or_b32 exec_lo, exec_lo, s35
	s_delay_alu instid0(SALU_CYCLE_1)
	s_and_b32 s13, s13, exec_lo
                                        ; implicit-def: $vgpr51
	s_or_saveexec_b32 s34, s34
	v_mov_b32_e32 v48, s31
	s_xor_b32 exec_lo, exec_lo, s34
	s_cbranch_execz .LBB6_10150
.LBB6_10722:                            ;   in Loop: Header=BB6_9353 Depth=3
	v_cmp_ne_u16_e32 vcc_lo, 0, v51
	v_mov_b32_e32 v48, 0
	s_and_not1_b32 s13, s13, exec_lo
	s_and_b32 vcc_lo, vcc_lo, exec_lo
	s_delay_alu instid0(SALU_CYCLE_1)
	s_or_b32 s13, s13, vcc_lo
	s_or_b32 exec_lo, exec_lo, s34
	s_and_saveexec_b32 s31, s13
	s_cbranch_execnz .LBB6_10151
	s_branch .LBB6_10152
.LBB6_10723:                            ;   in Loop: Header=BB6_9353 Depth=3
	s_mov_b32 s13, -1
	s_mov_b32 s35, exec_lo
                                        ; implicit-def: $sgpr31
	v_cmpx_eq_u16_e32 0x80, v51
; %bb.10724:                            ;   in Loop: Header=BB6_9353 Depth=3
	s_mov_b32 s31, 0x7f800001
	s_xor_b32 s13, exec_lo, -1
; %bb.10725:                            ;   in Loop: Header=BB6_9353 Depth=3
	s_or_b32 exec_lo, exec_lo, s35
	s_delay_alu instid0(SALU_CYCLE_1)
	s_and_b32 s13, s13, exec_lo
                                        ; implicit-def: $vgpr51
	s_or_saveexec_b32 s34, s34
	v_mov_b32_e32 v37, s31
	s_xor_b32 exec_lo, exec_lo, s34
	s_cbranch_execz .LBB6_10154
.LBB6_10726:                            ;   in Loop: Header=BB6_9353 Depth=3
	v_cmp_ne_u16_e32 vcc_lo, 0, v51
	v_mov_b32_e32 v37, 0
	s_and_not1_b32 s13, s13, exec_lo
	s_and_b32 vcc_lo, vcc_lo, exec_lo
	s_delay_alu instid0(SALU_CYCLE_1)
	s_or_b32 s13, s13, vcc_lo
	s_or_b32 exec_lo, exec_lo, s34
	s_and_saveexec_b32 s31, s13
	s_cbranch_execnz .LBB6_10155
	s_branch .LBB6_10156
.LBB6_10727:                            ;   in Loop: Header=BB6_9353 Depth=3
	s_mov_b32 s13, -1
	s_mov_b32 s35, exec_lo
                                        ; implicit-def: $sgpr31
	v_cmpx_eq_u16_e32 0x80, v48
; %bb.10728:                            ;   in Loop: Header=BB6_9353 Depth=3
	s_mov_b32 s31, 0x7f800001
	s_xor_b32 s13, exec_lo, -1
; %bb.10729:                            ;   in Loop: Header=BB6_9353 Depth=3
	s_or_b32 exec_lo, exec_lo, s35
	s_delay_alu instid0(SALU_CYCLE_1)
	s_and_b32 s13, s13, exec_lo
                                        ; implicit-def: $vgpr48
	s_or_saveexec_b32 s34, s34
	v_mov_b32_e32 v37, s31
	s_xor_b32 exec_lo, exec_lo, s34
	s_cbranch_execz .LBB6_10168
.LBB6_10730:                            ;   in Loop: Header=BB6_9353 Depth=3
	v_cmp_ne_u16_e32 vcc_lo, 0, v48
	v_mov_b32_e32 v37, 0
	s_and_not1_b32 s13, s13, exec_lo
	s_and_b32 vcc_lo, vcc_lo, exec_lo
	s_delay_alu instid0(SALU_CYCLE_1)
	s_or_b32 s13, s13, vcc_lo
	s_or_b32 exec_lo, exec_lo, s34
	s_and_saveexec_b32 s31, s13
	s_cbranch_execnz .LBB6_10169
	s_branch .LBB6_10170
.LBB6_10731:                            ;   in Loop: Header=BB6_9353 Depth=3
	s_mov_b32 s13, -1
	s_mov_b32 s35, exec_lo
                                        ; implicit-def: $sgpr31
	v_cmpx_eq_u16_e32 0x80, v51
; %bb.10732:                            ;   in Loop: Header=BB6_9353 Depth=3
	s_mov_b32 s31, 0x7f800001
	s_xor_b32 s13, exec_lo, -1
; %bb.10733:                            ;   in Loop: Header=BB6_9353 Depth=3
	s_or_b32 exec_lo, exec_lo, s35
	s_delay_alu instid0(SALU_CYCLE_1)
	s_and_b32 s13, s13, exec_lo
                                        ; implicit-def: $vgpr51
	s_or_saveexec_b32 s34, s34
	v_mov_b32_e32 v48, s31
	s_xor_b32 exec_lo, exec_lo, s34
	s_cbranch_execz .LBB6_10172
.LBB6_10734:                            ;   in Loop: Header=BB6_9353 Depth=3
	v_cmp_ne_u16_e32 vcc_lo, 0, v51
	v_mov_b32_e32 v48, 0
	s_and_not1_b32 s13, s13, exec_lo
	s_and_b32 vcc_lo, vcc_lo, exec_lo
	s_delay_alu instid0(SALU_CYCLE_1)
	s_or_b32 s13, s13, vcc_lo
	s_or_b32 exec_lo, exec_lo, s34
	s_and_saveexec_b32 s31, s13
	s_cbranch_execnz .LBB6_10173
	s_branch .LBB6_10174
.LBB6_10735:                            ;   in Loop: Header=BB6_9353 Depth=3
	s_mov_b32 s13, -1
	s_mov_b32 s35, exec_lo
                                        ; implicit-def: $sgpr31
	v_cmpx_eq_u16_e32 0x80, v48
; %bb.10736:                            ;   in Loop: Header=BB6_9353 Depth=3
	s_mov_b32 s31, 0x7f800001
	s_xor_b32 s13, exec_lo, -1
; %bb.10737:                            ;   in Loop: Header=BB6_9353 Depth=3
	s_or_b32 exec_lo, exec_lo, s35
	s_delay_alu instid0(SALU_CYCLE_1)
	s_and_b32 s13, s13, exec_lo
                                        ; implicit-def: $vgpr48
	s_or_saveexec_b32 s34, s34
	v_mov_b32_e32 v37, s31
	s_xor_b32 exec_lo, exec_lo, s34
	s_cbranch_execz .LBB6_10179
.LBB6_10738:                            ;   in Loop: Header=BB6_9353 Depth=3
	v_cmp_ne_u16_e32 vcc_lo, 0, v48
	v_mov_b32_e32 v37, 0
	s_and_not1_b32 s13, s13, exec_lo
	s_and_b32 vcc_lo, vcc_lo, exec_lo
	s_delay_alu instid0(SALU_CYCLE_1)
	s_or_b32 s13, s13, vcc_lo
	s_or_b32 exec_lo, exec_lo, s34
	s_and_saveexec_b32 s31, s13
	s_cbranch_execnz .LBB6_10180
	s_branch .LBB6_10181
.LBB6_10739:                            ;   in Loop: Header=BB6_9353 Depth=3
	s_mov_b32 s13, -1
	s_mov_b32 s35, exec_lo
                                        ; implicit-def: $sgpr31
	v_cmpx_eq_u16_e32 0x80, v48
; %bb.10740:                            ;   in Loop: Header=BB6_9353 Depth=3
	s_mov_b32 s31, 0x7f800001
	s_xor_b32 s13, exec_lo, -1
; %bb.10741:                            ;   in Loop: Header=BB6_9353 Depth=3
	s_or_b32 exec_lo, exec_lo, s35
	s_delay_alu instid0(SALU_CYCLE_1)
	s_and_b32 s13, s13, exec_lo
                                        ; implicit-def: $vgpr48
	s_or_saveexec_b32 s34, s34
	v_mov_b32_e32 v34, s31
	s_xor_b32 exec_lo, exec_lo, s34
	s_cbranch_execz .LBB6_10183
.LBB6_10742:                            ;   in Loop: Header=BB6_9353 Depth=3
	v_cmp_ne_u16_e32 vcc_lo, 0, v48
	v_mov_b32_e32 v34, 0
	s_and_not1_b32 s13, s13, exec_lo
	s_and_b32 vcc_lo, vcc_lo, exec_lo
	s_delay_alu instid0(SALU_CYCLE_1)
	s_or_b32 s13, s13, vcc_lo
	s_or_b32 exec_lo, exec_lo, s34
	s_and_saveexec_b32 s31, s13
	s_cbranch_execnz .LBB6_10184
	s_branch .LBB6_10185
.LBB6_10743:                            ;   in Loop: Header=BB6_9353 Depth=3
	s_mov_b32 s13, -1
	s_mov_b32 s35, exec_lo
                                        ; implicit-def: $sgpr31
	v_cmpx_eq_u16_e32 0x80, v37
; %bb.10744:                            ;   in Loop: Header=BB6_9353 Depth=3
	s_mov_b32 s31, 0x7f800001
	s_xor_b32 s13, exec_lo, -1
; %bb.10745:                            ;   in Loop: Header=BB6_9353 Depth=3
	s_or_b32 exec_lo, exec_lo, s35
	s_delay_alu instid0(SALU_CYCLE_1)
	s_and_b32 s13, s13, exec_lo
                                        ; implicit-def: $vgpr37
	s_or_saveexec_b32 s34, s34
	v_mov_b32_e32 v34, s31
	s_xor_b32 exec_lo, exec_lo, s34
	s_cbranch_execz .LBB6_10197
.LBB6_10746:                            ;   in Loop: Header=BB6_9353 Depth=3
	v_cmp_ne_u16_e32 vcc_lo, 0, v37
	v_mov_b32_e32 v34, 0
	s_and_not1_b32 s13, s13, exec_lo
	s_and_b32 vcc_lo, vcc_lo, exec_lo
	s_delay_alu instid0(SALU_CYCLE_1)
	s_or_b32 s13, s13, vcc_lo
	s_or_b32 exec_lo, exec_lo, s34
	s_and_saveexec_b32 s31, s13
	s_cbranch_execnz .LBB6_10198
	s_branch .LBB6_10199
.LBB6_10747:                            ;   in Loop: Header=BB6_9353 Depth=3
	s_mov_b32 s13, -1
	s_mov_b32 s35, exec_lo
                                        ; implicit-def: $sgpr31
	v_cmpx_eq_u16_e32 0x80, v48
; %bb.10748:                            ;   in Loop: Header=BB6_9353 Depth=3
	s_mov_b32 s31, 0x7f800001
	s_xor_b32 s13, exec_lo, -1
; %bb.10749:                            ;   in Loop: Header=BB6_9353 Depth=3
	s_or_b32 exec_lo, exec_lo, s35
	s_delay_alu instid0(SALU_CYCLE_1)
	s_and_b32 s13, s13, exec_lo
                                        ; implicit-def: $vgpr48
	s_or_saveexec_b32 s34, s34
	v_mov_b32_e32 v37, s31
	s_xor_b32 exec_lo, exec_lo, s34
	s_cbranch_execz .LBB6_10201
.LBB6_10750:                            ;   in Loop: Header=BB6_9353 Depth=3
	v_cmp_ne_u16_e32 vcc_lo, 0, v48
	v_mov_b32_e32 v37, 0
	s_and_not1_b32 s13, s13, exec_lo
	s_and_b32 vcc_lo, vcc_lo, exec_lo
	s_delay_alu instid0(SALU_CYCLE_1)
	s_or_b32 s13, s13, vcc_lo
	s_or_b32 exec_lo, exec_lo, s34
	s_and_saveexec_b32 s31, s13
	s_cbranch_execnz .LBB6_10202
	s_branch .LBB6_10203
.LBB6_10751:                            ;   in Loop: Header=BB6_9353 Depth=3
	s_mov_b32 s13, -1
	s_mov_b32 s35, exec_lo
                                        ; implicit-def: $sgpr31
	v_cmpx_eq_u16_e32 0x80, v37
; %bb.10752:                            ;   in Loop: Header=BB6_9353 Depth=3
	s_mov_b32 s31, 0x7f800001
	s_xor_b32 s13, exec_lo, -1
; %bb.10753:                            ;   in Loop: Header=BB6_9353 Depth=3
	s_or_b32 exec_lo, exec_lo, s35
	s_delay_alu instid0(SALU_CYCLE_1)
	s_and_b32 s13, s13, exec_lo
                                        ; implicit-def: $vgpr37
	s_or_saveexec_b32 s34, s34
	v_mov_b32_e32 v34, s31
	s_xor_b32 exec_lo, exec_lo, s34
	s_cbranch_execz .LBB6_10208
.LBB6_10754:                            ;   in Loop: Header=BB6_9353 Depth=3
	v_cmp_ne_u16_e32 vcc_lo, 0, v37
	v_mov_b32_e32 v34, 0
	s_and_not1_b32 s13, s13, exec_lo
	s_and_b32 vcc_lo, vcc_lo, exec_lo
	s_delay_alu instid0(SALU_CYCLE_1)
	s_or_b32 s13, s13, vcc_lo
	s_or_b32 exec_lo, exec_lo, s34
	s_and_saveexec_b32 s31, s13
	s_cbranch_execnz .LBB6_10209
	s_branch .LBB6_10210
.LBB6_10755:                            ;   in Loop: Header=BB6_9353 Depth=3
	s_mov_b32 s13, -1
	s_mov_b32 s35, exec_lo
                                        ; implicit-def: $sgpr31
	v_cmpx_eq_u16_e32 0x80, v37
; %bb.10756:                            ;   in Loop: Header=BB6_9353 Depth=3
	s_mov_b32 s31, 0x7f800001
	s_xor_b32 s13, exec_lo, -1
; %bb.10757:                            ;   in Loop: Header=BB6_9353 Depth=3
	s_or_b32 exec_lo, exec_lo, s35
	s_delay_alu instid0(SALU_CYCLE_1)
	s_and_b32 s13, s13, exec_lo
                                        ; implicit-def: $vgpr37
	s_or_saveexec_b32 s34, s34
	v_mov_b32_e32 v27, s31
	s_xor_b32 exec_lo, exec_lo, s34
	s_cbranch_execz .LBB6_10212
.LBB6_10758:                            ;   in Loop: Header=BB6_9353 Depth=3
	v_cmp_ne_u16_e32 vcc_lo, 0, v37
	v_mov_b32_e32 v27, 0
	s_and_not1_b32 s13, s13, exec_lo
	s_and_b32 vcc_lo, vcc_lo, exec_lo
	s_delay_alu instid0(SALU_CYCLE_1)
	s_or_b32 s13, s13, vcc_lo
	s_or_b32 exec_lo, exec_lo, s34
	s_and_saveexec_b32 s31, s13
	s_cbranch_execnz .LBB6_10213
	s_branch .LBB6_10214
.LBB6_10759:                            ;   in Loop: Header=BB6_9353 Depth=3
	s_mov_b32 s13, -1
	s_mov_b32 s35, exec_lo
                                        ; implicit-def: $sgpr31
	v_cmpx_eq_u16_e32 0x80, v34
; %bb.10760:                            ;   in Loop: Header=BB6_9353 Depth=3
	s_mov_b32 s31, 0x7f800001
	s_xor_b32 s13, exec_lo, -1
; %bb.10761:                            ;   in Loop: Header=BB6_9353 Depth=3
	s_or_b32 exec_lo, exec_lo, s35
	s_delay_alu instid0(SALU_CYCLE_1)
	s_and_b32 s13, s13, exec_lo
                                        ; implicit-def: $vgpr34
	s_or_saveexec_b32 s34, s34
	v_mov_b32_e32 v27, s31
	s_xor_b32 exec_lo, exec_lo, s34
	s_cbranch_execz .LBB6_10226
.LBB6_10762:                            ;   in Loop: Header=BB6_9353 Depth=3
	v_cmp_ne_u16_e32 vcc_lo, 0, v34
	v_mov_b32_e32 v27, 0
	s_and_not1_b32 s13, s13, exec_lo
	s_and_b32 vcc_lo, vcc_lo, exec_lo
	s_delay_alu instid0(SALU_CYCLE_1)
	s_or_b32 s13, s13, vcc_lo
	s_or_b32 exec_lo, exec_lo, s34
	s_and_saveexec_b32 s31, s13
	s_cbranch_execnz .LBB6_10227
	s_branch .LBB6_10228
.LBB6_10763:                            ;   in Loop: Header=BB6_9353 Depth=3
	s_mov_b32 s13, -1
	s_mov_b32 s35, exec_lo
                                        ; implicit-def: $sgpr31
	v_cmpx_eq_u16_e32 0x80, v37
; %bb.10764:                            ;   in Loop: Header=BB6_9353 Depth=3
	s_mov_b32 s31, 0x7f800001
	s_xor_b32 s13, exec_lo, -1
; %bb.10765:                            ;   in Loop: Header=BB6_9353 Depth=3
	s_or_b32 exec_lo, exec_lo, s35
	s_delay_alu instid0(SALU_CYCLE_1)
	s_and_b32 s13, s13, exec_lo
                                        ; implicit-def: $vgpr37
	s_or_saveexec_b32 s34, s34
	v_mov_b32_e32 v34, s31
	s_xor_b32 exec_lo, exec_lo, s34
	s_cbranch_execz .LBB6_10230
.LBB6_10766:                            ;   in Loop: Header=BB6_9353 Depth=3
	v_cmp_ne_u16_e32 vcc_lo, 0, v37
	v_mov_b32_e32 v34, 0
	s_and_not1_b32 s13, s13, exec_lo
	s_and_b32 vcc_lo, vcc_lo, exec_lo
	s_delay_alu instid0(SALU_CYCLE_1)
	s_or_b32 s13, s13, vcc_lo
	s_or_b32 exec_lo, exec_lo, s34
	s_and_saveexec_b32 s31, s13
	s_cbranch_execnz .LBB6_10231
	s_branch .LBB6_10232
.LBB6_10767:                            ;   in Loop: Header=BB6_9353 Depth=3
	s_mov_b32 s13, -1
	s_mov_b32 s35, exec_lo
                                        ; implicit-def: $sgpr31
	v_cmpx_eq_u16_e32 0x80, v34
; %bb.10768:                            ;   in Loop: Header=BB6_9353 Depth=3
	s_mov_b32 s31, 0x7f800001
	s_xor_b32 s13, exec_lo, -1
; %bb.10769:                            ;   in Loop: Header=BB6_9353 Depth=3
	s_or_b32 exec_lo, exec_lo, s35
	s_delay_alu instid0(SALU_CYCLE_1)
	s_and_b32 s13, s13, exec_lo
                                        ; implicit-def: $vgpr34
	s_or_saveexec_b32 s34, s34
	v_mov_b32_e32 v27, s31
	s_xor_b32 exec_lo, exec_lo, s34
	s_cbranch_execz .LBB6_10237
.LBB6_10770:                            ;   in Loop: Header=BB6_9353 Depth=3
	v_cmp_ne_u16_e32 vcc_lo, 0, v34
	v_mov_b32_e32 v27, 0
	s_and_not1_b32 s13, s13, exec_lo
	s_and_b32 vcc_lo, vcc_lo, exec_lo
	s_delay_alu instid0(SALU_CYCLE_1)
	s_or_b32 s13, s13, vcc_lo
	s_or_b32 exec_lo, exec_lo, s34
	s_and_saveexec_b32 s31, s13
	s_cbranch_execnz .LBB6_10238
	s_branch .LBB6_10239
.LBB6_10771:                            ;   in Loop: Header=BB6_9353 Depth=3
	s_mov_b32 s13, -1
	s_mov_b32 s35, exec_lo
                                        ; implicit-def: $sgpr31
	v_cmpx_eq_u16_e32 0x80, v34
; %bb.10772:                            ;   in Loop: Header=BB6_9353 Depth=3
	s_mov_b32 s31, 0x7f800001
	s_xor_b32 s13, exec_lo, -1
; %bb.10773:                            ;   in Loop: Header=BB6_9353 Depth=3
	s_or_b32 exec_lo, exec_lo, s35
	s_delay_alu instid0(SALU_CYCLE_1)
	s_and_b32 s13, s13, exec_lo
                                        ; implicit-def: $vgpr34
	s_or_saveexec_b32 s34, s34
	v_mov_b32_e32 v24, s31
	s_xor_b32 exec_lo, exec_lo, s34
	s_cbranch_execz .LBB6_10241
.LBB6_10774:                            ;   in Loop: Header=BB6_9353 Depth=3
	v_cmp_ne_u16_e32 vcc_lo, 0, v34
	v_mov_b32_e32 v24, 0
	s_and_not1_b32 s13, s13, exec_lo
	s_and_b32 vcc_lo, vcc_lo, exec_lo
	s_delay_alu instid0(SALU_CYCLE_1)
	s_or_b32 s13, s13, vcc_lo
	s_or_b32 exec_lo, exec_lo, s34
	s_and_saveexec_b32 s31, s13
	s_cbranch_execnz .LBB6_10242
	s_branch .LBB6_10243
.LBB6_10775:                            ;   in Loop: Header=BB6_9353 Depth=3
	s_mov_b32 s13, -1
	s_mov_b32 s35, exec_lo
                                        ; implicit-def: $sgpr31
	v_cmpx_eq_u16_e32 0x80, v27
; %bb.10776:                            ;   in Loop: Header=BB6_9353 Depth=3
	s_mov_b32 s31, 0x7f800001
	s_xor_b32 s13, exec_lo, -1
; %bb.10777:                            ;   in Loop: Header=BB6_9353 Depth=3
	s_or_b32 exec_lo, exec_lo, s35
	s_delay_alu instid0(SALU_CYCLE_1)
	s_and_b32 s13, s13, exec_lo
                                        ; implicit-def: $vgpr27
	s_or_saveexec_b32 s34, s34
	v_mov_b32_e32 v24, s31
	s_xor_b32 exec_lo, exec_lo, s34
	s_cbranch_execz .LBB6_10255
.LBB6_10778:                            ;   in Loop: Header=BB6_9353 Depth=3
	v_cmp_ne_u16_e32 vcc_lo, 0, v27
	v_mov_b32_e32 v24, 0
	s_and_not1_b32 s13, s13, exec_lo
	s_and_b32 vcc_lo, vcc_lo, exec_lo
	s_delay_alu instid0(SALU_CYCLE_1)
	s_or_b32 s13, s13, vcc_lo
	s_or_b32 exec_lo, exec_lo, s34
	s_and_saveexec_b32 s31, s13
	s_cbranch_execnz .LBB6_10256
	s_branch .LBB6_10257
.LBB6_10779:                            ;   in Loop: Header=BB6_9353 Depth=3
	s_mov_b32 s13, -1
	s_mov_b32 s35, exec_lo
                                        ; implicit-def: $sgpr31
	v_cmpx_eq_u16_e32 0x80, v34
; %bb.10780:                            ;   in Loop: Header=BB6_9353 Depth=3
	s_mov_b32 s31, 0x7f800001
	s_xor_b32 s13, exec_lo, -1
; %bb.10781:                            ;   in Loop: Header=BB6_9353 Depth=3
	s_or_b32 exec_lo, exec_lo, s35
	s_delay_alu instid0(SALU_CYCLE_1)
	s_and_b32 s13, s13, exec_lo
                                        ; implicit-def: $vgpr34
	s_or_saveexec_b32 s34, s34
	v_mov_b32_e32 v27, s31
	s_xor_b32 exec_lo, exec_lo, s34
	s_cbranch_execz .LBB6_10259
.LBB6_10782:                            ;   in Loop: Header=BB6_9353 Depth=3
	v_cmp_ne_u16_e32 vcc_lo, 0, v34
	v_mov_b32_e32 v27, 0
	s_and_not1_b32 s13, s13, exec_lo
	s_and_b32 vcc_lo, vcc_lo, exec_lo
	s_delay_alu instid0(SALU_CYCLE_1)
	s_or_b32 s13, s13, vcc_lo
	s_or_b32 exec_lo, exec_lo, s34
	s_and_saveexec_b32 s31, s13
	s_cbranch_execnz .LBB6_10260
	s_branch .LBB6_10261
.LBB6_10783:                            ;   in Loop: Header=BB6_9353 Depth=3
	s_mov_b32 s13, -1
	s_mov_b32 s35, exec_lo
                                        ; implicit-def: $sgpr31
	v_cmpx_eq_u16_e32 0x80, v27
; %bb.10784:                            ;   in Loop: Header=BB6_9353 Depth=3
	s_mov_b32 s31, 0x7f800001
	s_xor_b32 s13, exec_lo, -1
; %bb.10785:                            ;   in Loop: Header=BB6_9353 Depth=3
	s_or_b32 exec_lo, exec_lo, s35
	s_delay_alu instid0(SALU_CYCLE_1)
	s_and_b32 s13, s13, exec_lo
                                        ; implicit-def: $vgpr27
	s_or_saveexec_b32 s34, s34
	v_mov_b32_e32 v24, s31
	s_xor_b32 exec_lo, exec_lo, s34
	s_cbranch_execz .LBB6_10266
.LBB6_10786:                            ;   in Loop: Header=BB6_9353 Depth=3
	v_cmp_ne_u16_e32 vcc_lo, 0, v27
	v_mov_b32_e32 v24, 0
	s_and_not1_b32 s13, s13, exec_lo
	s_and_b32 vcc_lo, vcc_lo, exec_lo
	s_delay_alu instid0(SALU_CYCLE_1)
	s_or_b32 s13, s13, vcc_lo
	s_or_b32 exec_lo, exec_lo, s34
	s_and_saveexec_b32 s31, s13
	s_cbranch_execnz .LBB6_10267
	s_branch .LBB6_10268
.LBB6_10787:                            ;   in Loop: Header=BB6_9353 Depth=3
	s_mov_b32 s13, -1
	s_mov_b32 s35, exec_lo
                                        ; implicit-def: $sgpr31
	v_cmpx_eq_u16_e32 0x80, v27
; %bb.10788:                            ;   in Loop: Header=BB6_9353 Depth=3
	s_mov_b32 s31, 0x7f800001
	s_xor_b32 s13, exec_lo, -1
; %bb.10789:                            ;   in Loop: Header=BB6_9353 Depth=3
	s_or_b32 exec_lo, exec_lo, s35
	s_delay_alu instid0(SALU_CYCLE_1)
	s_and_b32 s13, s13, exec_lo
                                        ; implicit-def: $vgpr27
	s_or_saveexec_b32 s34, s34
	v_mov_b32_e32 v21, s31
	s_xor_b32 exec_lo, exec_lo, s34
	s_cbranch_execz .LBB6_10270
.LBB6_10790:                            ;   in Loop: Header=BB6_9353 Depth=3
	v_cmp_ne_u16_e32 vcc_lo, 0, v27
	v_mov_b32_e32 v21, 0
	s_and_not1_b32 s13, s13, exec_lo
	s_and_b32 vcc_lo, vcc_lo, exec_lo
	s_delay_alu instid0(SALU_CYCLE_1)
	s_or_b32 s13, s13, vcc_lo
	s_or_b32 exec_lo, exec_lo, s34
	s_and_saveexec_b32 s31, s13
	s_cbranch_execnz .LBB6_10271
	s_branch .LBB6_10272
.LBB6_10791:                            ;   in Loop: Header=BB6_5644 Depth=2
	s_or_b32 exec_lo, exec_lo, s16
.LBB6_10792:                            ;   in Loop: Header=BB6_5644 Depth=2
	s_delay_alu instid0(SALU_CYCLE_1) | instskip(SKIP_2) | instid1(VALU_DEP_1)
	s_or_b32 exec_lo, exec_lo, s14
	v_lshlrev_b32_e32 v8, 10, v19
	s_mov_b32 s31, exec_lo
	v_cmpx_ne_u32_e64 v17, v8
	s_cbranch_execz .LBB6_10844
; %bb.10793:                            ;   in Loop: Header=BB6_5644 Depth=2
	v_ashrrev_i32_e32 v9, 31, v18
	v_lshlrev_b32_e32 v2, 5, v2
	s_delay_alu instid0(VALU_DEP_2) | instskip(NEXT) | instid1(VALU_DEP_1)
	v_lshrrev_b32_e32 v9, 27, v9
	v_add_nc_u32_e32 v9, v18, v9
	s_delay_alu instid0(VALU_DEP_1) | instskip(NEXT) | instid1(VALU_DEP_1)
	v_and_b32_e32 v9, 0xffffffe0, v9
	v_sub_nc_u32_e32 v9, v18, v9
	s_delay_alu instid0(VALU_DEP_1) | instskip(NEXT) | instid1(VALU_DEP_1)
	v_sub_nc_u32_e32 v2, v9, v2
	v_add_nc_u32_e32 v8, v8, v2
	s_delay_alu instid0(VALU_DEP_1) | instskip(NEXT) | instid1(VALU_DEP_1)
	v_sub_nc_u32_e32 v2, v17, v8
	v_cmp_lt_i32_e32 vcc_lo, 0, v2
	s_and_b32 exec_lo, exec_lo, vcc_lo
	s_cbranch_execz .LBB6_10844
; %bb.10794:                            ;   in Loop: Header=BB6_5644 Depth=2
	s_cbranch_execz .LBB6_10795
; %bb.17454:
	s_getpc_b64 s[48:49]
.Lpost_getpc398:
	s_add_u32 s48, s48, (.LBB6_17068-.Lpost_getpc398)&4294967295
	s_addc_u32 s49, s49, (.LBB6_17068-.Lpost_getpc398)>>32
	s_setpc_b64 s[48:49]
.LBB6_10795:                            ;   in Loop: Header=BB6_5644 Depth=2
	ds_load_b128 v[9:12], v0
	v_add_nc_u32_e32 v13, v8, v16
	s_bitcmp1_b32 s30, 0
	s_mov_b32 s34, 0
	s_cselect_b32 s35, -1, 0
	s_delay_alu instid0(VALU_DEP_1) | instskip(SKIP_2) | instid1(VALU_DEP_2)
	v_ashrrev_i32_e32 v14, 31, v13
	s_waitcnt lgkmcnt(0)
	v_add_co_u32 v8, vcc_lo, v9, v13
	v_add_co_ci_u32_e32 v9, vcc_lo, v10, v14, vcc_lo
	v_add_co_u32 v10, vcc_lo, v11, v13
	v_add_co_ci_u32_e32 v11, vcc_lo, v12, v14, vcc_lo
	s_delay_alu instid0(VALU_DEP_3) | instskip(NEXT) | instid1(VALU_DEP_2)
	v_dual_mov_b32 v13, v9 :: v_dual_mov_b32 v12, v8
	v_dual_mov_b32 v15, v11 :: v_dual_mov_b32 v14, v10
.LBB6_10796:                            ;   Parent Loop BB6_51 Depth=1
                                        ;     Parent Loop BB6_5644 Depth=2
                                        ; =>    This Loop Header: Depth=3
                                        ;         Child Loop BB6_10826 Depth 4
	flat_load_u8 v17, v[14:15] slc dlc
	flat_load_u8 v18, v[12:13] slc dlc
	s_waitcnt vmcnt(1) lgkmcnt(1)
	v_bfe_u32 v21, v17, 3, 4
	v_lshlrev_b32_e32 v22, 24, v17
	s_delay_alu instid0(VALU_DEP_2) | instskip(SKIP_1) | instid1(VALU_DEP_1)
	v_cmp_eq_u32_e32 vcc_lo, 0, v21
	v_and_b32_e32 v16, 7, v17
	v_clz_i32_u32_e32 v19, v16
	s_delay_alu instid0(VALU_DEP_1) | instskip(NEXT) | instid1(VALU_DEP_1)
	v_min_u32_e32 v19, 32, v19
	v_subrev_nc_u32_e32 v20, 28, v19
	v_sub_nc_u32_e32 v19, 29, v19
	s_delay_alu instid0(VALU_DEP_1) | instskip(NEXT) | instid1(VALU_DEP_1)
	v_dual_cndmask_b32 v19, v21, v19 :: v_dual_lshlrev_b32 v20, v20, v17
	v_and_b32_e32 v20, 7, v20
	s_delay_alu instid0(VALU_DEP_2) | instskip(NEXT) | instid1(VALU_DEP_2)
	v_lshl_add_u32 v19, v19, 23, 0x3b800000
	v_cndmask_b32_e32 v16, v16, v20, vcc_lo
	v_and_b32_e32 v20, 0x80000000, v22
	s_and_b32 vcc_lo, exec_lo, s35
	s_delay_alu instid0(VALU_DEP_2) | instskip(NEXT) | instid1(VALU_DEP_1)
	v_lshlrev_b32_e32 v16, 20, v16
	v_or3_b32 v16, v20, v19, v16
	s_cbranch_vccz .LBB6_10806
; %bb.10797:                            ;   in Loop: Header=BB6_10796 Depth=3
	s_waitcnt vmcnt(0) lgkmcnt(0)
	v_and_b32_e32 v20, 0xff, v18
	s_mov_b32 s13, 0
	s_mov_b32 s16, exec_lo
                                        ; implicit-def: $sgpr14
	s_delay_alu instid0(VALU_DEP_1)
	v_cmpx_lt_i16_e32 0x7f, v20
	s_xor_b32 s16, exec_lo, s16
	s_cbranch_execnz .LBB6_10828
; %bb.10798:                            ;   in Loop: Header=BB6_10796 Depth=3
	s_or_saveexec_b32 s16, s16
	v_mov_b32_e32 v19, s14
	s_xor_b32 exec_lo, exec_lo, s16
	s_cbranch_execnz .LBB6_10831
.LBB6_10799:                            ;   in Loop: Header=BB6_10796 Depth=3
	s_or_b32 exec_lo, exec_lo, s16
	s_and_saveexec_b32 s14, s13
	s_cbranch_execz .LBB6_10801
.LBB6_10800:                            ;   in Loop: Header=BB6_10796 Depth=3
	v_lshrrev_b16 v22, 3, v18
	v_lshlrev_b32_e32 v23, 24, v18
	s_delay_alu instid0(VALU_DEP_2) | instskip(NEXT) | instid1(VALU_DEP_1)
	v_and_b32_e32 v22, 15, v22
	v_cmp_eq_u32_e32 vcc_lo, 0, v22
	v_and_b32_e32 v19, 7, v18
	s_delay_alu instid0(VALU_DEP_1) | instskip(NEXT) | instid1(VALU_DEP_1)
	v_clz_i32_u32_e32 v20, v19
	v_min_u32_e32 v20, 32, v20
	s_delay_alu instid0(VALU_DEP_1) | instskip(SKIP_1) | instid1(VALU_DEP_1)
	v_subrev_nc_u32_e32 v21, 28, v20
	v_sub_nc_u32_e32 v20, 29, v20
	v_dual_cndmask_b32 v20, v22, v20 :: v_dual_lshlrev_b32 v21, v21, v18
	s_delay_alu instid0(VALU_DEP_1) | instskip(NEXT) | instid1(VALU_DEP_2)
	v_and_b32_e32 v21, 7, v21
	v_lshl_add_u32 v20, v20, 23, 0x3b800000
	s_delay_alu instid0(VALU_DEP_2) | instskip(SKIP_1) | instid1(VALU_DEP_2)
	v_cndmask_b32_e32 v19, v19, v21, vcc_lo
	v_and_b32_e32 v21, 0x80000000, v23
	v_lshlrev_b32_e32 v19, 20, v19
	s_delay_alu instid0(VALU_DEP_1)
	v_or3_b32 v19, v21, v20, v19
.LBB6_10801:                            ;   in Loop: Header=BB6_10796 Depth=3
	s_or_b32 exec_lo, exec_lo, s14
	v_and_b32_e32 v20, 0xff, v17
	s_mov_b32 s13, 0
	s_mov_b32 s16, exec_lo
                                        ; implicit-def: $sgpr14
	s_delay_alu instid0(VALU_DEP_1)
	v_cmpx_lt_i16_e32 0x7f, v20
	s_xor_b32 s16, exec_lo, s16
	s_cbranch_execnz .LBB6_10832
; %bb.10802:                            ;   in Loop: Header=BB6_10796 Depth=3
	s_or_saveexec_b32 s16, s16
	v_mov_b32_e32 v21, s14
	s_xor_b32 exec_lo, exec_lo, s16
	s_cbranch_execnz .LBB6_10835
.LBB6_10803:                            ;   in Loop: Header=BB6_10796 Depth=3
	s_or_b32 exec_lo, exec_lo, s16
	s_and_saveexec_b32 s14, s13
.LBB6_10804:                            ;   in Loop: Header=BB6_10796 Depth=3
	v_mov_b32_e32 v21, v16
.LBB6_10805:                            ;   in Loop: Header=BB6_10796 Depth=3
	s_or_b32 exec_lo, exec_lo, s14
	s_delay_alu instid0(VALU_DEP_1) | instskip(SKIP_1) | instid1(VALU_DEP_1)
	v_dual_max_f32 v20, v21, v21 :: v_dual_max_f32 v19, v19, v19
	s_mov_b32 s13, 0
	v_max_f32_e32 v19, v19, v20
	s_branch .LBB6_10807
.LBB6_10806:                            ;   in Loop: Header=BB6_10796 Depth=3
	s_mov_b32 s13, -1
                                        ; implicit-def: $vgpr19
.LBB6_10807:                            ;   in Loop: Header=BB6_10796 Depth=3
	s_delay_alu instid0(SALU_CYCLE_1)
	s_and_b32 vcc_lo, exec_lo, s13
	s_cbranch_vccz .LBB6_10817
; %bb.10808:                            ;   in Loop: Header=BB6_10796 Depth=3
	s_waitcnt vmcnt(0) lgkmcnt(0)
	v_and_b32_e32 v20, 0xff, v18
	s_mov_b32 s13, 0
	s_mov_b32 s16, exec_lo
                                        ; implicit-def: $sgpr14
	s_delay_alu instid0(VALU_DEP_1)
	v_cmpx_lt_i16_e32 0x7f, v20
	s_xor_b32 s16, exec_lo, s16
	s_cbranch_execnz .LBB6_10836
; %bb.10809:                            ;   in Loop: Header=BB6_10796 Depth=3
	s_or_saveexec_b32 s16, s16
	v_mov_b32_e32 v19, s14
	s_xor_b32 exec_lo, exec_lo, s16
	s_cbranch_execnz .LBB6_10839
.LBB6_10810:                            ;   in Loop: Header=BB6_10796 Depth=3
	s_or_b32 exec_lo, exec_lo, s16
	s_and_saveexec_b32 s14, s13
	s_cbranch_execz .LBB6_10812
.LBB6_10811:                            ;   in Loop: Header=BB6_10796 Depth=3
	v_lshrrev_b16 v22, 3, v18
	s_delay_alu instid0(VALU_DEP_1) | instskip(NEXT) | instid1(VALU_DEP_1)
	v_and_b32_e32 v22, 15, v22
	v_cmp_eq_u32_e32 vcc_lo, 0, v22
	v_and_b32_e32 v19, 7, v18
	s_delay_alu instid0(VALU_DEP_1) | instskip(NEXT) | instid1(VALU_DEP_1)
	v_clz_i32_u32_e32 v20, v19
	v_min_u32_e32 v20, 32, v20
	s_delay_alu instid0(VALU_DEP_1) | instskip(SKIP_1) | instid1(VALU_DEP_1)
	v_subrev_nc_u32_e32 v21, 28, v20
	v_sub_nc_u32_e32 v20, 29, v20
	v_dual_cndmask_b32 v20, v22, v20 :: v_dual_lshlrev_b32 v21, v21, v18
	v_lshlrev_b32_e32 v18, 24, v18
	s_delay_alu instid0(VALU_DEP_2) | instskip(NEXT) | instid1(VALU_DEP_3)
	v_and_b32_e32 v21, 7, v21
	v_lshl_add_u32 v20, v20, 23, 0x3b800000
	s_delay_alu instid0(VALU_DEP_2) | instskip(NEXT) | instid1(VALU_DEP_1)
	v_dual_cndmask_b32 v19, v19, v21 :: v_dual_and_b32 v18, 0x80000000, v18
	v_lshlrev_b32_e32 v19, 20, v19
	s_delay_alu instid0(VALU_DEP_1)
	v_or3_b32 v19, v18, v20, v19
.LBB6_10812:                            ;   in Loop: Header=BB6_10796 Depth=3
	s_or_b32 exec_lo, exec_lo, s14
	v_and_b32_e32 v17, 0xff, v17
	s_mov_b32 s13, 0
	s_mov_b32 s16, exec_lo
                                        ; implicit-def: $sgpr14
	s_delay_alu instid0(VALU_DEP_1)
	v_cmpx_lt_i16_e32 0x7f, v17
	s_xor_b32 s16, exec_lo, s16
	s_cbranch_execnz .LBB6_10840
; %bb.10813:                            ;   in Loop: Header=BB6_10796 Depth=3
	s_or_saveexec_b32 s16, s16
	v_mov_b32_e32 v18, s14
	s_xor_b32 exec_lo, exec_lo, s16
	s_cbranch_execnz .LBB6_10843
.LBB6_10814:                            ;   in Loop: Header=BB6_10796 Depth=3
	s_or_b32 exec_lo, exec_lo, s16
	s_and_saveexec_b32 s14, s13
.LBB6_10815:                            ;   in Loop: Header=BB6_10796 Depth=3
	v_mov_b32_e32 v18, v16
.LBB6_10816:                            ;   in Loop: Header=BB6_10796 Depth=3
	s_or_b32 exec_lo, exec_lo, s14
	s_delay_alu instid0(VALU_DEP_1) | instskip(NEXT) | instid1(VALU_DEP_1)
	v_dual_max_f32 v16, v18, v18 :: v_dual_max_f32 v17, v19, v19
	v_min_f32_e32 v19, v17, v16
.LBB6_10817:                            ;   in Loop: Header=BB6_10796 Depth=3
	s_delay_alu instid0(VALU_DEP_1) | instskip(NEXT) | instid1(VALU_DEP_1)
	v_and_b32_e32 v16, 0x7f800000, v19
	v_cmp_ne_u32_e32 vcc_lo, 0x7f800000, v16
	v_mov_b32_e32 v16, 0x80
	s_and_saveexec_b32 s14, vcc_lo
	s_cbranch_execz .LBB6_10825
; %bb.10818:                            ;   in Loop: Header=BB6_10796 Depth=3
	v_mov_b32_e32 v16, 0
	s_mov_b32 s16, exec_lo
	v_cmpx_ne_u32_e32 0, v19
	s_cbranch_execz .LBB6_10824
; %bb.10819:                            ;   in Loop: Header=BB6_10796 Depth=3
	v_bfe_u32 v16, v19, 23, 8
	s_waitcnt vmcnt(0) lgkmcnt(0)
	s_delay_alu instid0(VALU_DEP_1) | instskip(SKIP_1) | instid1(VALU_DEP_2)
	v_sub_nc_u32_e32 v18, 0x78, v16
	v_cmp_gt_u32_e32 vcc_lo, 0x79, v16
	v_dual_cndmask_b32 v18, 0, v18 :: v_dual_and_b32 v17, 0x7fffff, v19
	s_delay_alu instid0(VALU_DEP_1) | instskip(SKIP_2) | instid1(VALU_DEP_4)
	v_or_b32_e32 v20, 0x800000, v17
	v_cmp_eq_u32_e32 vcc_lo, 0, v16
	v_add_nc_u32_e32 v16, 0xffffff89, v16
	v_cndmask_b32_e64 v18, v18, 0x77, vcc_lo
	s_delay_alu instid0(VALU_DEP_4) | instskip(NEXT) | instid1(VALU_DEP_3)
	v_cndmask_b32_e32 v17, v20, v17, vcc_lo
	v_cndmask_b32_e64 v16, v16, 0xffffff8a, vcc_lo
	s_delay_alu instid0(VALU_DEP_3) | instskip(NEXT) | instid1(VALU_DEP_3)
	v_lshl_add_u32 v20, 0x100000, v18, -1
	v_lshrrev_b32_e32 v21, v18, v17
	v_lshlrev_b32_e64 v23, v18, 0x80000
	s_delay_alu instid0(VALU_DEP_4) | instskip(NEXT) | instid1(VALU_DEP_4)
	v_add_nc_u32_e32 v18, v18, v16
	v_and_b32_e32 v17, v20, v17
	s_delay_alu instid0(VALU_DEP_4) | instskip(NEXT) | instid1(VALU_DEP_2)
	v_bfe_u32 v22, v21, 20, 1
	v_cmp_eq_u32_e64 s13, v17, v23
	s_delay_alu instid0(VALU_DEP_2) | instskip(NEXT) | instid1(VALU_DEP_1)
	v_add_nc_u32_e32 v20, -1, v22
	v_cndmask_b32_e64 v17, 0, v20, s13
	v_lshrrev_b32_e32 v20, 23, v21
	s_mov_b32 s13, exec_lo
	s_delay_alu instid0(VALU_DEP_2) | instskip(NEXT) | instid1(VALU_DEP_2)
	v_add_nc_u32_e32 v17, v17, v21
	v_xor_b32_e32 v20, 1, v20
	s_delay_alu instid0(VALU_DEP_2) | instskip(NEXT) | instid1(VALU_DEP_1)
	v_and_b32_e32 v16, 0xfffff, v17
	v_add_nc_u32_e32 v17, v16, v21
                                        ; implicit-def: $vgpr16
	s_delay_alu instid0(VALU_DEP_3)
	v_cmpx_ne_u32_e64 v18, v20
	s_xor_b32 s13, exec_lo, s13
; %bb.10820:                            ;   in Loop: Header=BB6_10796 Depth=3
	s_delay_alu instid0(VALU_DEP_2) | instskip(SKIP_2) | instid1(VALU_DEP_2)
	v_cmp_lt_u32_e32 vcc_lo, 0xffffff, v17
	v_sub_nc_u32_e32 v16, v18, v20
	v_cndmask_b32_e64 v18, 0, 1, vcc_lo
	v_add_co_ci_u32_e32 v16, vcc_lo, 0, v16, vcc_lo
	s_delay_alu instid0(VALU_DEP_2)
	v_lshrrev_b32_e32 v17, v18, v17
; %bb.10821:                            ;   in Loop: Header=BB6_10796 Depth=3
	s_and_not1_saveexec_b32 s13, s13
; %bb.10822:                            ;   in Loop: Header=BB6_10796 Depth=3
	s_delay_alu instid0(VALU_DEP_1)
	v_bfe_u32 v16, v17, 23, 1
; %bb.10823:                            ;   in Loop: Header=BB6_10796 Depth=3
	s_or_b32 exec_lo, exec_lo, s13
	v_lshrrev_b32_e32 v17, 20, v17
	s_delay_alu instid0(VALU_DEP_2) | instskip(SKIP_2) | instid1(VALU_DEP_2)
	v_cmp_gt_i32_e32 vcc_lo, 16, v16
	v_lshrrev_b32_e32 v18, 24, v19
	v_min_i32_e32 v19, 15, v16
	v_dual_cndmask_b32 v17, 7, v17 :: v_dual_and_b32 v18, 0x80, v18
	s_delay_alu instid0(VALU_DEP_1) | instskip(SKIP_1) | instid1(VALU_DEP_2)
	v_or_b32_e32 v16, v16, v17
	v_and_b32_e32 v20, 7, v17
	v_cmp_ne_u32_e32 vcc_lo, 0, v16
	v_lshlrev_b32_e32 v19, 3, v19
	s_delay_alu instid0(VALU_DEP_1) | instskip(NEXT) | instid1(VALU_DEP_1)
	v_or3_b32 v17, v19, v18, v20
	v_cndmask_b32_e32 v16, 0, v17, vcc_lo
.LBB6_10824:                            ;   in Loop: Header=BB6_10796 Depth=3
	s_or_b32 exec_lo, exec_lo, s16
.LBB6_10825:                            ;   in Loop: Header=BB6_10796 Depth=3
	s_delay_alu instid0(SALU_CYCLE_1)
	s_or_b32 exec_lo, exec_lo, s14
	s_mov_b64 s[16:17], 0
	s_mov_b32 s36, -1
.LBB6_10826:                            ;   Parent Loop BB6_51 Depth=1
                                        ;     Parent Loop BB6_5644 Depth=2
                                        ;       Parent Loop BB6_10796 Depth=3
                                        ; =>      This Inner Loop Header: Depth=4
	s_cmp_eq_u32 s16, 1
	s_cselect_b32 vcc_lo, -1, 0
	s_cmp_eq_u32 s16, 0
	s_waitcnt vmcnt(0) lgkmcnt(0)
	v_dual_cndmask_b32 v18, v9, v11 :: v_dual_cndmask_b32 v17, v8, v10
	s_mov_b64 s[16:17], 1
	s_delay_alu instid0(VALU_DEP_1) | instskip(NEXT) | instid1(VALU_DEP_1)
	v_add_co_u32 v19, s13, v17, 32
	v_add_co_ci_u32_e64 v20, s13, 0, v18, s13
	s_cselect_b32 s13, -1, 0
	s_and_b32 s14, exec_lo, s36
	s_delay_alu instid0(VALU_DEP_1)
	v_dual_cndmask_b32 v10, v10, v19 :: v_dual_cndmask_b32 v11, v11, v20
	v_cndmask_b32_e64 v9, v9, v20, s13
	v_cndmask_b32_e64 v8, v8, v19, s13
	s_mov_b32 s36, 0
	s_mov_b32 vcc_lo, s14
	flat_store_b8 v[17:18], v16 glc slc dlc
	s_cbranch_vccnz .LBB6_10826
; %bb.10827:                            ;   in Loop: Header=BB6_10796 Depth=3
	v_add_co_u32 v12, vcc_lo, v12, v162
	v_add_co_ci_u32_e32 v13, vcc_lo, v13, v163, vcc_lo
	v_add_co_u32 v14, vcc_lo, v14, v162
	v_sub_nc_u32_e32 v2, v2, v147
	v_add_co_ci_u32_e32 v15, vcc_lo, v15, v163, vcc_lo
	v_add_co_u32 v8, vcc_lo, v8, v150
	v_add_co_ci_u32_e32 v9, vcc_lo, v9, v161, vcc_lo
	s_delay_alu instid0(VALU_DEP_4) | instskip(SKIP_1) | instid1(VALU_DEP_1)
	v_cmp_gt_i32_e32 vcc_lo, 1, v2
	v_add_co_u32 v10, s13, v10, v150
	v_add_co_ci_u32_e64 v11, s13, v11, v161, s13
	s_or_b32 s34, vcc_lo, s34
	s_delay_alu instid0(SALU_CYCLE_1)
	s_and_not1_b32 exec_lo, exec_lo, s34
	s_cbranch_execnz .LBB6_10796
	s_branch .LBB6_10844
.LBB6_10828:                            ;   in Loop: Header=BB6_10796 Depth=3
	s_mov_b32 s13, -1
	s_mov_b32 s17, exec_lo
                                        ; implicit-def: $sgpr14
	v_cmpx_eq_u16_e32 0x80, v20
; %bb.10829:                            ;   in Loop: Header=BB6_10796 Depth=3
	s_mov_b32 s14, 0x7f800001
	s_xor_b32 s13, exec_lo, -1
; %bb.10830:                            ;   in Loop: Header=BB6_10796 Depth=3
	s_or_b32 exec_lo, exec_lo, s17
	s_delay_alu instid0(SALU_CYCLE_1)
	s_and_b32 s13, s13, exec_lo
                                        ; implicit-def: $vgpr20
	s_or_saveexec_b32 s16, s16
	v_mov_b32_e32 v19, s14
	s_xor_b32 exec_lo, exec_lo, s16
	s_cbranch_execz .LBB6_10799
.LBB6_10831:                            ;   in Loop: Header=BB6_10796 Depth=3
	v_cmp_ne_u16_e32 vcc_lo, 0, v20
	v_mov_b32_e32 v19, 0
	s_and_not1_b32 s13, s13, exec_lo
	s_and_b32 s14, vcc_lo, exec_lo
	s_delay_alu instid0(SALU_CYCLE_1)
	s_or_b32 s13, s13, s14
	s_or_b32 exec_lo, exec_lo, s16
	s_and_saveexec_b32 s14, s13
	s_cbranch_execnz .LBB6_10800
	s_branch .LBB6_10801
.LBB6_10832:                            ;   in Loop: Header=BB6_10796 Depth=3
	s_mov_b32 s13, -1
	s_mov_b32 s17, exec_lo
                                        ; implicit-def: $sgpr14
	v_cmpx_eq_u16_e32 0x80, v20
; %bb.10833:                            ;   in Loop: Header=BB6_10796 Depth=3
	s_mov_b32 s14, 0x7f800001
	s_xor_b32 s13, exec_lo, -1
; %bb.10834:                            ;   in Loop: Header=BB6_10796 Depth=3
	s_or_b32 exec_lo, exec_lo, s17
	s_delay_alu instid0(SALU_CYCLE_1)
	s_and_b32 s13, s13, exec_lo
                                        ; implicit-def: $vgpr20
	s_or_saveexec_b32 s16, s16
	v_mov_b32_e32 v21, s14
	s_xor_b32 exec_lo, exec_lo, s16
	s_cbranch_execz .LBB6_10803
.LBB6_10835:                            ;   in Loop: Header=BB6_10796 Depth=3
	v_cmp_ne_u16_e32 vcc_lo, 0, v20
	v_mov_b32_e32 v21, 0
	s_and_not1_b32 s13, s13, exec_lo
	s_and_b32 s14, vcc_lo, exec_lo
	s_delay_alu instid0(SALU_CYCLE_1)
	s_or_b32 s13, s13, s14
	s_or_b32 exec_lo, exec_lo, s16
	s_and_saveexec_b32 s14, s13
	s_cbranch_execnz .LBB6_10804
	s_branch .LBB6_10805
.LBB6_10836:                            ;   in Loop: Header=BB6_10796 Depth=3
	s_mov_b32 s13, -1
	s_mov_b32 s17, exec_lo
                                        ; implicit-def: $sgpr14
	v_cmpx_eq_u16_e32 0x80, v20
; %bb.10837:                            ;   in Loop: Header=BB6_10796 Depth=3
	s_mov_b32 s14, 0x7f800001
	s_xor_b32 s13, exec_lo, -1
; %bb.10838:                            ;   in Loop: Header=BB6_10796 Depth=3
	s_or_b32 exec_lo, exec_lo, s17
	s_delay_alu instid0(SALU_CYCLE_1)
	s_and_b32 s13, s13, exec_lo
                                        ; implicit-def: $vgpr20
	s_or_saveexec_b32 s16, s16
	v_mov_b32_e32 v19, s14
	s_xor_b32 exec_lo, exec_lo, s16
	s_cbranch_execz .LBB6_10810
.LBB6_10839:                            ;   in Loop: Header=BB6_10796 Depth=3
	v_cmp_ne_u16_e32 vcc_lo, 0, v20
	v_mov_b32_e32 v19, 0
	s_and_not1_b32 s13, s13, exec_lo
	s_and_b32 s14, vcc_lo, exec_lo
	s_delay_alu instid0(SALU_CYCLE_1)
	s_or_b32 s13, s13, s14
	s_or_b32 exec_lo, exec_lo, s16
	s_and_saveexec_b32 s14, s13
	s_cbranch_execnz .LBB6_10811
	s_branch .LBB6_10812
.LBB6_10840:                            ;   in Loop: Header=BB6_10796 Depth=3
	s_mov_b32 s13, -1
	s_mov_b32 s17, exec_lo
                                        ; implicit-def: $sgpr14
	v_cmpx_eq_u16_e32 0x80, v17
; %bb.10841:                            ;   in Loop: Header=BB6_10796 Depth=3
	s_mov_b32 s14, 0x7f800001
	s_xor_b32 s13, exec_lo, -1
; %bb.10842:                            ;   in Loop: Header=BB6_10796 Depth=3
	s_or_b32 exec_lo, exec_lo, s17
	s_delay_alu instid0(SALU_CYCLE_1)
	s_and_b32 s13, s13, exec_lo
                                        ; implicit-def: $vgpr17
	s_or_saveexec_b32 s16, s16
	v_mov_b32_e32 v18, s14
	s_xor_b32 exec_lo, exec_lo, s16
	s_cbranch_execz .LBB6_10814
.LBB6_10843:                            ;   in Loop: Header=BB6_10796 Depth=3
	v_cmp_ne_u16_e32 vcc_lo, 0, v17
	v_mov_b32_e32 v18, 0
	s_and_not1_b32 s13, s13, exec_lo
	s_and_b32 s14, vcc_lo, exec_lo
	s_delay_alu instid0(SALU_CYCLE_1)
	s_or_b32 s13, s13, s14
	s_or_b32 exec_lo, exec_lo, s16
	s_and_saveexec_b32 s14, s13
	s_cbranch_execnz .LBB6_10815
	s_branch .LBB6_10816
.LBB6_10844:                            ;   in Loop: Header=BB6_5644 Depth=2
	s_or_b32 exec_lo, exec_lo, s31
.LBB6_10845:                            ;   in Loop: Header=BB6_5644 Depth=2
	s_delay_alu instid0(SALU_CYCLE_1)
	s_or_b32 exec_lo, exec_lo, s15
	s_mov_b32 s13, 0
.LBB6_10846:                            ;   in Loop: Header=BB6_5644 Depth=2
	s_delay_alu instid0(SALU_CYCLE_1)
	s_and_b32 vcc_lo, exec_lo, s13
	s_cbranch_vccnz .LBB6_10847
; %bb.17456:                            ;   in Loop: Header=BB6_5644 Depth=2
	s_getpc_b64 s[48:49]
.Lpost_getpc399:
	s_add_u32 s48, s48, (.LBB6_15965-.Lpost_getpc399)&4294967295
	s_addc_u32 s49, s49, (.LBB6_15965-.Lpost_getpc399)>>32
	s_setpc_b64 s[48:49]
.LBB6_10847:                            ;   in Loop: Header=BB6_5644 Depth=2
	s_mov_b32 s13, -1
	s_and_saveexec_b32 s14, s12
	s_cbranch_execz .LBB6_10849
; %bb.10848:                            ;   in Loop: Header=BB6_5644 Depth=2
	ds_load_b32 v2, v0 offset:720
	s_waitcnt lgkmcnt(0)
	v_and_b32_e32 v2, 15, v2
	s_delay_alu instid0(VALU_DEP_1)
	v_cmp_eq_u32_e32 vcc_lo, 0, v2
	s_or_not1_b32 s13, vcc_lo, exec_lo
.LBB6_10849:                            ;   in Loop: Header=BB6_5644 Depth=2
	s_or_b32 exec_lo, exec_lo, s14
	s_and_saveexec_b32 s14, s5
	s_cbranch_execz .LBB6_10851
; %bb.10850:                            ;   in Loop: Header=BB6_5644 Depth=2
	ds_load_b32 v2, v0 offset:784
	s_waitcnt lgkmcnt(0)
	v_and_b32_e32 v2, 15, v2
	s_delay_alu instid0(VALU_DEP_1) | instskip(SKIP_3) | instid1(SALU_CYCLE_1)
	v_cmp_eq_u32_e32 vcc_lo, 0, v2
	s_and_b32 s15, s13, vcc_lo
	s_and_not1_b32 s13, s13, exec_lo
	s_and_b32 s15, s15, exec_lo
	s_or_b32 s13, s13, s15
.LBB6_10851:                            ;   in Loop: Header=BB6_5644 Depth=2
	s_or_b32 exec_lo, exec_lo, s14
	s_xor_b32 s13, s13, -1
	v_dual_mov_b32 v14, 0 :: v_dual_mov_b32 v15, v182
	v_cndmask_b32_e64 v2, 0, 1, s13
	;;#ASMSTART
	;;#ASMEND
	s_delay_alu instid0(VALU_DEP_1)
	v_cmp_ne_u32_e32 vcc_lo, 0, v2
	s_waitcnt vmcnt(0)
	v_mov_b32_e32 v16, v0
	v_mov_b32_e32 v8, v130
	s_mov_b32 s13, -1
	s_cbranch_vccnz .LBB6_14467
; %bb.10852:                            ;   in Loop: Header=BB6_5644 Depth=2
	v_ashrrev_i32_e32 v2, 31, v182
	s_mov_b32 s14, exec_lo
	s_delay_alu instid0(VALU_DEP_1) | instskip(NEXT) | instid1(VALU_DEP_1)
	v_lshrrev_b32_e32 v2, 21, v2
	v_add_nc_u32_e32 v2, v182, v2
	s_delay_alu instid0(VALU_DEP_1) | instskip(NEXT) | instid1(VALU_DEP_1)
	v_ashrrev_i32_e32 v116, 11, v2
	v_sub_nc_u32_e32 v2, v116, v130
	s_delay_alu instid0(VALU_DEP_1)
	v_cmpx_lt_i32_e32 0, v2
	s_cbranch_execz .LBB6_13737
; %bb.10853:                            ;   in Loop: Header=BB6_5644 Depth=2
	s_cbranch_execz .LBB6_10854
; %bb.17458:
	s_getpc_b64 s[48:49]
.Lpost_getpc400:
	s_add_u32 s48, s48, (.LBB6_17034-.Lpost_getpc400)&4294967295
	s_addc_u32 s49, s49, (.LBB6_17034-.Lpost_getpc400)>>32
	s_setpc_b64 s[48:49]
.LBB6_10854:                            ;   in Loop: Header=BB6_5644 Depth=2
	ds_load_b128 v[8:11], v0
	ds_load_b64 v[12:13], v0
	s_bitcmp1_b32 s30, 0
	s_mov_b32 s15, 0
	s_cselect_b32 s16, -1, 0
	s_waitcnt lgkmcnt(1)
	v_add_co_u32 v101, vcc_lo, v8, v164
	v_add_co_ci_u32_e32 v102, vcc_lo, v9, v165, vcc_lo
	v_add_co_u32 v112, vcc_lo, v10, v164
	v_add_co_ci_u32_e32 v113, vcc_lo, v11, v165, vcc_lo
	s_waitcnt lgkmcnt(0)
	v_add_co_u32 v114, vcc_lo, v12, v164
	v_add_co_ci_u32_e32 v115, vcc_lo, v13, v165, vcc_lo
	s_branch .LBB6_10858
.LBB6_10855:                            ;   in Loop: Header=BB6_10858 Depth=3
	s_or_b32 exec_lo, exec_lo, s13
	s_delay_alu instid0(VALU_DEP_1) | instskip(NEXT) | instid1(VALU_DEP_2)
	v_lshrrev_b32_e32 v15, 20, v15
	v_min_i32_e32 v95, 15, v11
	v_cmp_gt_i32_e32 vcc_lo, 16, v11
	v_lshrrev_b32_e32 v104, 24, v105
	s_delay_alu instid0(VALU_DEP_3) | instskip(NEXT) | instid1(VALU_DEP_2)
	v_lshlrev_b32_e32 v95, 3, v95
	v_dual_cndmask_b32 v15, 7, v15 :: v_dual_and_b32 v104, 0x80, v104
	s_delay_alu instid0(VALU_DEP_2) | instskip(NEXT) | instid1(VALU_DEP_2)
	v_and_b32_e32 v95, 0xf8, v95
	v_and_b32_e32 v105, 7, v15
	v_or_b32_e32 v11, v11, v15
	s_delay_alu instid0(VALU_DEP_2) | instskip(NEXT) | instid1(VALU_DEP_2)
	v_or3_b32 v95, v104, v95, v105
	v_cmp_ne_u32_e32 vcc_lo, 0, v11
	s_delay_alu instid0(VALU_DEP_2) | instskip(NEXT) | instid1(VALU_DEP_1)
	v_lshlrev_b32_e32 v15, 8, v95
	v_cndmask_b32_e32 v11, 0, v15, vcc_lo
.LBB6_10856:                            ;   in Loop: Header=BB6_10858 Depth=3
	s_or_b32 exec_lo, exec_lo, s31
.LBB6_10857:                            ;   in Loop: Header=BB6_10858 Depth=3
	s_delay_alu instid0(SALU_CYCLE_1)
	s_or_b32 exec_lo, exec_lo, s17
	v_lshlrev_b32_e32 v15, 8, v73
	v_and_b32_e32 v72, 0xff, v72
	v_or_b32_e32 v17, v17, v74
	v_lshlrev_b32_e32 v73, 24, v16
	v_lshlrev_b32_e32 v16, 8, v63
	v_perm_b32 v15, v15, v20, 0xc0c0500
	v_lshlrev_b32_e32 v20, 16, v72
	v_and_b32_e32 v63, 0xff, v76
	v_lshlrev_b32_e32 v72, 8, v75
	v_lshlrev_b32_e32 v74, 8, v77
	;; [unrolled: 1-line block ×3, first 2 shown]
	v_or_b32_e32 v19, v19, v78
	v_lshlrev_b32_e32 v63, 16, v63
	v_perm_b32 v21, v72, v21, 0xc0c0500
	v_perm_b32 v22, v74, v22, 0xc0c0500
	;; [unrolled: 1-line block ×3, first 2 shown]
	v_lshl_or_b32 v16, v17, 16, v15
	v_lshlrev_b32_e32 v57, 8, v57
	v_or3_b32 v17, v18, v63, v21
	v_lshl_or_b32 v18, v19, 16, v22
	v_and_b32_e32 v21, 0xff, v56
	v_lshlrev_b32_e32 v22, 8, v47
	v_or3_b32 v15, v73, v20, v35
	v_or_b32_e32 v19, v25, v58
	v_perm_b32 v20, v57, v32, 0xc0c0500
	v_lshlrev_b32_e32 v24, 24, v24
	v_and_b32_e32 v25, 0xff, v60
	v_lshlrev_b32_e32 v32, 8, v59
	v_lshlrev_b32_e32 v21, 16, v21
	v_perm_b32 v22, v22, v51, 0xc0c0500
	v_lshlrev_b32_e32 v26, 24, v26
	v_lshlrev_b32_e32 v25, 16, v25
	v_perm_b32 v32, v32, v33, 0xc0c0500
	v_lshlrev_b32_e32 v33, 8, v61
	v_lshl_or_b32 v20, v19, 16, v20
	v_or3_b32 v19, v24, v21, v22
	v_lshlrev_b32_e32 v22, 8, v41
	v_or3_b32 v21, v26, v25, v32
	v_perm_b32 v24, v33, v34, 0xc0c0500
	v_or_b32_e32 v25, v27, v62
	v_or_b32_e32 v26, v37, v42
	v_perm_b32 v27, v22, v48, 0xc0c0500
	v_and_b32_e32 v22, 0xff, v40
	v_lshlrev_b32_e32 v32, 8, v183
	v_and_b32_e32 v34, 0xff, v44
	v_lshlrev_b32_e32 v35, 8, v43
	v_lshlrev_b32_e32 v33, 24, v36
	;; [unrolled: 1-line block ×3, first 2 shown]
	v_perm_b32 v32, v32, v117, 0xc0c0500
	v_lshlrev_b32_e32 v37, 24, v38
	v_lshlrev_b32_e32 v34, 16, v34
	v_perm_b32 v35, v35, v49, 0xc0c0500
	v_lshl_or_b32 v22, v25, 16, v24
	v_lshl_or_b32 v25, v26, 16, v27
	v_lshlrev_b32_e32 v27, 8, v89
	v_lshlrev_b32_e32 v38, 8, v45
	v_or3_b32 v24, v33, v36, v32
	v_or3_b32 v26, v37, v34, v35
	v_and_b32_e32 v34, 0xff, v88
	v_perm_b32 v12, v27, v12, 0xc0c0500
	v_lshlrev_b32_e32 v27, 8, v79
	v_and_b32_e32 v35, 0xff, v92
	v_lshlrev_b32_e32 v36, 8, v91
	v_lshlrev_b32_e32 v37, 8, v93
	v_perm_b32 v32, v38, v50, 0xc0c0500
	v_or_b32_e32 v33, v39, v46
	v_or_b32_e32 v9, v9, v90
	v_lshlrev_b32_e32 v8, 24, v8
	v_lshlrev_b32_e32 v34, 16, v34
	v_perm_b32 v23, v27, v23, 0xc0c0500
	v_lshlrev_b32_e32 v10, 24, v10
	v_lshlrev_b32_e32 v35, 16, v35
	v_perm_b32 v13, v36, v13, 0xc0c0500
	v_perm_b32 v14, v37, v14, 0xc0c0500
	v_or_b32_e32 v11, v11, v94
	v_add_co_u32 v101, vcc_lo, v101, v166
	v_lshl_or_b32 v27, v33, 16, v32
	v_sub_nc_u32_e32 v2, v2, v129
	v_add_co_ci_u32_e32 v102, vcc_lo, v102, v167, vcc_lo
	v_add_co_u32 v112, vcc_lo, v112, v166
	v_lshl_or_b32 v9, v9, 16, v12
	v_or3_b32 v8, v8, v34, v23
	v_or3_b32 v10, v10, v35, v13
	v_lshl_or_b32 v11, v11, 16, v14
	v_add_co_ci_u32_e32 v113, vcc_lo, v113, v167, vcc_lo
	s_clause 0x3
	global_store_b128 v[114:115], v[24:27], off glc slc dlc
	global_store_b128 v[114:115], v[19:22], off offset:512 glc slc dlc
	global_store_b128 v[114:115], v[15:18], off offset:1024 glc slc dlc
	global_store_b128 v[114:115], v[8:11], off offset:1536 glc slc dlc
	v_cmp_gt_i32_e32 vcc_lo, 1, v2
	v_add_co_u32 v114, s13, v114, v166
	s_delay_alu instid0(VALU_DEP_1) | instskip(SKIP_1) | instid1(SALU_CYCLE_1)
	v_add_co_ci_u32_e64 v115, s13, v115, v167, s13
	s_or_b32 s15, vcc_lo, s15
	s_and_not1_b32 exec_lo, exec_lo, s15
	s_cbranch_execz .LBB6_13736
.LBB6_10858:                            ;   Parent Loop BB6_51 Depth=1
                                        ;     Parent Loop BB6_5644 Depth=2
                                        ; =>    This Inner Loop Header: Depth=3
	s_clause 0x3
	global_load_b128 v[48:51], v[101:102], off slc dlc
	global_load_b128 v[32:35], v[101:102], off offset:512 slc dlc
	global_load_b128 v[20:23], v[101:102], off offset:1024 slc dlc
	;; [unrolled: 1-line block ×3, first 2 shown]
	s_clause 0x3
	global_load_b128 v[36:39], v[112:113], off slc dlc
	global_load_b128 v[24:27], v[112:113], off offset:512 slc dlc
	global_load_b128 v[16:19], v[112:113], off offset:1024 slc dlc
	;; [unrolled: 1-line block ×3, first 2 shown]
	s_and_b32 vcc_lo, exec_lo, s16
	s_cbranch_vccz .LBB6_10868
; %bb.10859:                            ;   in Loop: Header=BB6_10858 Depth=3
	s_waitcnt vmcnt(7)
	v_and_b32_e32 v183, 0xff, v48
	s_mov_b32 s13, 0
	s_mov_b32 s31, exec_lo
                                        ; implicit-def: $sgpr17
	s_delay_alu instid0(VALU_DEP_1)
	v_cmpx_lt_i16_e64 0x7f, v183
	s_xor_b32 s31, exec_lo, s31
	s_cbranch_execnz .LBB6_12712
; %bb.10860:                            ;   in Loop: Header=BB6_10858 Depth=3
	s_or_saveexec_b32 s31, s31
	v_mov_b32_e32 v117, s17
	s_xor_b32 exec_lo, exec_lo, s31
	s_cbranch_execnz .LBB6_12715
.LBB6_10861:                            ;   in Loop: Header=BB6_10858 Depth=3
	s_or_b32 exec_lo, exec_lo, s31
	s_and_saveexec_b32 s17, s13
	s_cbranch_execz .LBB6_10863
.LBB6_10862:                            ;   in Loop: Header=BB6_10858 Depth=3
	v_and_b32_e32 v117, 7, v48
	v_bfe_u32 v41, v48, 3, 4
	v_lshlrev_b32_e32 v42, 24, v48
	s_delay_alu instid0(VALU_DEP_3) | instskip(NEXT) | instid1(VALU_DEP_3)
	v_clz_i32_u32_e32 v183, v117
	v_cmp_eq_u32_e32 vcc_lo, 0, v41
	s_delay_alu instid0(VALU_DEP_2) | instskip(NEXT) | instid1(VALU_DEP_1)
	v_min_u32_e32 v183, 32, v183
	v_subrev_nc_u32_e32 v40, 28, v183
	v_sub_nc_u32_e32 v183, 29, v183
	s_delay_alu instid0(VALU_DEP_1) | instskip(NEXT) | instid1(VALU_DEP_1)
	v_dual_cndmask_b32 v183, v41, v183 :: v_dual_lshlrev_b32 v40, v40, v48
	v_and_b32_e32 v40, 7, v40
	s_delay_alu instid0(VALU_DEP_2) | instskip(NEXT) | instid1(VALU_DEP_2)
	v_lshl_add_u32 v183, v183, 23, 0x3b800000
	v_dual_cndmask_b32 v117, v117, v40 :: v_dual_and_b32 v40, 0x80000000, v42
	s_delay_alu instid0(VALU_DEP_1) | instskip(NEXT) | instid1(VALU_DEP_1)
	v_lshlrev_b32_e32 v117, 20, v117
	v_or3_b32 v117, v40, v183, v117
.LBB6_10863:                            ;   in Loop: Header=BB6_10858 Depth=3
	s_or_b32 exec_lo, exec_lo, s17
	s_waitcnt vmcnt(3)
	v_and_b32_e32 v40, 0xff, v36
	s_mov_b32 s13, 0
	s_mov_b32 s31, exec_lo
                                        ; implicit-def: $sgpr17
	s_delay_alu instid0(VALU_DEP_1)
	v_cmpx_lt_i16_e32 0x7f, v40
	s_xor_b32 s31, exec_lo, s31
	s_cbranch_execnz .LBB6_12716
; %bb.10864:                            ;   in Loop: Header=BB6_10858 Depth=3
	s_or_saveexec_b32 s31, s31
	v_mov_b32_e32 v183, s17
	s_xor_b32 exec_lo, exec_lo, s31
	s_cbranch_execnz .LBB6_12719
.LBB6_10865:                            ;   in Loop: Header=BB6_10858 Depth=3
	s_or_b32 exec_lo, exec_lo, s31
	s_and_saveexec_b32 s17, s13
	s_cbranch_execz .LBB6_10867
.LBB6_10866:                            ;   in Loop: Header=BB6_10858 Depth=3
	v_and_b32_e32 v183, 7, v36
	v_bfe_u32 v42, v36, 3, 4
	v_lshlrev_b32_e32 v43, 24, v36
	s_delay_alu instid0(VALU_DEP_3) | instskip(NEXT) | instid1(VALU_DEP_3)
	v_clz_i32_u32_e32 v40, v183
	v_cmp_eq_u32_e32 vcc_lo, 0, v42
	s_delay_alu instid0(VALU_DEP_2) | instskip(NEXT) | instid1(VALU_DEP_1)
	v_min_u32_e32 v40, 32, v40
	v_subrev_nc_u32_e32 v41, 28, v40
	v_sub_nc_u32_e32 v40, 29, v40
	s_delay_alu instid0(VALU_DEP_2) | instskip(NEXT) | instid1(VALU_DEP_1)
	v_lshlrev_b32_e32 v41, v41, v36
	v_dual_cndmask_b32 v40, v42, v40 :: v_dual_and_b32 v41, 7, v41
	s_delay_alu instid0(VALU_DEP_1) | instskip(NEXT) | instid1(VALU_DEP_2)
	v_lshl_add_u32 v40, v40, 23, 0x3b800000
	v_cndmask_b32_e32 v183, v183, v41, vcc_lo
	v_and_b32_e32 v41, 0x80000000, v43
	s_delay_alu instid0(VALU_DEP_2) | instskip(NEXT) | instid1(VALU_DEP_1)
	v_lshlrev_b32_e32 v183, 20, v183
	v_or3_b32 v183, v41, v40, v183
.LBB6_10867:                            ;   in Loop: Header=BB6_10858 Depth=3
	s_or_b32 exec_lo, exec_lo, s17
	s_delay_alu instid0(VALU_DEP_1) | instskip(SKIP_2) | instid1(VALU_DEP_1)
	v_max_f32_e32 v183, v183, v183
	v_max_f32_e32 v117, v117, v117
	s_mov_b32 s13, 0
	v_max_f32_e32 v183, v117, v183
	s_branch .LBB6_10869
.LBB6_10868:                            ;   in Loop: Header=BB6_10858 Depth=3
	s_mov_b32 s13, -1
                                        ; implicit-def: $vgpr183
.LBB6_10869:                            ;   in Loop: Header=BB6_10858 Depth=3
	s_delay_alu instid0(SALU_CYCLE_1)
	s_and_b32 vcc_lo, exec_lo, s13
	s_cbranch_vccz .LBB6_10879
; %bb.10870:                            ;   in Loop: Header=BB6_10858 Depth=3
	s_waitcnt vmcnt(7)
	v_and_b32_e32 v183, 0xff, v48
	s_mov_b32 s13, 0
	s_mov_b32 s31, exec_lo
                                        ; implicit-def: $sgpr17
	s_delay_alu instid0(VALU_DEP_1)
	v_cmpx_lt_i16_e64 0x7f, v183
	s_xor_b32 s31, exec_lo, s31
	s_cbranch_execnz .LBB6_12720
; %bb.10871:                            ;   in Loop: Header=BB6_10858 Depth=3
	s_or_saveexec_b32 s31, s31
	v_mov_b32_e32 v117, s17
	s_xor_b32 exec_lo, exec_lo, s31
	s_cbranch_execnz .LBB6_12723
.LBB6_10872:                            ;   in Loop: Header=BB6_10858 Depth=3
	s_or_b32 exec_lo, exec_lo, s31
	s_and_saveexec_b32 s17, s13
	s_cbranch_execz .LBB6_10874
.LBB6_10873:                            ;   in Loop: Header=BB6_10858 Depth=3
	v_and_b32_e32 v117, 7, v48
	v_bfe_u32 v41, v48, 3, 4
	v_lshlrev_b32_e32 v42, 24, v48
	s_delay_alu instid0(VALU_DEP_3) | instskip(NEXT) | instid1(VALU_DEP_3)
	v_clz_i32_u32_e32 v183, v117
	v_cmp_eq_u32_e32 vcc_lo, 0, v41
	s_delay_alu instid0(VALU_DEP_2) | instskip(NEXT) | instid1(VALU_DEP_1)
	v_min_u32_e32 v183, 32, v183
	v_subrev_nc_u32_e32 v40, 28, v183
	v_sub_nc_u32_e32 v183, 29, v183
	s_delay_alu instid0(VALU_DEP_1) | instskip(NEXT) | instid1(VALU_DEP_1)
	v_dual_cndmask_b32 v183, v41, v183 :: v_dual_lshlrev_b32 v40, v40, v48
	v_and_b32_e32 v40, 7, v40
	s_delay_alu instid0(VALU_DEP_2) | instskip(NEXT) | instid1(VALU_DEP_2)
	v_lshl_add_u32 v183, v183, 23, 0x3b800000
	v_dual_cndmask_b32 v117, v117, v40 :: v_dual_and_b32 v40, 0x80000000, v42
	s_delay_alu instid0(VALU_DEP_1) | instskip(NEXT) | instid1(VALU_DEP_1)
	v_lshlrev_b32_e32 v117, 20, v117
	v_or3_b32 v117, v40, v183, v117
.LBB6_10874:                            ;   in Loop: Header=BB6_10858 Depth=3
	s_or_b32 exec_lo, exec_lo, s17
	s_waitcnt vmcnt(3)
	v_and_b32_e32 v40, 0xff, v36
	s_mov_b32 s13, 0
	s_mov_b32 s31, exec_lo
                                        ; implicit-def: $sgpr17
	s_delay_alu instid0(VALU_DEP_1)
	v_cmpx_lt_i16_e32 0x7f, v40
	s_xor_b32 s31, exec_lo, s31
	s_cbranch_execnz .LBB6_12724
; %bb.10875:                            ;   in Loop: Header=BB6_10858 Depth=3
	s_or_saveexec_b32 s31, s31
	v_mov_b32_e32 v183, s17
	s_xor_b32 exec_lo, exec_lo, s31
	s_cbranch_execnz .LBB6_12727
.LBB6_10876:                            ;   in Loop: Header=BB6_10858 Depth=3
	s_or_b32 exec_lo, exec_lo, s31
	s_and_saveexec_b32 s17, s13
	s_cbranch_execz .LBB6_10878
.LBB6_10877:                            ;   in Loop: Header=BB6_10858 Depth=3
	v_and_b32_e32 v183, 7, v36
	v_bfe_u32 v42, v36, 3, 4
	v_lshlrev_b32_e32 v43, 24, v36
	s_delay_alu instid0(VALU_DEP_3) | instskip(NEXT) | instid1(VALU_DEP_3)
	v_clz_i32_u32_e32 v40, v183
	v_cmp_eq_u32_e32 vcc_lo, 0, v42
	s_delay_alu instid0(VALU_DEP_2) | instskip(NEXT) | instid1(VALU_DEP_1)
	v_min_u32_e32 v40, 32, v40
	v_subrev_nc_u32_e32 v41, 28, v40
	v_sub_nc_u32_e32 v40, 29, v40
	s_delay_alu instid0(VALU_DEP_2) | instskip(NEXT) | instid1(VALU_DEP_1)
	v_lshlrev_b32_e32 v41, v41, v36
	v_dual_cndmask_b32 v40, v42, v40 :: v_dual_and_b32 v41, 7, v41
	s_delay_alu instid0(VALU_DEP_1) | instskip(NEXT) | instid1(VALU_DEP_2)
	v_lshl_add_u32 v40, v40, 23, 0x3b800000
	v_cndmask_b32_e32 v183, v183, v41, vcc_lo
	v_and_b32_e32 v41, 0x80000000, v43
	s_delay_alu instid0(VALU_DEP_2) | instskip(NEXT) | instid1(VALU_DEP_1)
	v_lshlrev_b32_e32 v183, 20, v183
	v_or3_b32 v183, v41, v40, v183
.LBB6_10878:                            ;   in Loop: Header=BB6_10858 Depth=3
	s_or_b32 exec_lo, exec_lo, s17
	s_delay_alu instid0(VALU_DEP_1) | instskip(SKIP_1) | instid1(VALU_DEP_1)
	v_max_f32_e32 v183, v183, v183
	v_max_f32_e32 v117, v117, v117
	v_min_f32_e32 v183, v117, v183
.LBB6_10879:                            ;   in Loop: Header=BB6_10858 Depth=3
	s_delay_alu instid0(VALU_DEP_1) | instskip(NEXT) | instid1(VALU_DEP_1)
	v_and_b32_e32 v117, 0x7f800000, v183
	v_cmp_ne_u32_e32 vcc_lo, 0x7f800000, v117
	v_mov_b32_e32 v117, 0x80
	s_and_saveexec_b32 s17, vcc_lo
	s_cbranch_execz .LBB6_10887
; %bb.10880:                            ;   in Loop: Header=BB6_10858 Depth=3
	v_mov_b32_e32 v117, 0
	s_mov_b32 s31, exec_lo
	v_cmpx_ne_u32_e32 0, v183
	s_cbranch_execz .LBB6_10886
; %bb.10881:                            ;   in Loop: Header=BB6_10858 Depth=3
	v_bfe_u32 v117, v183, 23, 8
	s_delay_alu instid0(VALU_DEP_1) | instskip(SKIP_1) | instid1(VALU_DEP_2)
	v_sub_nc_u32_e32 v41, 0x78, v117
	v_cmp_gt_u32_e32 vcc_lo, 0x79, v117
	v_dual_cndmask_b32 v41, 0, v41 :: v_dual_and_b32 v40, 0x7fffff, v183
	s_delay_alu instid0(VALU_DEP_1) | instskip(SKIP_2) | instid1(VALU_DEP_4)
	v_or_b32_e32 v42, 0x800000, v40
	v_cmp_eq_u32_e32 vcc_lo, 0, v117
	v_add_nc_u32_e32 v117, 0xffffff89, v117
	v_cndmask_b32_e64 v41, v41, 0x77, vcc_lo
	s_delay_alu instid0(VALU_DEP_4) | instskip(NEXT) | instid1(VALU_DEP_3)
	v_cndmask_b32_e32 v40, v42, v40, vcc_lo
	v_cndmask_b32_e64 v117, v117, 0xffffff8a, vcc_lo
	s_delay_alu instid0(VALU_DEP_3) | instskip(NEXT) | instid1(VALU_DEP_3)
	v_lshl_add_u32 v42, 0x100000, v41, -1
	v_lshrrev_b32_e32 v43, v41, v40
	v_lshlrev_b32_e64 v45, v41, 0x80000
	s_delay_alu instid0(VALU_DEP_4) | instskip(NEXT) | instid1(VALU_DEP_4)
	v_add_nc_u32_e32 v41, v41, v117
	v_and_b32_e32 v40, v42, v40
	s_delay_alu instid0(VALU_DEP_4) | instskip(NEXT) | instid1(VALU_DEP_2)
	v_bfe_u32 v44, v43, 20, 1
	v_cmp_eq_u32_e64 s13, v40, v45
	s_delay_alu instid0(VALU_DEP_2) | instskip(NEXT) | instid1(VALU_DEP_1)
	v_add_nc_u32_e32 v42, -1, v44
	v_cndmask_b32_e64 v40, 0, v42, s13
	v_lshrrev_b32_e32 v42, 23, v43
	s_mov_b32 s13, exec_lo
	s_delay_alu instid0(VALU_DEP_2) | instskip(NEXT) | instid1(VALU_DEP_2)
	v_add_nc_u32_e32 v40, v40, v43
	v_xor_b32_e32 v42, 1, v42
	s_delay_alu instid0(VALU_DEP_2) | instskip(NEXT) | instid1(VALU_DEP_1)
	v_and_b32_e32 v117, 0xfffff, v40
	v_add_nc_u32_e32 v40, v117, v43
                                        ; implicit-def: $vgpr117
	s_delay_alu instid0(VALU_DEP_3)
	v_cmpx_ne_u32_e64 v41, v42
	s_xor_b32 s13, exec_lo, s13
; %bb.10882:                            ;   in Loop: Header=BB6_10858 Depth=3
	s_delay_alu instid0(VALU_DEP_2) | instskip(SKIP_2) | instid1(VALU_DEP_2)
	v_cmp_lt_u32_e32 vcc_lo, 0xffffff, v40
	v_sub_nc_u32_e32 v117, v41, v42
	v_cndmask_b32_e64 v41, 0, 1, vcc_lo
	v_add_co_ci_u32_e32 v117, vcc_lo, 0, v117, vcc_lo
	s_delay_alu instid0(VALU_DEP_2)
	v_lshrrev_b32_e32 v40, v41, v40
; %bb.10883:                            ;   in Loop: Header=BB6_10858 Depth=3
	s_and_not1_saveexec_b32 s13, s13
; %bb.10884:                            ;   in Loop: Header=BB6_10858 Depth=3
	s_delay_alu instid0(VALU_DEP_1)
	v_bfe_u32 v117, v40, 23, 1
; %bb.10885:                            ;   in Loop: Header=BB6_10858 Depth=3
	s_or_b32 exec_lo, exec_lo, s13
	v_lshrrev_b32_e32 v40, 20, v40
	s_delay_alu instid0(VALU_DEP_2) | instskip(SKIP_2) | instid1(VALU_DEP_2)
	v_cmp_gt_i32_e32 vcc_lo, 16, v117
	v_lshrrev_b32_e32 v183, 24, v183
	v_min_i32_e32 v41, 15, v117
	v_dual_cndmask_b32 v40, 7, v40 :: v_dual_and_b32 v183, 0x80, v183
	s_delay_alu instid0(VALU_DEP_2) | instskip(NEXT) | instid1(VALU_DEP_2)
	v_lshlrev_b32_e32 v41, 3, v41
	v_or_b32_e32 v117, v117, v40
	s_delay_alu instid0(VALU_DEP_1) | instskip(SKIP_1) | instid1(VALU_DEP_1)
	v_cmp_ne_u32_e32 vcc_lo, 0, v117
	v_and_b32_e32 v42, 7, v40
	v_or3_b32 v183, v41, v183, v42
	s_delay_alu instid0(VALU_DEP_1)
	v_cndmask_b32_e32 v117, 0, v183, vcc_lo
.LBB6_10886:                            ;   in Loop: Header=BB6_10858 Depth=3
	s_or_b32 exec_lo, exec_lo, s31
.LBB6_10887:                            ;   in Loop: Header=BB6_10858 Depth=3
	s_delay_alu instid0(SALU_CYCLE_1)
	s_or_b32 exec_lo, exec_lo, s17
	s_waitcnt vmcnt(7)
	v_lshrrev_b16 v40, 8, v48
	s_waitcnt vmcnt(3)
	v_lshrrev_b16 v183, 8, v36
	s_and_b32 vcc_lo, exec_lo, s16
	s_cbranch_vccz .LBB6_10897
; %bb.10888:                            ;   in Loop: Header=BB6_10858 Depth=3
	s_mov_b32 s13, 0
	s_mov_b32 s31, exec_lo
                                        ; implicit-def: $sgpr17
	v_cmpx_lt_i16_e32 0x7f, v40
	s_xor_b32 s31, exec_lo, s31
	s_cbranch_execnz .LBB6_12728
; %bb.10889:                            ;   in Loop: Header=BB6_10858 Depth=3
	s_or_saveexec_b32 s31, s31
	v_mov_b32_e32 v41, s17
	s_xor_b32 exec_lo, exec_lo, s31
	s_cbranch_execnz .LBB6_12731
.LBB6_10890:                            ;   in Loop: Header=BB6_10858 Depth=3
	s_or_b32 exec_lo, exec_lo, s31
	s_and_saveexec_b32 s17, s13
	s_cbranch_execz .LBB6_10892
.LBB6_10891:                            ;   in Loop: Header=BB6_10858 Depth=3
	v_and_b32_e32 v41, 0xffff, v40
	v_lshlrev_b32_e32 v45, 16, v48
	s_delay_alu instid0(VALU_DEP_2) | instskip(NEXT) | instid1(VALU_DEP_1)
	v_and_b32_e32 v42, 7, v41
	v_clz_i32_u32_e32 v43, v42
	s_delay_alu instid0(VALU_DEP_1) | instskip(NEXT) | instid1(VALU_DEP_1)
	v_min_u32_e32 v43, 32, v43
	v_subrev_nc_u32_e32 v44, 28, v43
	v_sub_nc_u32_e32 v43, 29, v43
	s_delay_alu instid0(VALU_DEP_2) | instskip(SKIP_1) | instid1(VALU_DEP_2)
	v_lshlrev_b32_e32 v44, v44, v41
	v_bfe_u32 v41, v41, 3, 4
	v_and_b32_e32 v44, 7, v44
	s_delay_alu instid0(VALU_DEP_2) | instskip(NEXT) | instid1(VALU_DEP_2)
	v_cmp_eq_u32_e32 vcc_lo, 0, v41
	v_dual_cndmask_b32 v41, v41, v43 :: v_dual_cndmask_b32 v42, v42, v44
	v_and_b32_e32 v43, 0x80000000, v45
	s_delay_alu instid0(VALU_DEP_2) | instskip(NEXT) | instid1(VALU_DEP_3)
	v_lshl_add_u32 v41, v41, 23, 0x3b800000
	v_lshlrev_b32_e32 v42, 20, v42
	s_delay_alu instid0(VALU_DEP_1)
	v_or3_b32 v41, v43, v41, v42
.LBB6_10892:                            ;   in Loop: Header=BB6_10858 Depth=3
	s_or_b32 exec_lo, exec_lo, s17
	s_mov_b32 s13, 0
	s_mov_b32 s31, exec_lo
                                        ; implicit-def: $sgpr17
	v_cmpx_lt_i16_e64 0x7f, v183
	s_xor_b32 s31, exec_lo, s31
	s_cbranch_execnz .LBB6_12732
; %bb.10893:                            ;   in Loop: Header=BB6_10858 Depth=3
	s_or_saveexec_b32 s31, s31
	v_mov_b32_e32 v42, s17
	s_xor_b32 exec_lo, exec_lo, s31
	s_cbranch_execnz .LBB6_12735
.LBB6_10894:                            ;   in Loop: Header=BB6_10858 Depth=3
	s_or_b32 exec_lo, exec_lo, s31
	s_and_saveexec_b32 s17, s13
	s_cbranch_execz .LBB6_10896
.LBB6_10895:                            ;   in Loop: Header=BB6_10858 Depth=3
	v_and_b32_e32 v42, 0xffff, v183
	v_lshlrev_b32_e32 v46, 16, v36
	s_delay_alu instid0(VALU_DEP_2) | instskip(NEXT) | instid1(VALU_DEP_1)
	v_and_b32_e32 v43, 7, v42
	v_clz_i32_u32_e32 v44, v43
	s_delay_alu instid0(VALU_DEP_1) | instskip(NEXT) | instid1(VALU_DEP_1)
	v_min_u32_e32 v44, 32, v44
	v_subrev_nc_u32_e32 v45, 28, v44
	v_sub_nc_u32_e32 v44, 29, v44
	s_delay_alu instid0(VALU_DEP_2) | instskip(SKIP_1) | instid1(VALU_DEP_2)
	v_lshlrev_b32_e32 v45, v45, v42
	v_bfe_u32 v42, v42, 3, 4
	v_and_b32_e32 v45, 7, v45
	s_delay_alu instid0(VALU_DEP_2) | instskip(NEXT) | instid1(VALU_DEP_2)
	v_cmp_eq_u32_e32 vcc_lo, 0, v42
	v_dual_cndmask_b32 v42, v42, v44 :: v_dual_cndmask_b32 v43, v43, v45
	v_and_b32_e32 v44, 0x80000000, v46
	s_delay_alu instid0(VALU_DEP_2) | instskip(NEXT) | instid1(VALU_DEP_3)
	v_lshl_add_u32 v42, v42, 23, 0x3b800000
	v_lshlrev_b32_e32 v43, 20, v43
	s_delay_alu instid0(VALU_DEP_1)
	v_or3_b32 v42, v44, v42, v43
.LBB6_10896:                            ;   in Loop: Header=BB6_10858 Depth=3
	s_or_b32 exec_lo, exec_lo, s17
	s_delay_alu instid0(VALU_DEP_1) | instskip(SKIP_1) | instid1(VALU_DEP_1)
	v_dual_max_f32 v42, v42, v42 :: v_dual_max_f32 v41, v41, v41
	s_mov_b32 s13, 0
	v_max_f32_e32 v41, v41, v42
	s_branch .LBB6_10898
.LBB6_10897:                            ;   in Loop: Header=BB6_10858 Depth=3
	s_mov_b32 s13, -1
                                        ; implicit-def: $vgpr41
.LBB6_10898:                            ;   in Loop: Header=BB6_10858 Depth=3
	s_delay_alu instid0(SALU_CYCLE_1)
	s_and_b32 vcc_lo, exec_lo, s13
	s_cbranch_vccz .LBB6_10908
; %bb.10899:                            ;   in Loop: Header=BB6_10858 Depth=3
	s_mov_b32 s13, 0
	s_mov_b32 s31, exec_lo
                                        ; implicit-def: $sgpr17
	v_cmpx_lt_i16_e32 0x7f, v40
	s_xor_b32 s31, exec_lo, s31
	s_cbranch_execnz .LBB6_12736
; %bb.10900:                            ;   in Loop: Header=BB6_10858 Depth=3
	s_or_saveexec_b32 s31, s31
	v_mov_b32_e32 v41, s17
	s_xor_b32 exec_lo, exec_lo, s31
	s_cbranch_execnz .LBB6_12739
.LBB6_10901:                            ;   in Loop: Header=BB6_10858 Depth=3
	s_or_b32 exec_lo, exec_lo, s31
	s_and_saveexec_b32 s17, s13
	s_cbranch_execz .LBB6_10903
.LBB6_10902:                            ;   in Loop: Header=BB6_10858 Depth=3
	v_and_b32_e32 v40, 0xffff, v40
	v_lshlrev_b32_e32 v44, 16, v48
	s_delay_alu instid0(VALU_DEP_2) | instskip(NEXT) | instid1(VALU_DEP_1)
	v_and_b32_e32 v41, 7, v40
	v_clz_i32_u32_e32 v42, v41
	s_delay_alu instid0(VALU_DEP_1) | instskip(NEXT) | instid1(VALU_DEP_1)
	v_min_u32_e32 v42, 32, v42
	v_subrev_nc_u32_e32 v43, 28, v42
	v_sub_nc_u32_e32 v42, 29, v42
	s_delay_alu instid0(VALU_DEP_2) | instskip(SKIP_1) | instid1(VALU_DEP_2)
	v_lshlrev_b32_e32 v43, v43, v40
	v_bfe_u32 v40, v40, 3, 4
	v_and_b32_e32 v43, 7, v43
	s_delay_alu instid0(VALU_DEP_2) | instskip(NEXT) | instid1(VALU_DEP_2)
	v_cmp_eq_u32_e32 vcc_lo, 0, v40
	v_dual_cndmask_b32 v40, v40, v42 :: v_dual_cndmask_b32 v41, v41, v43
	v_and_b32_e32 v42, 0x80000000, v44
	s_delay_alu instid0(VALU_DEP_2) | instskip(NEXT) | instid1(VALU_DEP_3)
	v_lshl_add_u32 v40, v40, 23, 0x3b800000
	v_lshlrev_b32_e32 v41, 20, v41
	s_delay_alu instid0(VALU_DEP_1)
	v_or3_b32 v41, v42, v40, v41
.LBB6_10903:                            ;   in Loop: Header=BB6_10858 Depth=3
	s_or_b32 exec_lo, exec_lo, s17
	s_mov_b32 s13, 0
	s_mov_b32 s31, exec_lo
                                        ; implicit-def: $sgpr17
	v_cmpx_lt_i16_e64 0x7f, v183
	s_xor_b32 s31, exec_lo, s31
	s_cbranch_execnz .LBB6_12740
; %bb.10904:                            ;   in Loop: Header=BB6_10858 Depth=3
	s_or_saveexec_b32 s31, s31
	v_mov_b32_e32 v40, s17
	s_xor_b32 exec_lo, exec_lo, s31
	s_cbranch_execnz .LBB6_12743
.LBB6_10905:                            ;   in Loop: Header=BB6_10858 Depth=3
	s_or_b32 exec_lo, exec_lo, s31
	s_and_saveexec_b32 s17, s13
	s_cbranch_execz .LBB6_10907
.LBB6_10906:                            ;   in Loop: Header=BB6_10858 Depth=3
	v_and_b32_e32 v183, 0xffff, v183
	v_lshlrev_b32_e32 v44, 16, v36
	s_delay_alu instid0(VALU_DEP_2) | instskip(NEXT) | instid1(VALU_DEP_1)
	v_and_b32_e32 v40, 7, v183
	v_clz_i32_u32_e32 v42, v40
	s_delay_alu instid0(VALU_DEP_1) | instskip(NEXT) | instid1(VALU_DEP_1)
	v_min_u32_e32 v42, 32, v42
	v_subrev_nc_u32_e32 v43, 28, v42
	v_sub_nc_u32_e32 v42, 29, v42
	s_delay_alu instid0(VALU_DEP_2) | instskip(SKIP_1) | instid1(VALU_DEP_2)
	v_lshlrev_b32_e32 v43, v43, v183
	v_bfe_u32 v183, v183, 3, 4
	v_and_b32_e32 v43, 7, v43
	s_delay_alu instid0(VALU_DEP_2) | instskip(NEXT) | instid1(VALU_DEP_2)
	v_cmp_eq_u32_e32 vcc_lo, 0, v183
	v_dual_cndmask_b32 v183, v183, v42 :: v_dual_cndmask_b32 v40, v40, v43
	v_and_b32_e32 v42, 0x80000000, v44
	s_delay_alu instid0(VALU_DEP_2) | instskip(NEXT) | instid1(VALU_DEP_3)
	v_lshl_add_u32 v183, v183, 23, 0x3b800000
	v_lshlrev_b32_e32 v40, 20, v40
	s_delay_alu instid0(VALU_DEP_1)
	v_or3_b32 v40, v42, v183, v40
.LBB6_10907:                            ;   in Loop: Header=BB6_10858 Depth=3
	s_or_b32 exec_lo, exec_lo, s17
	s_delay_alu instid0(VALU_DEP_1) | instskip(NEXT) | instid1(VALU_DEP_1)
	v_dual_max_f32 v183, v40, v40 :: v_dual_max_f32 v40, v41, v41
	v_min_f32_e32 v41, v40, v183
.LBB6_10908:                            ;   in Loop: Header=BB6_10858 Depth=3
	s_delay_alu instid0(VALU_DEP_1) | instskip(NEXT) | instid1(VALU_DEP_1)
	v_and_b32_e32 v183, 0x7f800000, v41
	v_cmp_ne_u32_e32 vcc_lo, 0x7f800000, v183
	v_mov_b32_e32 v183, 0x80
	s_and_saveexec_b32 s17, vcc_lo
	s_cbranch_execz .LBB6_10916
; %bb.10909:                            ;   in Loop: Header=BB6_10858 Depth=3
	v_mov_b32_e32 v183, 0
	s_mov_b32 s31, exec_lo
	v_cmpx_ne_u32_e32 0, v41
	s_cbranch_execz .LBB6_10915
; %bb.10910:                            ;   in Loop: Header=BB6_10858 Depth=3
	v_bfe_u32 v183, v41, 23, 8
	v_and_b32_e32 v40, 0x7fffff, v41
	s_delay_alu instid0(VALU_DEP_2) | instskip(SKIP_1) | instid1(VALU_DEP_3)
	v_sub_nc_u32_e32 v42, 0x78, v183
	v_cmp_gt_u32_e32 vcc_lo, 0x79, v183
	v_or_b32_e32 v43, 0x800000, v40
	s_delay_alu instid0(VALU_DEP_3) | instskip(SKIP_2) | instid1(VALU_DEP_3)
	v_cndmask_b32_e32 v42, 0, v42, vcc_lo
	v_cmp_eq_u32_e32 vcc_lo, 0, v183
	v_add_nc_u32_e32 v183, 0xffffff89, v183
	v_cndmask_b32_e64 v42, v42, 0x77, vcc_lo
	v_cndmask_b32_e32 v40, v43, v40, vcc_lo
	s_delay_alu instid0(VALU_DEP_3) | instskip(NEXT) | instid1(VALU_DEP_3)
	v_cndmask_b32_e64 v183, v183, 0xffffff8a, vcc_lo
	v_lshl_add_u32 v43, 0x100000, v42, -1
	s_delay_alu instid0(VALU_DEP_3) | instskip(SKIP_1) | instid1(VALU_DEP_4)
	v_lshrrev_b32_e32 v44, v42, v40
	v_lshlrev_b32_e64 v46, v42, 0x80000
	v_add_nc_u32_e32 v42, v42, v183
	s_delay_alu instid0(VALU_DEP_4) | instskip(NEXT) | instid1(VALU_DEP_4)
	v_and_b32_e32 v40, v43, v40
	v_bfe_u32 v45, v44, 20, 1
	s_delay_alu instid0(VALU_DEP_2) | instskip(NEXT) | instid1(VALU_DEP_2)
	v_cmp_eq_u32_e64 s13, v40, v46
	v_add_nc_u32_e32 v43, -1, v45
	s_delay_alu instid0(VALU_DEP_1) | instskip(SKIP_2) | instid1(VALU_DEP_2)
	v_cndmask_b32_e64 v40, 0, v43, s13
	v_lshrrev_b32_e32 v43, 23, v44
	s_mov_b32 s13, exec_lo
	v_add_nc_u32_e32 v40, v40, v44
	s_delay_alu instid0(VALU_DEP_2) | instskip(NEXT) | instid1(VALU_DEP_2)
	v_xor_b32_e32 v43, 1, v43
	v_and_b32_e32 v183, 0xfffff, v40
	s_delay_alu instid0(VALU_DEP_1) | instskip(NEXT) | instid1(VALU_DEP_3)
	v_add_nc_u32_e32 v40, v183, v44
                                        ; implicit-def: $vgpr183
	v_cmpx_ne_u32_e64 v42, v43
	s_xor_b32 s13, exec_lo, s13
; %bb.10911:                            ;   in Loop: Header=BB6_10858 Depth=3
	s_delay_alu instid0(VALU_DEP_2) | instskip(SKIP_2) | instid1(VALU_DEP_2)
	v_cmp_lt_u32_e32 vcc_lo, 0xffffff, v40
	v_sub_nc_u32_e32 v183, v42, v43
	v_cndmask_b32_e64 v42, 0, 1, vcc_lo
	v_add_co_ci_u32_e32 v183, vcc_lo, 0, v183, vcc_lo
	s_delay_alu instid0(VALU_DEP_2)
	v_lshrrev_b32_e32 v40, v42, v40
; %bb.10912:                            ;   in Loop: Header=BB6_10858 Depth=3
	s_and_not1_saveexec_b32 s13, s13
; %bb.10913:                            ;   in Loop: Header=BB6_10858 Depth=3
	s_delay_alu instid0(VALU_DEP_1)
	v_bfe_u32 v183, v40, 23, 1
; %bb.10914:                            ;   in Loop: Header=BB6_10858 Depth=3
	s_or_b32 exec_lo, exec_lo, s13
	v_lshrrev_b32_e32 v40, 20, v40
	s_delay_alu instid0(VALU_DEP_2) | instskip(SKIP_2) | instid1(VALU_DEP_2)
	v_cmp_gt_i32_e32 vcc_lo, 16, v183
	v_lshrrev_b32_e32 v41, 24, v41
	v_min_i32_e32 v42, 15, v183
	v_dual_cndmask_b32 v40, 7, v40 :: v_dual_and_b32 v41, 0x80, v41
	s_delay_alu instid0(VALU_DEP_1) | instskip(SKIP_1) | instid1(VALU_DEP_2)
	v_or_b32_e32 v183, v183, v40
	v_and_b32_e32 v43, 7, v40
	v_cmp_ne_u32_e32 vcc_lo, 0, v183
	v_lshlrev_b32_e32 v42, 3, v42
	s_delay_alu instid0(VALU_DEP_1) | instskip(NEXT) | instid1(VALU_DEP_1)
	v_or3_b32 v40, v42, v41, v43
	v_cndmask_b32_e32 v183, 0, v40, vcc_lo
.LBB6_10915:                            ;   in Loop: Header=BB6_10858 Depth=3
	s_or_b32 exec_lo, exec_lo, s31
.LBB6_10916:                            ;   in Loop: Header=BB6_10858 Depth=3
	s_delay_alu instid0(SALU_CYCLE_1)
	s_or_b32 exec_lo, exec_lo, s17
	v_lshrrev_b32_e32 v41, 16, v48
	v_lshrrev_b32_e32 v40, 16, v36
	s_and_b32 vcc_lo, exec_lo, s16
	s_cbranch_vccz .LBB6_10926
; %bb.10917:                            ;   in Loop: Header=BB6_10858 Depth=3
	s_delay_alu instid0(VALU_DEP_2) | instskip(SKIP_2) | instid1(VALU_DEP_1)
	v_and_b32_e32 v43, 0xff, v41
	s_mov_b32 s13, 0
	s_mov_b32 s31, exec_lo
                                        ; implicit-def: $sgpr17
	v_cmpx_lt_i16_e32 0x7f, v43
	s_xor_b32 s31, exec_lo, s31
	s_cbranch_execnz .LBB6_12744
; %bb.10918:                            ;   in Loop: Header=BB6_10858 Depth=3
	s_or_saveexec_b32 s31, s31
	v_mov_b32_e32 v42, s17
	s_xor_b32 exec_lo, exec_lo, s31
	s_cbranch_execnz .LBB6_12747
.LBB6_10919:                            ;   in Loop: Header=BB6_10858 Depth=3
	s_or_b32 exec_lo, exec_lo, s31
	s_and_saveexec_b32 s17, s13
	s_cbranch_execz .LBB6_10921
.LBB6_10920:                            ;   in Loop: Header=BB6_10858 Depth=3
	v_bfe_u32 v42, v48, 16, 3
	v_bfe_u32 v45, v48, 19, 4
	v_lshlrev_b32_e32 v46, 24, v41
	s_delay_alu instid0(VALU_DEP_3) | instskip(NEXT) | instid1(VALU_DEP_3)
	v_clz_i32_u32_e32 v43, v42
	v_cmp_eq_u32_e32 vcc_lo, 0, v45
	s_delay_alu instid0(VALU_DEP_2) | instskip(NEXT) | instid1(VALU_DEP_1)
	v_min_u32_e32 v43, 32, v43
	v_subrev_nc_u32_e32 v44, 28, v43
	v_sub_nc_u32_e32 v43, 29, v43
	s_delay_alu instid0(VALU_DEP_1) | instskip(NEXT) | instid1(VALU_DEP_1)
	v_dual_cndmask_b32 v43, v45, v43 :: v_dual_lshlrev_b32 v44, v44, v41
	v_and_b32_e32 v44, 7, v44
	s_delay_alu instid0(VALU_DEP_2) | instskip(NEXT) | instid1(VALU_DEP_2)
	v_lshl_add_u32 v43, v43, 23, 0x3b800000
	v_cndmask_b32_e32 v42, v42, v44, vcc_lo
	v_and_b32_e32 v44, 0x80000000, v46
	s_delay_alu instid0(VALU_DEP_2) | instskip(NEXT) | instid1(VALU_DEP_1)
	v_lshlrev_b32_e32 v42, 20, v42
	v_or3_b32 v42, v44, v43, v42
.LBB6_10921:                            ;   in Loop: Header=BB6_10858 Depth=3
	s_or_b32 exec_lo, exec_lo, s17
	v_and_b32_e32 v44, 0xff, v40
	s_mov_b32 s13, 0
	s_mov_b32 s31, exec_lo
                                        ; implicit-def: $sgpr17
	s_delay_alu instid0(VALU_DEP_1)
	v_cmpx_lt_i16_e32 0x7f, v44
	s_xor_b32 s31, exec_lo, s31
	s_cbranch_execnz .LBB6_12748
; %bb.10922:                            ;   in Loop: Header=BB6_10858 Depth=3
	s_or_saveexec_b32 s31, s31
	v_mov_b32_e32 v43, s17
	s_xor_b32 exec_lo, exec_lo, s31
	s_cbranch_execnz .LBB6_12751
.LBB6_10923:                            ;   in Loop: Header=BB6_10858 Depth=3
	s_or_b32 exec_lo, exec_lo, s31
	s_and_saveexec_b32 s17, s13
	s_cbranch_execz .LBB6_10925
.LBB6_10924:                            ;   in Loop: Header=BB6_10858 Depth=3
	v_bfe_u32 v43, v36, 16, 3
	v_bfe_u32 v46, v36, 19, 4
	v_lshlrev_b32_e32 v47, 24, v40
	s_delay_alu instid0(VALU_DEP_3) | instskip(NEXT) | instid1(VALU_DEP_3)
	v_clz_i32_u32_e32 v44, v43
	v_cmp_eq_u32_e32 vcc_lo, 0, v46
	s_delay_alu instid0(VALU_DEP_2) | instskip(NEXT) | instid1(VALU_DEP_1)
	v_min_u32_e32 v44, 32, v44
	v_subrev_nc_u32_e32 v45, 28, v44
	v_sub_nc_u32_e32 v44, 29, v44
	s_delay_alu instid0(VALU_DEP_2) | instskip(NEXT) | instid1(VALU_DEP_1)
	v_lshlrev_b32_e32 v45, v45, v40
	v_dual_cndmask_b32 v44, v46, v44 :: v_dual_and_b32 v45, 7, v45
	s_delay_alu instid0(VALU_DEP_1) | instskip(NEXT) | instid1(VALU_DEP_2)
	v_lshl_add_u32 v44, v44, 23, 0x3b800000
	v_cndmask_b32_e32 v43, v43, v45, vcc_lo
	v_and_b32_e32 v45, 0x80000000, v47
	s_delay_alu instid0(VALU_DEP_2) | instskip(NEXT) | instid1(VALU_DEP_1)
	v_lshlrev_b32_e32 v43, 20, v43
	v_or3_b32 v43, v45, v44, v43
.LBB6_10925:                            ;   in Loop: Header=BB6_10858 Depth=3
	s_or_b32 exec_lo, exec_lo, s17
	s_delay_alu instid0(VALU_DEP_1) | instskip(SKIP_1) | instid1(VALU_DEP_1)
	v_dual_max_f32 v43, v43, v43 :: v_dual_max_f32 v42, v42, v42
	s_mov_b32 s13, 0
	v_max_f32_e32 v42, v42, v43
	s_branch .LBB6_10927
.LBB6_10926:                            ;   in Loop: Header=BB6_10858 Depth=3
	s_mov_b32 s13, -1
                                        ; implicit-def: $vgpr42
.LBB6_10927:                            ;   in Loop: Header=BB6_10858 Depth=3
	s_delay_alu instid0(SALU_CYCLE_1)
	s_and_b32 vcc_lo, exec_lo, s13
	s_cbranch_vccz .LBB6_10937
; %bb.10928:                            ;   in Loop: Header=BB6_10858 Depth=3
	v_and_b32_e32 v43, 0xff, v41
	s_mov_b32 s13, 0
	s_mov_b32 s31, exec_lo
                                        ; implicit-def: $sgpr17
	s_delay_alu instid0(VALU_DEP_1)
	v_cmpx_lt_i16_e32 0x7f, v43
	s_xor_b32 s31, exec_lo, s31
	s_cbranch_execnz .LBB6_12752
; %bb.10929:                            ;   in Loop: Header=BB6_10858 Depth=3
	s_or_saveexec_b32 s31, s31
	v_mov_b32_e32 v42, s17
	s_xor_b32 exec_lo, exec_lo, s31
	s_cbranch_execnz .LBB6_12755
.LBB6_10930:                            ;   in Loop: Header=BB6_10858 Depth=3
	s_or_b32 exec_lo, exec_lo, s31
	s_and_saveexec_b32 s17, s13
	s_cbranch_execz .LBB6_10932
.LBB6_10931:                            ;   in Loop: Header=BB6_10858 Depth=3
	v_bfe_u32 v42, v48, 16, 3
	v_bfe_u32 v45, v48, 19, 4
	s_delay_alu instid0(VALU_DEP_2) | instskip(NEXT) | instid1(VALU_DEP_2)
	v_clz_i32_u32_e32 v43, v42
	v_cmp_eq_u32_e32 vcc_lo, 0, v45
	s_delay_alu instid0(VALU_DEP_2) | instskip(NEXT) | instid1(VALU_DEP_1)
	v_min_u32_e32 v43, 32, v43
	v_subrev_nc_u32_e32 v44, 28, v43
	v_sub_nc_u32_e32 v43, 29, v43
	s_delay_alu instid0(VALU_DEP_1) | instskip(NEXT) | instid1(VALU_DEP_1)
	v_dual_cndmask_b32 v43, v45, v43 :: v_dual_lshlrev_b32 v44, v44, v41
	v_and_b32_e32 v44, 7, v44
	v_lshlrev_b32_e32 v41, 24, v41
	s_delay_alu instid0(VALU_DEP_3) | instskip(NEXT) | instid1(VALU_DEP_2)
	v_lshl_add_u32 v43, v43, 23, 0x3b800000
	v_dual_cndmask_b32 v42, v42, v44 :: v_dual_and_b32 v41, 0x80000000, v41
	s_delay_alu instid0(VALU_DEP_1) | instskip(NEXT) | instid1(VALU_DEP_1)
	v_lshlrev_b32_e32 v42, 20, v42
	v_or3_b32 v42, v41, v43, v42
.LBB6_10932:                            ;   in Loop: Header=BB6_10858 Depth=3
	s_or_b32 exec_lo, exec_lo, s17
	v_and_b32_e32 v43, 0xff, v40
	s_mov_b32 s13, 0
	s_mov_b32 s31, exec_lo
                                        ; implicit-def: $sgpr17
	s_delay_alu instid0(VALU_DEP_1)
	v_cmpx_lt_i16_e32 0x7f, v43
	s_xor_b32 s31, exec_lo, s31
	s_cbranch_execnz .LBB6_12756
; %bb.10933:                            ;   in Loop: Header=BB6_10858 Depth=3
	s_or_saveexec_b32 s31, s31
	v_mov_b32_e32 v41, s17
	s_xor_b32 exec_lo, exec_lo, s31
	s_cbranch_execnz .LBB6_12759
.LBB6_10934:                            ;   in Loop: Header=BB6_10858 Depth=3
	s_or_b32 exec_lo, exec_lo, s31
	s_and_saveexec_b32 s17, s13
	s_cbranch_execz .LBB6_10936
.LBB6_10935:                            ;   in Loop: Header=BB6_10858 Depth=3
	v_bfe_u32 v41, v36, 16, 3
	v_bfe_u32 v45, v36, 19, 4
	s_delay_alu instid0(VALU_DEP_2) | instskip(NEXT) | instid1(VALU_DEP_2)
	v_clz_i32_u32_e32 v43, v41
	v_cmp_eq_u32_e32 vcc_lo, 0, v45
	s_delay_alu instid0(VALU_DEP_2) | instskip(NEXT) | instid1(VALU_DEP_1)
	v_min_u32_e32 v43, 32, v43
	v_subrev_nc_u32_e32 v44, 28, v43
	v_sub_nc_u32_e32 v43, 29, v43
	s_delay_alu instid0(VALU_DEP_1) | instskip(SKIP_1) | instid1(VALU_DEP_2)
	v_dual_cndmask_b32 v43, v45, v43 :: v_dual_lshlrev_b32 v44, v44, v40
	v_lshlrev_b32_e32 v40, 24, v40
	v_and_b32_e32 v44, 7, v44
	s_delay_alu instid0(VALU_DEP_3) | instskip(NEXT) | instid1(VALU_DEP_3)
	v_lshl_add_u32 v43, v43, 23, 0x3b800000
	v_and_b32_e32 v40, 0x80000000, v40
	s_delay_alu instid0(VALU_DEP_3) | instskip(NEXT) | instid1(VALU_DEP_1)
	v_cndmask_b32_e32 v41, v41, v44, vcc_lo
	v_lshlrev_b32_e32 v41, 20, v41
	s_delay_alu instid0(VALU_DEP_1)
	v_or3_b32 v41, v40, v43, v41
.LBB6_10936:                            ;   in Loop: Header=BB6_10858 Depth=3
	s_or_b32 exec_lo, exec_lo, s17
	s_delay_alu instid0(VALU_DEP_1) | instskip(NEXT) | instid1(VALU_DEP_1)
	v_dual_max_f32 v40, v41, v41 :: v_dual_max_f32 v41, v42, v42
	v_min_f32_e32 v42, v41, v40
.LBB6_10937:                            ;   in Loop: Header=BB6_10858 Depth=3
	s_delay_alu instid0(VALU_DEP_1) | instskip(NEXT) | instid1(VALU_DEP_1)
	v_and_b32_e32 v40, 0x7f800000, v42
	v_cmp_ne_u32_e32 vcc_lo, 0x7f800000, v40
	v_mov_b32_e32 v40, 0x80
	s_and_saveexec_b32 s17, vcc_lo
	s_cbranch_execz .LBB6_10945
; %bb.10938:                            ;   in Loop: Header=BB6_10858 Depth=3
	v_mov_b32_e32 v40, 0
	s_mov_b32 s31, exec_lo
	v_cmpx_ne_u32_e32 0, v42
	s_cbranch_execz .LBB6_10944
; %bb.10939:                            ;   in Loop: Header=BB6_10858 Depth=3
	v_bfe_u32 v40, v42, 23, 8
	v_and_b32_e32 v41, 0x7fffff, v42
	s_delay_alu instid0(VALU_DEP_2) | instskip(SKIP_1) | instid1(VALU_DEP_3)
	v_sub_nc_u32_e32 v43, 0x78, v40
	v_cmp_gt_u32_e32 vcc_lo, 0x79, v40
	v_or_b32_e32 v44, 0x800000, v41
	s_delay_alu instid0(VALU_DEP_3) | instskip(SKIP_2) | instid1(VALU_DEP_3)
	v_cndmask_b32_e32 v43, 0, v43, vcc_lo
	v_cmp_eq_u32_e32 vcc_lo, 0, v40
	v_add_nc_u32_e32 v40, 0xffffff89, v40
	v_cndmask_b32_e64 v43, v43, 0x77, vcc_lo
	v_cndmask_b32_e32 v41, v44, v41, vcc_lo
	s_delay_alu instid0(VALU_DEP_3) | instskip(NEXT) | instid1(VALU_DEP_3)
	v_cndmask_b32_e64 v40, v40, 0xffffff8a, vcc_lo
	v_lshl_add_u32 v44, 0x100000, v43, -1
	s_delay_alu instid0(VALU_DEP_3) | instskip(SKIP_1) | instid1(VALU_DEP_4)
	v_lshrrev_b32_e32 v45, v43, v41
	v_lshlrev_b32_e64 v47, v43, 0x80000
	v_add_nc_u32_e32 v43, v43, v40
	s_delay_alu instid0(VALU_DEP_4) | instskip(NEXT) | instid1(VALU_DEP_4)
	v_and_b32_e32 v41, v44, v41
	v_bfe_u32 v46, v45, 20, 1
	s_delay_alu instid0(VALU_DEP_2) | instskip(NEXT) | instid1(VALU_DEP_2)
	v_cmp_eq_u32_e64 s13, v41, v47
	v_add_nc_u32_e32 v44, -1, v46
	s_delay_alu instid0(VALU_DEP_1) | instskip(SKIP_2) | instid1(VALU_DEP_2)
	v_cndmask_b32_e64 v41, 0, v44, s13
	v_lshrrev_b32_e32 v44, 23, v45
	s_mov_b32 s13, exec_lo
	v_add_nc_u32_e32 v41, v41, v45
	s_delay_alu instid0(VALU_DEP_2) | instskip(NEXT) | instid1(VALU_DEP_2)
	v_xor_b32_e32 v44, 1, v44
	v_and_b32_e32 v40, 0xfffff, v41
	s_delay_alu instid0(VALU_DEP_1) | instskip(NEXT) | instid1(VALU_DEP_3)
	v_add_nc_u32_e32 v41, v40, v45
                                        ; implicit-def: $vgpr40
	v_cmpx_ne_u32_e64 v43, v44
	s_xor_b32 s13, exec_lo, s13
; %bb.10940:                            ;   in Loop: Header=BB6_10858 Depth=3
	s_delay_alu instid0(VALU_DEP_2) | instskip(SKIP_2) | instid1(VALU_DEP_2)
	v_cmp_lt_u32_e32 vcc_lo, 0xffffff, v41
	v_sub_nc_u32_e32 v40, v43, v44
	v_cndmask_b32_e64 v43, 0, 1, vcc_lo
	v_add_co_ci_u32_e32 v40, vcc_lo, 0, v40, vcc_lo
	s_delay_alu instid0(VALU_DEP_2)
	v_lshrrev_b32_e32 v41, v43, v41
; %bb.10941:                            ;   in Loop: Header=BB6_10858 Depth=3
	s_and_not1_saveexec_b32 s13, s13
; %bb.10942:                            ;   in Loop: Header=BB6_10858 Depth=3
	s_delay_alu instid0(VALU_DEP_1)
	v_bfe_u32 v40, v41, 23, 1
; %bb.10943:                            ;   in Loop: Header=BB6_10858 Depth=3
	s_or_b32 exec_lo, exec_lo, s13
	v_lshrrev_b32_e32 v41, 20, v41
	s_delay_alu instid0(VALU_DEP_2) | instskip(SKIP_2) | instid1(VALU_DEP_2)
	v_cmp_gt_i32_e32 vcc_lo, 16, v40
	v_lshrrev_b32_e32 v42, 24, v42
	v_min_i32_e32 v43, 15, v40
	v_dual_cndmask_b32 v41, 7, v41 :: v_dual_and_b32 v42, 0x80, v42
	s_delay_alu instid0(VALU_DEP_1) | instskip(SKIP_1) | instid1(VALU_DEP_2)
	v_or_b32_e32 v40, v40, v41
	v_and_b32_e32 v44, 7, v41
	v_cmp_ne_u32_e32 vcc_lo, 0, v40
	v_lshlrev_b32_e32 v43, 3, v43
	s_delay_alu instid0(VALU_DEP_1) | instskip(NEXT) | instid1(VALU_DEP_1)
	v_or3_b32 v41, v43, v42, v44
	v_cndmask_b32_e32 v40, 0, v41, vcc_lo
.LBB6_10944:                            ;   in Loop: Header=BB6_10858 Depth=3
	s_or_b32 exec_lo, exec_lo, s31
.LBB6_10945:                            ;   in Loop: Header=BB6_10858 Depth=3
	s_delay_alu instid0(SALU_CYCLE_1)
	s_or_b32 exec_lo, exec_lo, s17
	v_lshrrev_b32_e32 v42, 24, v48
	v_lshrrev_b32_e32 v41, 24, v36
	s_and_b32 vcc_lo, exec_lo, s16
	s_cbranch_vccz .LBB6_10955
; %bb.10946:                            ;   in Loop: Header=BB6_10858 Depth=3
	s_mov_b32 s13, 0
	s_mov_b32 s31, exec_lo
                                        ; implicit-def: $sgpr17
	v_cmpx_lt_i16_e32 0x7f, v42
	s_xor_b32 s31, exec_lo, s31
	s_cbranch_execnz .LBB6_12760
; %bb.10947:                            ;   in Loop: Header=BB6_10858 Depth=3
	s_or_saveexec_b32 s31, s31
	v_mov_b32_e32 v43, s17
	s_xor_b32 exec_lo, exec_lo, s31
	s_cbranch_execnz .LBB6_12763
.LBB6_10948:                            ;   in Loop: Header=BB6_10858 Depth=3
	s_or_b32 exec_lo, exec_lo, s31
	s_and_saveexec_b32 s17, s13
	s_cbranch_execz .LBB6_10950
.LBB6_10949:                            ;   in Loop: Header=BB6_10858 Depth=3
	v_bfe_u32 v43, v48, 24, 3
	v_bfe_u32 v46, v48, 27, 4
	s_delay_alu instid0(VALU_DEP_2) | instskip(NEXT) | instid1(VALU_DEP_2)
	v_clz_i32_u32_e32 v44, v43
	v_cmp_eq_u32_e32 vcc_lo, 0, v46
	s_delay_alu instid0(VALU_DEP_2) | instskip(NEXT) | instid1(VALU_DEP_1)
	v_min_u32_e32 v44, 32, v44
	v_subrev_nc_u32_e32 v45, 28, v44
	v_sub_nc_u32_e32 v44, 29, v44
	s_delay_alu instid0(VALU_DEP_1) | instskip(NEXT) | instid1(VALU_DEP_1)
	v_dual_cndmask_b32 v44, v46, v44 :: v_dual_lshlrev_b32 v45, v45, v42
	v_and_b32_e32 v45, 7, v45
	s_delay_alu instid0(VALU_DEP_2) | instskip(NEXT) | instid1(VALU_DEP_2)
	v_lshl_add_u32 v44, v44, 23, 0x3b800000
	v_cndmask_b32_e32 v43, v43, v45, vcc_lo
	v_and_b32_e32 v45, 0x80000000, v48
	s_delay_alu instid0(VALU_DEP_2) | instskip(NEXT) | instid1(VALU_DEP_1)
	v_lshlrev_b32_e32 v43, 20, v43
	v_or3_b32 v43, v45, v44, v43
.LBB6_10950:                            ;   in Loop: Header=BB6_10858 Depth=3
	s_or_b32 exec_lo, exec_lo, s17
	s_mov_b32 s13, 0
	s_mov_b32 s31, exec_lo
                                        ; implicit-def: $sgpr17
	v_cmpx_lt_i16_e32 0x7f, v41
	s_xor_b32 s31, exec_lo, s31
	s_cbranch_execnz .LBB6_12764
; %bb.10951:                            ;   in Loop: Header=BB6_10858 Depth=3
	s_or_saveexec_b32 s31, s31
	v_mov_b32_e32 v44, s17
	s_xor_b32 exec_lo, exec_lo, s31
	s_cbranch_execnz .LBB6_12767
.LBB6_10952:                            ;   in Loop: Header=BB6_10858 Depth=3
	s_or_b32 exec_lo, exec_lo, s31
	s_and_saveexec_b32 s17, s13
	s_cbranch_execz .LBB6_10954
.LBB6_10953:                            ;   in Loop: Header=BB6_10858 Depth=3
	v_bfe_u32 v44, v36, 24, 3
	v_bfe_u32 v47, v36, 27, 4
	s_delay_alu instid0(VALU_DEP_2) | instskip(NEXT) | instid1(VALU_DEP_2)
	v_clz_i32_u32_e32 v45, v44
	v_cmp_eq_u32_e32 vcc_lo, 0, v47
	s_delay_alu instid0(VALU_DEP_2) | instskip(NEXT) | instid1(VALU_DEP_1)
	v_min_u32_e32 v45, 32, v45
	v_subrev_nc_u32_e32 v46, 28, v45
	v_sub_nc_u32_e32 v45, 29, v45
	s_delay_alu instid0(VALU_DEP_2) | instskip(NEXT) | instid1(VALU_DEP_1)
	v_lshlrev_b32_e32 v46, v46, v41
	v_dual_cndmask_b32 v45, v47, v45 :: v_dual_and_b32 v46, 7, v46
	s_delay_alu instid0(VALU_DEP_1) | instskip(NEXT) | instid1(VALU_DEP_2)
	v_lshl_add_u32 v45, v45, 23, 0x3b800000
	v_cndmask_b32_e32 v44, v44, v46, vcc_lo
	v_and_b32_e32 v46, 0x80000000, v36
	s_delay_alu instid0(VALU_DEP_2) | instskip(NEXT) | instid1(VALU_DEP_1)
	v_lshlrev_b32_e32 v44, 20, v44
	v_or3_b32 v44, v46, v45, v44
.LBB6_10954:                            ;   in Loop: Header=BB6_10858 Depth=3
	s_or_b32 exec_lo, exec_lo, s17
	s_delay_alu instid0(VALU_DEP_1) | instskip(SKIP_1) | instid1(VALU_DEP_1)
	v_dual_max_f32 v44, v44, v44 :: v_dual_max_f32 v43, v43, v43
	s_mov_b32 s13, 0
	v_max_f32_e32 v43, v43, v44
	s_branch .LBB6_10956
.LBB6_10955:                            ;   in Loop: Header=BB6_10858 Depth=3
	s_mov_b32 s13, -1
                                        ; implicit-def: $vgpr43
.LBB6_10956:                            ;   in Loop: Header=BB6_10858 Depth=3
	s_delay_alu instid0(SALU_CYCLE_1)
	s_and_b32 vcc_lo, exec_lo, s13
	s_cbranch_vccz .LBB6_10966
; %bb.10957:                            ;   in Loop: Header=BB6_10858 Depth=3
	s_mov_b32 s13, 0
	s_mov_b32 s31, exec_lo
                                        ; implicit-def: $sgpr17
	v_cmpx_lt_i16_e32 0x7f, v42
	s_xor_b32 s31, exec_lo, s31
	s_cbranch_execnz .LBB6_12768
; %bb.10958:                            ;   in Loop: Header=BB6_10858 Depth=3
	s_or_saveexec_b32 s31, s31
	v_mov_b32_e32 v43, s17
	s_xor_b32 exec_lo, exec_lo, s31
	s_cbranch_execnz .LBB6_12771
.LBB6_10959:                            ;   in Loop: Header=BB6_10858 Depth=3
	s_or_b32 exec_lo, exec_lo, s31
	s_and_saveexec_b32 s17, s13
	s_cbranch_execz .LBB6_10961
.LBB6_10960:                            ;   in Loop: Header=BB6_10858 Depth=3
	v_bfe_u32 v43, v48, 24, 3
	s_delay_alu instid0(VALU_DEP_1) | instskip(NEXT) | instid1(VALU_DEP_1)
	v_clz_i32_u32_e32 v44, v43
	v_min_u32_e32 v44, 32, v44
	s_delay_alu instid0(VALU_DEP_1) | instskip(SKIP_1) | instid1(VALU_DEP_2)
	v_subrev_nc_u32_e32 v45, 28, v44
	v_sub_nc_u32_e32 v44, 29, v44
	v_lshlrev_b32_e32 v42, v45, v42
	v_bfe_u32 v45, v48, 27, 4
	v_and_b32_e32 v48, 0x80000000, v48
	s_delay_alu instid0(VALU_DEP_3) | instskip(NEXT) | instid1(VALU_DEP_3)
	v_and_b32_e32 v42, 7, v42
	v_cmp_eq_u32_e32 vcc_lo, 0, v45
	v_cndmask_b32_e32 v44, v45, v44, vcc_lo
	s_delay_alu instid0(VALU_DEP_3) | instskip(NEXT) | instid1(VALU_DEP_2)
	v_cndmask_b32_e32 v42, v43, v42, vcc_lo
	v_lshl_add_u32 v43, v44, 23, 0x3b800000
	s_delay_alu instid0(VALU_DEP_2) | instskip(NEXT) | instid1(VALU_DEP_1)
	v_lshlrev_b32_e32 v42, 20, v42
	v_or3_b32 v43, v48, v43, v42
.LBB6_10961:                            ;   in Loop: Header=BB6_10858 Depth=3
	s_or_b32 exec_lo, exec_lo, s17
	s_mov_b32 s13, 0
	s_mov_b32 s31, exec_lo
                                        ; implicit-def: $sgpr17
	v_cmpx_lt_i16_e32 0x7f, v41
	s_xor_b32 s31, exec_lo, s31
	s_cbranch_execnz .LBB6_12772
; %bb.10962:                            ;   in Loop: Header=BB6_10858 Depth=3
	s_or_saveexec_b32 s31, s31
	v_mov_b32_e32 v48, s17
	s_xor_b32 exec_lo, exec_lo, s31
	s_cbranch_execnz .LBB6_12775
.LBB6_10963:                            ;   in Loop: Header=BB6_10858 Depth=3
	s_or_b32 exec_lo, exec_lo, s31
	s_and_saveexec_b32 s17, s13
	s_cbranch_execz .LBB6_10965
.LBB6_10964:                            ;   in Loop: Header=BB6_10858 Depth=3
	v_bfe_u32 v48, v36, 24, 3
	s_delay_alu instid0(VALU_DEP_1) | instskip(NEXT) | instid1(VALU_DEP_1)
	v_clz_i32_u32_e32 v42, v48
	v_min_u32_e32 v42, 32, v42
	s_delay_alu instid0(VALU_DEP_1) | instskip(SKIP_1) | instid1(VALU_DEP_2)
	v_subrev_nc_u32_e32 v44, 28, v42
	v_sub_nc_u32_e32 v42, 29, v42
	v_lshlrev_b32_e32 v41, v44, v41
	v_bfe_u32 v44, v36, 27, 4
	v_and_b32_e32 v36, 0x80000000, v36
	s_delay_alu instid0(VALU_DEP_2) | instskip(NEXT) | instid1(VALU_DEP_4)
	v_cmp_eq_u32_e32 vcc_lo, 0, v44
	v_dual_cndmask_b32 v42, v44, v42 :: v_dual_and_b32 v41, 7, v41
	s_delay_alu instid0(VALU_DEP_1) | instskip(NEXT) | instid1(VALU_DEP_2)
	v_cndmask_b32_e32 v48, v48, v41, vcc_lo
	v_lshl_add_u32 v41, v42, 23, 0x3b800000
	s_delay_alu instid0(VALU_DEP_2) | instskip(NEXT) | instid1(VALU_DEP_1)
	v_lshlrev_b32_e32 v48, 20, v48
	v_or3_b32 v48, v36, v41, v48
.LBB6_10965:                            ;   in Loop: Header=BB6_10858 Depth=3
	s_or_b32 exec_lo, exec_lo, s17
	s_delay_alu instid0(VALU_DEP_1) | instskip(SKIP_1) | instid1(VALU_DEP_1)
	v_max_f32_e32 v36, v48, v48
	v_max_f32_e32 v48, v43, v43
	v_min_f32_e32 v43, v48, v36
.LBB6_10966:                            ;   in Loop: Header=BB6_10858 Depth=3
	s_delay_alu instid0(VALU_DEP_1) | instskip(NEXT) | instid1(VALU_DEP_1)
	v_and_b32_e32 v36, 0x7f800000, v43
	v_cmp_ne_u32_e32 vcc_lo, 0x7f800000, v36
	v_mov_b32_e32 v36, 0x80
	s_and_saveexec_b32 s17, vcc_lo
	s_cbranch_execz .LBB6_10974
; %bb.10967:                            ;   in Loop: Header=BB6_10858 Depth=3
	v_mov_b32_e32 v36, 0
	s_mov_b32 s31, exec_lo
	v_cmpx_ne_u32_e32 0, v43
	s_cbranch_execz .LBB6_10973
; %bb.10968:                            ;   in Loop: Header=BB6_10858 Depth=3
	v_bfe_u32 v36, v43, 23, 8
	s_delay_alu instid0(VALU_DEP_1) | instskip(SKIP_1) | instid1(VALU_DEP_2)
	v_sub_nc_u32_e32 v41, 0x78, v36
	v_cmp_gt_u32_e32 vcc_lo, 0x79, v36
	v_dual_cndmask_b32 v41, 0, v41 :: v_dual_and_b32 v48, 0x7fffff, v43
	s_delay_alu instid0(VALU_DEP_1) | instskip(SKIP_2) | instid1(VALU_DEP_4)
	v_or_b32_e32 v42, 0x800000, v48
	v_cmp_eq_u32_e32 vcc_lo, 0, v36
	v_add_nc_u32_e32 v36, 0xffffff89, v36
	v_cndmask_b32_e64 v41, v41, 0x77, vcc_lo
	s_delay_alu instid0(VALU_DEP_4) | instskip(NEXT) | instid1(VALU_DEP_3)
	v_cndmask_b32_e32 v48, v42, v48, vcc_lo
	v_cndmask_b32_e64 v36, v36, 0xffffff8a, vcc_lo
	s_delay_alu instid0(VALU_DEP_3) | instskip(NEXT) | instid1(VALU_DEP_3)
	v_lshl_add_u32 v42, 0x100000, v41, -1
	v_lshrrev_b32_e32 v44, v41, v48
	v_lshlrev_b32_e64 v46, v41, 0x80000
	s_delay_alu instid0(VALU_DEP_4) | instskip(NEXT) | instid1(VALU_DEP_4)
	v_add_nc_u32_e32 v41, v41, v36
	v_and_b32_e32 v48, v42, v48
	s_delay_alu instid0(VALU_DEP_4) | instskip(NEXT) | instid1(VALU_DEP_2)
	v_bfe_u32 v45, v44, 20, 1
	v_cmp_eq_u32_e64 s13, v48, v46
	s_delay_alu instid0(VALU_DEP_2) | instskip(NEXT) | instid1(VALU_DEP_1)
	v_add_nc_u32_e32 v42, -1, v45
	v_cndmask_b32_e64 v48, 0, v42, s13
	v_lshrrev_b32_e32 v42, 23, v44
	s_mov_b32 s13, exec_lo
	s_delay_alu instid0(VALU_DEP_2) | instskip(NEXT) | instid1(VALU_DEP_2)
	v_add_nc_u32_e32 v48, v48, v44
	v_xor_b32_e32 v42, 1, v42
	s_delay_alu instid0(VALU_DEP_2) | instskip(NEXT) | instid1(VALU_DEP_1)
	v_and_b32_e32 v36, 0xfffff, v48
	v_add_nc_u32_e32 v48, v36, v44
                                        ; implicit-def: $vgpr36
	s_delay_alu instid0(VALU_DEP_3)
	v_cmpx_ne_u32_e64 v41, v42
	s_xor_b32 s13, exec_lo, s13
; %bb.10969:                            ;   in Loop: Header=BB6_10858 Depth=3
	s_delay_alu instid0(VALU_DEP_2) | instskip(SKIP_2) | instid1(VALU_DEP_2)
	v_cmp_lt_u32_e32 vcc_lo, 0xffffff, v48
	v_sub_nc_u32_e32 v36, v41, v42
	v_cndmask_b32_e64 v41, 0, 1, vcc_lo
	v_add_co_ci_u32_e32 v36, vcc_lo, 0, v36, vcc_lo
	s_delay_alu instid0(VALU_DEP_2)
	v_lshrrev_b32_e32 v48, v41, v48
; %bb.10970:                            ;   in Loop: Header=BB6_10858 Depth=3
	s_and_not1_saveexec_b32 s13, s13
; %bb.10971:                            ;   in Loop: Header=BB6_10858 Depth=3
	s_delay_alu instid0(VALU_DEP_1)
	v_bfe_u32 v36, v48, 23, 1
; %bb.10972:                            ;   in Loop: Header=BB6_10858 Depth=3
	s_or_b32 exec_lo, exec_lo, s13
	v_lshrrev_b32_e32 v48, 20, v48
	s_delay_alu instid0(VALU_DEP_2) | instskip(SKIP_2) | instid1(VALU_DEP_2)
	v_cmp_gt_i32_e32 vcc_lo, 16, v36
	v_lshrrev_b32_e32 v41, 24, v43
	v_min_i32_e32 v42, 15, v36
	v_dual_cndmask_b32 v48, 7, v48 :: v_dual_and_b32 v41, 0x80, v41
	s_delay_alu instid0(VALU_DEP_2) | instskip(NEXT) | instid1(VALU_DEP_2)
	v_lshlrev_b32_e32 v42, 3, v42
	v_and_b32_e32 v43, 7, v48
	v_or_b32_e32 v36, v36, v48
	s_delay_alu instid0(VALU_DEP_2) | instskip(NEXT) | instid1(VALU_DEP_2)
	v_or3_b32 v48, v42, v41, v43
	v_cmp_ne_u32_e32 vcc_lo, 0, v36
	s_delay_alu instid0(VALU_DEP_2)
	v_cndmask_b32_e32 v36, 0, v48, vcc_lo
.LBB6_10973:                            ;   in Loop: Header=BB6_10858 Depth=3
	s_or_b32 exec_lo, exec_lo, s31
.LBB6_10974:                            ;   in Loop: Header=BB6_10858 Depth=3
	s_delay_alu instid0(SALU_CYCLE_1) | instskip(NEXT) | instid1(SALU_CYCLE_1)
	s_or_b32 exec_lo, exec_lo, s17
	s_and_b32 vcc_lo, exec_lo, s16
	s_cbranch_vccz .LBB6_10984
; %bb.10975:                            ;   in Loop: Header=BB6_10858 Depth=3
	v_and_b32_e32 v41, 0xff, v49
	s_mov_b32 s13, 0
	s_mov_b32 s31, exec_lo
                                        ; implicit-def: $sgpr17
	s_delay_alu instid0(VALU_DEP_1)
	v_cmpx_lt_i16_e32 0x7f, v41
	s_xor_b32 s31, exec_lo, s31
	s_cbranch_execnz .LBB6_12776
; %bb.10976:                            ;   in Loop: Header=BB6_10858 Depth=3
	s_or_saveexec_b32 s31, s31
	v_mov_b32_e32 v48, s17
	s_xor_b32 exec_lo, exec_lo, s31
	s_cbranch_execnz .LBB6_12779
.LBB6_10977:                            ;   in Loop: Header=BB6_10858 Depth=3
	s_or_b32 exec_lo, exec_lo, s31
	s_and_saveexec_b32 s17, s13
	s_cbranch_execz .LBB6_10979
.LBB6_10978:                            ;   in Loop: Header=BB6_10858 Depth=3
	v_and_b32_e32 v48, 7, v49
	v_bfe_u32 v43, v49, 3, 4
	v_lshlrev_b32_e32 v44, 24, v49
	s_delay_alu instid0(VALU_DEP_3) | instskip(NEXT) | instid1(VALU_DEP_3)
	v_clz_i32_u32_e32 v41, v48
	v_cmp_eq_u32_e32 vcc_lo, 0, v43
	s_delay_alu instid0(VALU_DEP_2) | instskip(NEXT) | instid1(VALU_DEP_1)
	v_min_u32_e32 v41, 32, v41
	v_subrev_nc_u32_e32 v42, 28, v41
	v_sub_nc_u32_e32 v41, 29, v41
	s_delay_alu instid0(VALU_DEP_2) | instskip(NEXT) | instid1(VALU_DEP_1)
	v_lshlrev_b32_e32 v42, v42, v49
	v_dual_cndmask_b32 v41, v43, v41 :: v_dual_and_b32 v42, 7, v42
	s_delay_alu instid0(VALU_DEP_1) | instskip(NEXT) | instid1(VALU_DEP_2)
	v_lshl_add_u32 v41, v41, 23, 0x3b800000
	v_cndmask_b32_e32 v48, v48, v42, vcc_lo
	v_and_b32_e32 v42, 0x80000000, v44
	s_delay_alu instid0(VALU_DEP_2) | instskip(NEXT) | instid1(VALU_DEP_1)
	v_lshlrev_b32_e32 v48, 20, v48
	v_or3_b32 v48, v42, v41, v48
.LBB6_10979:                            ;   in Loop: Header=BB6_10858 Depth=3
	s_or_b32 exec_lo, exec_lo, s17
	v_and_b32_e32 v42, 0xff, v37
	s_mov_b32 s13, 0
	s_mov_b32 s31, exec_lo
                                        ; implicit-def: $sgpr17
	s_delay_alu instid0(VALU_DEP_1)
	v_cmpx_lt_i16_e32 0x7f, v42
	s_xor_b32 s31, exec_lo, s31
	s_cbranch_execnz .LBB6_12780
; %bb.10980:                            ;   in Loop: Header=BB6_10858 Depth=3
	s_or_saveexec_b32 s31, s31
	v_mov_b32_e32 v41, s17
	s_xor_b32 exec_lo, exec_lo, s31
	s_cbranch_execnz .LBB6_12783
.LBB6_10981:                            ;   in Loop: Header=BB6_10858 Depth=3
	s_or_b32 exec_lo, exec_lo, s31
	s_and_saveexec_b32 s17, s13
	s_cbranch_execz .LBB6_10983
.LBB6_10982:                            ;   in Loop: Header=BB6_10858 Depth=3
	v_bfe_u32 v44, v37, 3, 4
	v_lshlrev_b32_e32 v45, 24, v37
	s_delay_alu instid0(VALU_DEP_2) | instskip(SKIP_1) | instid1(VALU_DEP_1)
	v_cmp_eq_u32_e32 vcc_lo, 0, v44
	v_and_b32_e32 v41, 7, v37
	v_clz_i32_u32_e32 v42, v41
	s_delay_alu instid0(VALU_DEP_1) | instskip(NEXT) | instid1(VALU_DEP_1)
	v_min_u32_e32 v42, 32, v42
	v_subrev_nc_u32_e32 v43, 28, v42
	v_sub_nc_u32_e32 v42, 29, v42
	s_delay_alu instid0(VALU_DEP_1) | instskip(NEXT) | instid1(VALU_DEP_1)
	v_dual_cndmask_b32 v42, v44, v42 :: v_dual_lshlrev_b32 v43, v43, v37
	v_and_b32_e32 v43, 7, v43
	s_delay_alu instid0(VALU_DEP_2) | instskip(NEXT) | instid1(VALU_DEP_2)
	v_lshl_add_u32 v42, v42, 23, 0x3b800000
	v_cndmask_b32_e32 v41, v41, v43, vcc_lo
	v_and_b32_e32 v43, 0x80000000, v45
	s_delay_alu instid0(VALU_DEP_2) | instskip(NEXT) | instid1(VALU_DEP_1)
	v_lshlrev_b32_e32 v41, 20, v41
	v_or3_b32 v41, v43, v42, v41
.LBB6_10983:                            ;   in Loop: Header=BB6_10858 Depth=3
	s_or_b32 exec_lo, exec_lo, s17
	s_delay_alu instid0(VALU_DEP_1) | instskip(SKIP_1) | instid1(VALU_DEP_1)
	v_dual_max_f32 v41, v41, v41 :: v_dual_max_f32 v48, v48, v48
	s_mov_b32 s13, 0
	v_max_f32_e32 v41, v48, v41
	s_branch .LBB6_10985
.LBB6_10984:                            ;   in Loop: Header=BB6_10858 Depth=3
	s_mov_b32 s13, -1
                                        ; implicit-def: $vgpr41
.LBB6_10985:                            ;   in Loop: Header=BB6_10858 Depth=3
	s_delay_alu instid0(SALU_CYCLE_1)
	s_and_b32 vcc_lo, exec_lo, s13
	s_cbranch_vccz .LBB6_10995
; %bb.10986:                            ;   in Loop: Header=BB6_10858 Depth=3
	v_and_b32_e32 v41, 0xff, v49
	s_mov_b32 s13, 0
	s_mov_b32 s31, exec_lo
                                        ; implicit-def: $sgpr17
	s_delay_alu instid0(VALU_DEP_1)
	v_cmpx_lt_i16_e32 0x7f, v41
	s_xor_b32 s31, exec_lo, s31
	s_cbranch_execnz .LBB6_12784
; %bb.10987:                            ;   in Loop: Header=BB6_10858 Depth=3
	s_or_saveexec_b32 s31, s31
	v_mov_b32_e32 v48, s17
	s_xor_b32 exec_lo, exec_lo, s31
	s_cbranch_execnz .LBB6_12787
.LBB6_10988:                            ;   in Loop: Header=BB6_10858 Depth=3
	s_or_b32 exec_lo, exec_lo, s31
	s_and_saveexec_b32 s17, s13
	s_cbranch_execz .LBB6_10990
.LBB6_10989:                            ;   in Loop: Header=BB6_10858 Depth=3
	v_and_b32_e32 v48, 7, v49
	v_bfe_u32 v43, v49, 3, 4
	v_lshlrev_b32_e32 v44, 24, v49
	s_delay_alu instid0(VALU_DEP_3) | instskip(NEXT) | instid1(VALU_DEP_3)
	v_clz_i32_u32_e32 v41, v48
	v_cmp_eq_u32_e32 vcc_lo, 0, v43
	s_delay_alu instid0(VALU_DEP_2) | instskip(NEXT) | instid1(VALU_DEP_1)
	v_min_u32_e32 v41, 32, v41
	v_subrev_nc_u32_e32 v42, 28, v41
	v_sub_nc_u32_e32 v41, 29, v41
	s_delay_alu instid0(VALU_DEP_2) | instskip(NEXT) | instid1(VALU_DEP_1)
	v_lshlrev_b32_e32 v42, v42, v49
	v_dual_cndmask_b32 v41, v43, v41 :: v_dual_and_b32 v42, 7, v42
	s_delay_alu instid0(VALU_DEP_1) | instskip(NEXT) | instid1(VALU_DEP_2)
	v_lshl_add_u32 v41, v41, 23, 0x3b800000
	v_cndmask_b32_e32 v48, v48, v42, vcc_lo
	v_and_b32_e32 v42, 0x80000000, v44
	s_delay_alu instid0(VALU_DEP_2) | instskip(NEXT) | instid1(VALU_DEP_1)
	v_lshlrev_b32_e32 v48, 20, v48
	v_or3_b32 v48, v42, v41, v48
.LBB6_10990:                            ;   in Loop: Header=BB6_10858 Depth=3
	s_or_b32 exec_lo, exec_lo, s17
	v_and_b32_e32 v42, 0xff, v37
	s_mov_b32 s13, 0
	s_mov_b32 s31, exec_lo
                                        ; implicit-def: $sgpr17
	s_delay_alu instid0(VALU_DEP_1)
	v_cmpx_lt_i16_e32 0x7f, v42
	s_xor_b32 s31, exec_lo, s31
	s_cbranch_execnz .LBB6_12788
; %bb.10991:                            ;   in Loop: Header=BB6_10858 Depth=3
	s_or_saveexec_b32 s31, s31
	v_mov_b32_e32 v41, s17
	s_xor_b32 exec_lo, exec_lo, s31
	s_cbranch_execnz .LBB6_12791
.LBB6_10992:                            ;   in Loop: Header=BB6_10858 Depth=3
	s_or_b32 exec_lo, exec_lo, s31
	s_and_saveexec_b32 s17, s13
	s_cbranch_execz .LBB6_10994
.LBB6_10993:                            ;   in Loop: Header=BB6_10858 Depth=3
	v_bfe_u32 v44, v37, 3, 4
	v_lshlrev_b32_e32 v45, 24, v37
	s_delay_alu instid0(VALU_DEP_2) | instskip(SKIP_1) | instid1(VALU_DEP_1)
	v_cmp_eq_u32_e32 vcc_lo, 0, v44
	v_and_b32_e32 v41, 7, v37
	v_clz_i32_u32_e32 v42, v41
	s_delay_alu instid0(VALU_DEP_1) | instskip(NEXT) | instid1(VALU_DEP_1)
	v_min_u32_e32 v42, 32, v42
	v_subrev_nc_u32_e32 v43, 28, v42
	v_sub_nc_u32_e32 v42, 29, v42
	s_delay_alu instid0(VALU_DEP_1) | instskip(NEXT) | instid1(VALU_DEP_1)
	v_dual_cndmask_b32 v42, v44, v42 :: v_dual_lshlrev_b32 v43, v43, v37
	v_and_b32_e32 v43, 7, v43
	s_delay_alu instid0(VALU_DEP_2) | instskip(NEXT) | instid1(VALU_DEP_2)
	v_lshl_add_u32 v42, v42, 23, 0x3b800000
	v_cndmask_b32_e32 v41, v41, v43, vcc_lo
	v_and_b32_e32 v43, 0x80000000, v45
	s_delay_alu instid0(VALU_DEP_2) | instskip(NEXT) | instid1(VALU_DEP_1)
	v_lshlrev_b32_e32 v41, 20, v41
	v_or3_b32 v41, v43, v42, v41
.LBB6_10994:                            ;   in Loop: Header=BB6_10858 Depth=3
	s_or_b32 exec_lo, exec_lo, s17
	s_delay_alu instid0(VALU_DEP_1) | instskip(NEXT) | instid1(VALU_DEP_1)
	v_dual_max_f32 v41, v41, v41 :: v_dual_max_f32 v48, v48, v48
	v_min_f32_e32 v41, v48, v41
.LBB6_10995:                            ;   in Loop: Header=BB6_10858 Depth=3
	s_delay_alu instid0(VALU_DEP_1) | instskip(NEXT) | instid1(VALU_DEP_1)
	v_and_b32_e32 v48, 0x7f800000, v41
	v_cmp_ne_u32_e32 vcc_lo, 0x7f800000, v48
	v_mov_b32_e32 v48, 0x80
	s_and_saveexec_b32 s17, vcc_lo
	s_cbranch_execz .LBB6_11003
; %bb.10996:                            ;   in Loop: Header=BB6_10858 Depth=3
	v_mov_b32_e32 v48, 0
	s_mov_b32 s31, exec_lo
	v_cmpx_ne_u32_e32 0, v41
	s_cbranch_execz .LBB6_11002
; %bb.10997:                            ;   in Loop: Header=BB6_10858 Depth=3
	v_bfe_u32 v48, v41, 23, 8
	s_delay_alu instid0(VALU_DEP_1) | instskip(SKIP_1) | instid1(VALU_DEP_2)
	v_sub_nc_u32_e32 v43, 0x78, v48
	v_cmp_gt_u32_e32 vcc_lo, 0x79, v48
	v_dual_cndmask_b32 v43, 0, v43 :: v_dual_and_b32 v42, 0x7fffff, v41
	s_delay_alu instid0(VALU_DEP_1) | instskip(SKIP_2) | instid1(VALU_DEP_4)
	v_or_b32_e32 v44, 0x800000, v42
	v_cmp_eq_u32_e32 vcc_lo, 0, v48
	v_add_nc_u32_e32 v48, 0xffffff89, v48
	v_cndmask_b32_e64 v43, v43, 0x77, vcc_lo
	s_delay_alu instid0(VALU_DEP_2) | instskip(SKIP_1) | instid1(VALU_DEP_3)
	v_cndmask_b32_e64 v48, v48, 0xffffff8a, vcc_lo
	v_cndmask_b32_e32 v42, v44, v42, vcc_lo
	v_lshl_add_u32 v44, 0x100000, v43, -1
	v_lshlrev_b32_e64 v47, v43, 0x80000
	s_delay_alu instid0(VALU_DEP_3) | instskip(SKIP_1) | instid1(VALU_DEP_4)
	v_lshrrev_b32_e32 v45, v43, v42
	v_add_nc_u32_e32 v43, v43, v48
	v_and_b32_e32 v42, v44, v42
	s_delay_alu instid0(VALU_DEP_3) | instskip(NEXT) | instid1(VALU_DEP_2)
	v_bfe_u32 v46, v45, 20, 1
	v_cmp_eq_u32_e64 s13, v42, v47
	s_delay_alu instid0(VALU_DEP_2) | instskip(NEXT) | instid1(VALU_DEP_1)
	v_add_nc_u32_e32 v44, -1, v46
	v_cndmask_b32_e64 v42, 0, v44, s13
	v_lshrrev_b32_e32 v44, 23, v45
	s_mov_b32 s13, exec_lo
	s_delay_alu instid0(VALU_DEP_2) | instskip(NEXT) | instid1(VALU_DEP_2)
	v_add_nc_u32_e32 v42, v42, v45
	v_xor_b32_e32 v44, 1, v44
	s_delay_alu instid0(VALU_DEP_2) | instskip(NEXT) | instid1(VALU_DEP_1)
	v_and_b32_e32 v48, 0xfffff, v42
	v_add_nc_u32_e32 v42, v48, v45
                                        ; implicit-def: $vgpr48
	s_delay_alu instid0(VALU_DEP_3)
	v_cmpx_ne_u32_e64 v43, v44
	s_xor_b32 s13, exec_lo, s13
; %bb.10998:                            ;   in Loop: Header=BB6_10858 Depth=3
	s_delay_alu instid0(VALU_DEP_2) | instskip(SKIP_2) | instid1(VALU_DEP_2)
	v_cmp_lt_u32_e32 vcc_lo, 0xffffff, v42
	v_sub_nc_u32_e32 v48, v43, v44
	v_cndmask_b32_e64 v43, 0, 1, vcc_lo
	v_add_co_ci_u32_e32 v48, vcc_lo, 0, v48, vcc_lo
	s_delay_alu instid0(VALU_DEP_2)
	v_lshrrev_b32_e32 v42, v43, v42
; %bb.10999:                            ;   in Loop: Header=BB6_10858 Depth=3
	s_and_not1_saveexec_b32 s13, s13
; %bb.11000:                            ;   in Loop: Header=BB6_10858 Depth=3
	s_delay_alu instid0(VALU_DEP_1)
	v_bfe_u32 v48, v42, 23, 1
; %bb.11001:                            ;   in Loop: Header=BB6_10858 Depth=3
	s_or_b32 exec_lo, exec_lo, s13
	v_lshrrev_b32_e32 v42, 20, v42
	s_delay_alu instid0(VALU_DEP_2) | instskip(SKIP_2) | instid1(VALU_DEP_2)
	v_cmp_gt_i32_e32 vcc_lo, 16, v48
	v_lshrrev_b32_e32 v41, 24, v41
	v_min_i32_e32 v43, 15, v48
	v_dual_cndmask_b32 v42, 7, v42 :: v_dual_and_b32 v41, 0x80, v41
	s_delay_alu instid0(VALU_DEP_1) | instskip(SKIP_1) | instid1(VALU_DEP_2)
	v_or_b32_e32 v48, v48, v42
	v_and_b32_e32 v44, 7, v42
	v_cmp_ne_u32_e32 vcc_lo, 0, v48
	v_lshlrev_b32_e32 v43, 3, v43
	s_delay_alu instid0(VALU_DEP_1) | instskip(NEXT) | instid1(VALU_DEP_1)
	v_or3_b32 v41, v43, v41, v44
	v_cndmask_b32_e32 v48, 0, v41, vcc_lo
.LBB6_11002:                            ;   in Loop: Header=BB6_10858 Depth=3
	s_or_b32 exec_lo, exec_lo, s31
.LBB6_11003:                            ;   in Loop: Header=BB6_10858 Depth=3
	s_delay_alu instid0(SALU_CYCLE_1)
	s_or_b32 exec_lo, exec_lo, s17
	v_lshrrev_b16 v42, 8, v49
	v_lshrrev_b16 v41, 8, v37
	s_and_b32 vcc_lo, exec_lo, s16
	s_cbranch_vccz .LBB6_11013
; %bb.11004:                            ;   in Loop: Header=BB6_10858 Depth=3
	s_mov_b32 s13, 0
	s_mov_b32 s31, exec_lo
                                        ; implicit-def: $sgpr17
	v_cmpx_lt_i16_e32 0x7f, v42
	s_xor_b32 s31, exec_lo, s31
	s_cbranch_execnz .LBB6_12792
; %bb.11005:                            ;   in Loop: Header=BB6_10858 Depth=3
	s_or_saveexec_b32 s31, s31
	v_mov_b32_e32 v43, s17
	s_xor_b32 exec_lo, exec_lo, s31
	s_cbranch_execnz .LBB6_12795
.LBB6_11006:                            ;   in Loop: Header=BB6_10858 Depth=3
	s_or_b32 exec_lo, exec_lo, s31
	s_and_saveexec_b32 s17, s13
	s_cbranch_execz .LBB6_11008
.LBB6_11007:                            ;   in Loop: Header=BB6_10858 Depth=3
	v_and_b32_e32 v43, 0xffff, v42
	s_delay_alu instid0(VALU_DEP_1) | instskip(NEXT) | instid1(VALU_DEP_1)
	v_and_b32_e32 v44, 7, v43
	v_clz_i32_u32_e32 v45, v44
	s_delay_alu instid0(VALU_DEP_1) | instskip(NEXT) | instid1(VALU_DEP_1)
	v_min_u32_e32 v45, 32, v45
	v_subrev_nc_u32_e32 v46, 28, v45
	v_sub_nc_u32_e32 v45, 29, v45
	s_delay_alu instid0(VALU_DEP_2) | instskip(SKIP_1) | instid1(VALU_DEP_2)
	v_lshlrev_b32_e32 v46, v46, v43
	v_bfe_u32 v43, v43, 3, 4
	v_and_b32_e32 v46, 7, v46
	s_delay_alu instid0(VALU_DEP_2) | instskip(SKIP_1) | instid1(VALU_DEP_3)
	v_cmp_eq_u32_e32 vcc_lo, 0, v43
	v_cndmask_b32_e32 v43, v43, v45, vcc_lo
	v_dual_cndmask_b32 v44, v44, v46 :: v_dual_lshlrev_b32 v47, 16, v49
	s_delay_alu instid0(VALU_DEP_2) | instskip(NEXT) | instid1(VALU_DEP_2)
	v_lshl_add_u32 v43, v43, 23, 0x3b800000
	v_and_b32_e32 v45, 0x80000000, v47
	s_delay_alu instid0(VALU_DEP_3) | instskip(NEXT) | instid1(VALU_DEP_1)
	v_lshlrev_b32_e32 v44, 20, v44
	v_or3_b32 v43, v45, v43, v44
.LBB6_11008:                            ;   in Loop: Header=BB6_10858 Depth=3
	s_or_b32 exec_lo, exec_lo, s17
	s_mov_b32 s13, 0
	s_mov_b32 s31, exec_lo
                                        ; implicit-def: $sgpr17
	v_cmpx_lt_i16_e32 0x7f, v41
	s_xor_b32 s31, exec_lo, s31
	s_cbranch_execnz .LBB6_12796
; %bb.11009:                            ;   in Loop: Header=BB6_10858 Depth=3
	s_or_saveexec_b32 s31, s31
	v_mov_b32_e32 v44, s17
	s_xor_b32 exec_lo, exec_lo, s31
	s_cbranch_execnz .LBB6_12799
.LBB6_11010:                            ;   in Loop: Header=BB6_10858 Depth=3
	s_or_b32 exec_lo, exec_lo, s31
	s_and_saveexec_b32 s17, s13
	s_cbranch_execz .LBB6_11012
.LBB6_11011:                            ;   in Loop: Header=BB6_10858 Depth=3
	v_and_b32_e32 v44, 0xffff, v41
	v_lshlrev_b32_e32 v56, 16, v37
	s_delay_alu instid0(VALU_DEP_2) | instskip(NEXT) | instid1(VALU_DEP_1)
	v_and_b32_e32 v45, 7, v44
	v_clz_i32_u32_e32 v46, v45
	s_delay_alu instid0(VALU_DEP_1) | instskip(NEXT) | instid1(VALU_DEP_1)
	v_min_u32_e32 v46, 32, v46
	v_subrev_nc_u32_e32 v47, 28, v46
	v_sub_nc_u32_e32 v46, 29, v46
	s_delay_alu instid0(VALU_DEP_2) | instskip(SKIP_1) | instid1(VALU_DEP_2)
	v_lshlrev_b32_e32 v47, v47, v44
	v_bfe_u32 v44, v44, 3, 4
	v_and_b32_e32 v47, 7, v47
	s_delay_alu instid0(VALU_DEP_2) | instskip(NEXT) | instid1(VALU_DEP_2)
	v_cmp_eq_u32_e32 vcc_lo, 0, v44
	v_dual_cndmask_b32 v44, v44, v46 :: v_dual_cndmask_b32 v45, v45, v47
	v_and_b32_e32 v46, 0x80000000, v56
	s_delay_alu instid0(VALU_DEP_2) | instskip(NEXT) | instid1(VALU_DEP_3)
	v_lshl_add_u32 v44, v44, 23, 0x3b800000
	v_lshlrev_b32_e32 v45, 20, v45
	s_delay_alu instid0(VALU_DEP_1)
	v_or3_b32 v44, v46, v44, v45
.LBB6_11012:                            ;   in Loop: Header=BB6_10858 Depth=3
	s_or_b32 exec_lo, exec_lo, s17
	s_delay_alu instid0(VALU_DEP_1) | instskip(SKIP_1) | instid1(VALU_DEP_1)
	v_dual_max_f32 v44, v44, v44 :: v_dual_max_f32 v43, v43, v43
	s_mov_b32 s13, 0
	v_max_f32_e32 v43, v43, v44
	s_branch .LBB6_11014
.LBB6_11013:                            ;   in Loop: Header=BB6_10858 Depth=3
	s_mov_b32 s13, -1
                                        ; implicit-def: $vgpr43
.LBB6_11014:                            ;   in Loop: Header=BB6_10858 Depth=3
	s_delay_alu instid0(SALU_CYCLE_1)
	s_and_b32 vcc_lo, exec_lo, s13
	s_cbranch_vccz .LBB6_11024
; %bb.11015:                            ;   in Loop: Header=BB6_10858 Depth=3
	s_mov_b32 s13, 0
	s_mov_b32 s31, exec_lo
                                        ; implicit-def: $sgpr17
	v_cmpx_lt_i16_e32 0x7f, v42
	s_xor_b32 s31, exec_lo, s31
	s_cbranch_execnz .LBB6_12800
; %bb.11016:                            ;   in Loop: Header=BB6_10858 Depth=3
	s_or_saveexec_b32 s31, s31
	v_mov_b32_e32 v43, s17
	s_xor_b32 exec_lo, exec_lo, s31
	s_cbranch_execnz .LBB6_12803
.LBB6_11017:                            ;   in Loop: Header=BB6_10858 Depth=3
	s_or_b32 exec_lo, exec_lo, s31
	s_and_saveexec_b32 s17, s13
	s_cbranch_execz .LBB6_11019
.LBB6_11018:                            ;   in Loop: Header=BB6_10858 Depth=3
	v_and_b32_e32 v42, 0xffff, v42
	v_lshlrev_b32_e32 v46, 16, v49
	s_delay_alu instid0(VALU_DEP_2) | instskip(NEXT) | instid1(VALU_DEP_1)
	v_and_b32_e32 v43, 7, v42
	v_clz_i32_u32_e32 v44, v43
	s_delay_alu instid0(VALU_DEP_1) | instskip(NEXT) | instid1(VALU_DEP_1)
	v_min_u32_e32 v44, 32, v44
	v_subrev_nc_u32_e32 v45, 28, v44
	v_sub_nc_u32_e32 v44, 29, v44
	s_delay_alu instid0(VALU_DEP_2) | instskip(SKIP_1) | instid1(VALU_DEP_2)
	v_lshlrev_b32_e32 v45, v45, v42
	v_bfe_u32 v42, v42, 3, 4
	v_and_b32_e32 v45, 7, v45
	s_delay_alu instid0(VALU_DEP_2) | instskip(NEXT) | instid1(VALU_DEP_2)
	v_cmp_eq_u32_e32 vcc_lo, 0, v42
	v_dual_cndmask_b32 v42, v42, v44 :: v_dual_cndmask_b32 v43, v43, v45
	v_and_b32_e32 v44, 0x80000000, v46
	s_delay_alu instid0(VALU_DEP_2) | instskip(NEXT) | instid1(VALU_DEP_3)
	v_lshl_add_u32 v42, v42, 23, 0x3b800000
	v_lshlrev_b32_e32 v43, 20, v43
	s_delay_alu instid0(VALU_DEP_1)
	v_or3_b32 v43, v44, v42, v43
.LBB6_11019:                            ;   in Loop: Header=BB6_10858 Depth=3
	s_or_b32 exec_lo, exec_lo, s17
	s_mov_b32 s13, 0
	s_mov_b32 s31, exec_lo
                                        ; implicit-def: $sgpr17
	v_cmpx_lt_i16_e32 0x7f, v41
	s_xor_b32 s31, exec_lo, s31
	s_cbranch_execnz .LBB6_12804
; %bb.11020:                            ;   in Loop: Header=BB6_10858 Depth=3
	s_or_saveexec_b32 s31, s31
	v_mov_b32_e32 v42, s17
	s_xor_b32 exec_lo, exec_lo, s31
	s_cbranch_execnz .LBB6_12807
.LBB6_11021:                            ;   in Loop: Header=BB6_10858 Depth=3
	s_or_b32 exec_lo, exec_lo, s31
	s_and_saveexec_b32 s17, s13
	s_cbranch_execz .LBB6_11023
.LBB6_11022:                            ;   in Loop: Header=BB6_10858 Depth=3
	v_and_b32_e32 v41, 0xffff, v41
	v_lshlrev_b32_e32 v46, 16, v37
	s_delay_alu instid0(VALU_DEP_2) | instskip(NEXT) | instid1(VALU_DEP_1)
	v_and_b32_e32 v42, 7, v41
	v_clz_i32_u32_e32 v44, v42
	s_delay_alu instid0(VALU_DEP_1) | instskip(NEXT) | instid1(VALU_DEP_1)
	v_min_u32_e32 v44, 32, v44
	v_subrev_nc_u32_e32 v45, 28, v44
	v_sub_nc_u32_e32 v44, 29, v44
	s_delay_alu instid0(VALU_DEP_2) | instskip(SKIP_1) | instid1(VALU_DEP_2)
	v_lshlrev_b32_e32 v45, v45, v41
	v_bfe_u32 v41, v41, 3, 4
	v_and_b32_e32 v45, 7, v45
	s_delay_alu instid0(VALU_DEP_2) | instskip(NEXT) | instid1(VALU_DEP_2)
	v_cmp_eq_u32_e32 vcc_lo, 0, v41
	v_dual_cndmask_b32 v41, v41, v44 :: v_dual_cndmask_b32 v42, v42, v45
	v_and_b32_e32 v44, 0x80000000, v46
	s_delay_alu instid0(VALU_DEP_2) | instskip(NEXT) | instid1(VALU_DEP_3)
	v_lshl_add_u32 v41, v41, 23, 0x3b800000
	v_lshlrev_b32_e32 v42, 20, v42
	s_delay_alu instid0(VALU_DEP_1)
	v_or3_b32 v42, v44, v41, v42
.LBB6_11023:                            ;   in Loop: Header=BB6_10858 Depth=3
	s_or_b32 exec_lo, exec_lo, s17
	s_delay_alu instid0(VALU_DEP_1) | instskip(NEXT) | instid1(VALU_DEP_1)
	v_dual_max_f32 v41, v42, v42 :: v_dual_max_f32 v42, v43, v43
	v_min_f32_e32 v43, v42, v41
.LBB6_11024:                            ;   in Loop: Header=BB6_10858 Depth=3
	s_delay_alu instid0(VALU_DEP_1) | instskip(NEXT) | instid1(VALU_DEP_1)
	v_and_b32_e32 v41, 0x7f800000, v43
	v_cmp_ne_u32_e32 vcc_lo, 0x7f800000, v41
	v_mov_b32_e32 v41, 0x80
	s_and_saveexec_b32 s17, vcc_lo
	s_cbranch_execz .LBB6_11032
; %bb.11025:                            ;   in Loop: Header=BB6_10858 Depth=3
	v_mov_b32_e32 v41, 0
	s_mov_b32 s31, exec_lo
	v_cmpx_ne_u32_e32 0, v43
	s_cbranch_execz .LBB6_11031
; %bb.11026:                            ;   in Loop: Header=BB6_10858 Depth=3
	v_bfe_u32 v41, v43, 23, 8
	v_and_b32_e32 v42, 0x7fffff, v43
	s_delay_alu instid0(VALU_DEP_2) | instskip(SKIP_1) | instid1(VALU_DEP_3)
	v_sub_nc_u32_e32 v44, 0x78, v41
	v_cmp_gt_u32_e32 vcc_lo, 0x79, v41
	v_or_b32_e32 v45, 0x800000, v42
	s_delay_alu instid0(VALU_DEP_3) | instskip(SKIP_2) | instid1(VALU_DEP_3)
	v_cndmask_b32_e32 v44, 0, v44, vcc_lo
	v_cmp_eq_u32_e32 vcc_lo, 0, v41
	v_add_nc_u32_e32 v41, 0xffffff89, v41
	v_cndmask_b32_e64 v44, v44, 0x77, vcc_lo
	v_cndmask_b32_e32 v42, v45, v42, vcc_lo
	s_delay_alu instid0(VALU_DEP_3) | instskip(NEXT) | instid1(VALU_DEP_3)
	v_cndmask_b32_e64 v41, v41, 0xffffff8a, vcc_lo
	v_lshl_add_u32 v45, 0x100000, v44, -1
	s_delay_alu instid0(VALU_DEP_3) | instskip(SKIP_1) | instid1(VALU_DEP_4)
	v_lshrrev_b32_e32 v46, v44, v42
	v_lshlrev_b32_e64 v56, v44, 0x80000
	v_add_nc_u32_e32 v44, v44, v41
	s_delay_alu instid0(VALU_DEP_4) | instskip(NEXT) | instid1(VALU_DEP_4)
	v_and_b32_e32 v42, v45, v42
	v_bfe_u32 v47, v46, 20, 1
	s_delay_alu instid0(VALU_DEP_2) | instskip(NEXT) | instid1(VALU_DEP_2)
	v_cmp_eq_u32_e64 s13, v42, v56
	v_add_nc_u32_e32 v45, -1, v47
	s_delay_alu instid0(VALU_DEP_1) | instskip(SKIP_2) | instid1(VALU_DEP_2)
	v_cndmask_b32_e64 v42, 0, v45, s13
	v_lshrrev_b32_e32 v45, 23, v46
	s_mov_b32 s13, exec_lo
	v_add_nc_u32_e32 v42, v42, v46
	s_delay_alu instid0(VALU_DEP_2) | instskip(NEXT) | instid1(VALU_DEP_2)
	v_xor_b32_e32 v45, 1, v45
	v_and_b32_e32 v41, 0xfffff, v42
	s_delay_alu instid0(VALU_DEP_1) | instskip(NEXT) | instid1(VALU_DEP_3)
	v_add_nc_u32_e32 v42, v41, v46
                                        ; implicit-def: $vgpr41
	v_cmpx_ne_u32_e64 v44, v45
	s_xor_b32 s13, exec_lo, s13
; %bb.11027:                            ;   in Loop: Header=BB6_10858 Depth=3
	s_delay_alu instid0(VALU_DEP_2) | instskip(SKIP_2) | instid1(VALU_DEP_2)
	v_cmp_lt_u32_e32 vcc_lo, 0xffffff, v42
	v_sub_nc_u32_e32 v41, v44, v45
	v_cndmask_b32_e64 v44, 0, 1, vcc_lo
	v_add_co_ci_u32_e32 v41, vcc_lo, 0, v41, vcc_lo
	s_delay_alu instid0(VALU_DEP_2)
	v_lshrrev_b32_e32 v42, v44, v42
; %bb.11028:                            ;   in Loop: Header=BB6_10858 Depth=3
	s_and_not1_saveexec_b32 s13, s13
; %bb.11029:                            ;   in Loop: Header=BB6_10858 Depth=3
	s_delay_alu instid0(VALU_DEP_1)
	v_bfe_u32 v41, v42, 23, 1
; %bb.11030:                            ;   in Loop: Header=BB6_10858 Depth=3
	s_or_b32 exec_lo, exec_lo, s13
	v_lshrrev_b32_e32 v42, 20, v42
	s_delay_alu instid0(VALU_DEP_2) | instskip(SKIP_2) | instid1(VALU_DEP_2)
	v_cmp_gt_i32_e32 vcc_lo, 16, v41
	v_lshrrev_b32_e32 v43, 24, v43
	v_min_i32_e32 v44, 15, v41
	v_dual_cndmask_b32 v42, 7, v42 :: v_dual_and_b32 v43, 0x80, v43
	s_delay_alu instid0(VALU_DEP_1) | instskip(SKIP_1) | instid1(VALU_DEP_2)
	v_or_b32_e32 v41, v41, v42
	v_and_b32_e32 v45, 7, v42
	v_cmp_ne_u32_e32 vcc_lo, 0, v41
	v_lshlrev_b32_e32 v44, 3, v44
	s_delay_alu instid0(VALU_DEP_1) | instskip(NEXT) | instid1(VALU_DEP_1)
	v_or3_b32 v42, v44, v43, v45
	v_cndmask_b32_e32 v41, 0, v42, vcc_lo
.LBB6_11031:                            ;   in Loop: Header=BB6_10858 Depth=3
	s_or_b32 exec_lo, exec_lo, s31
.LBB6_11032:                            ;   in Loop: Header=BB6_10858 Depth=3
	s_delay_alu instid0(SALU_CYCLE_1)
	s_or_b32 exec_lo, exec_lo, s17
	v_lshrrev_b32_e32 v43, 16, v49
	v_lshrrev_b32_e32 v42, 16, v37
	s_and_b32 vcc_lo, exec_lo, s16
	s_cbranch_vccz .LBB6_11042
; %bb.11033:                            ;   in Loop: Header=BB6_10858 Depth=3
	s_delay_alu instid0(VALU_DEP_2) | instskip(SKIP_2) | instid1(VALU_DEP_1)
	v_and_b32_e32 v45, 0xff, v43
	s_mov_b32 s13, 0
	s_mov_b32 s31, exec_lo
                                        ; implicit-def: $sgpr17
	v_cmpx_lt_i16_e32 0x7f, v45
	s_xor_b32 s31, exec_lo, s31
	s_cbranch_execnz .LBB6_12808
; %bb.11034:                            ;   in Loop: Header=BB6_10858 Depth=3
	s_or_saveexec_b32 s31, s31
	v_mov_b32_e32 v44, s17
	s_xor_b32 exec_lo, exec_lo, s31
	s_cbranch_execnz .LBB6_12811
.LBB6_11035:                            ;   in Loop: Header=BB6_10858 Depth=3
	s_or_b32 exec_lo, exec_lo, s31
	s_and_saveexec_b32 s17, s13
	s_cbranch_execz .LBB6_11037
.LBB6_11036:                            ;   in Loop: Header=BB6_10858 Depth=3
	v_bfe_u32 v44, v49, 16, 3
	v_bfe_u32 v47, v49, 19, 4
	v_lshlrev_b32_e32 v56, 24, v43
	s_delay_alu instid0(VALU_DEP_3) | instskip(NEXT) | instid1(VALU_DEP_3)
	v_clz_i32_u32_e32 v45, v44
	v_cmp_eq_u32_e32 vcc_lo, 0, v47
	s_delay_alu instid0(VALU_DEP_2) | instskip(NEXT) | instid1(VALU_DEP_1)
	v_min_u32_e32 v45, 32, v45
	v_subrev_nc_u32_e32 v46, 28, v45
	v_sub_nc_u32_e32 v45, 29, v45
	s_delay_alu instid0(VALU_DEP_1) | instskip(NEXT) | instid1(VALU_DEP_1)
	v_dual_cndmask_b32 v45, v47, v45 :: v_dual_lshlrev_b32 v46, v46, v43
	v_and_b32_e32 v46, 7, v46
	s_delay_alu instid0(VALU_DEP_2) | instskip(NEXT) | instid1(VALU_DEP_2)
	v_lshl_add_u32 v45, v45, 23, 0x3b800000
	v_cndmask_b32_e32 v44, v44, v46, vcc_lo
	v_and_b32_e32 v46, 0x80000000, v56
	s_delay_alu instid0(VALU_DEP_2) | instskip(NEXT) | instid1(VALU_DEP_1)
	v_lshlrev_b32_e32 v44, 20, v44
	v_or3_b32 v44, v46, v45, v44
.LBB6_11037:                            ;   in Loop: Header=BB6_10858 Depth=3
	s_or_b32 exec_lo, exec_lo, s17
	v_and_b32_e32 v46, 0xff, v42
	s_mov_b32 s13, 0
	s_mov_b32 s31, exec_lo
                                        ; implicit-def: $sgpr17
	s_delay_alu instid0(VALU_DEP_1)
	v_cmpx_lt_i16_e32 0x7f, v46
	s_xor_b32 s31, exec_lo, s31
	s_cbranch_execnz .LBB6_12812
; %bb.11038:                            ;   in Loop: Header=BB6_10858 Depth=3
	s_or_saveexec_b32 s31, s31
	v_mov_b32_e32 v45, s17
	s_xor_b32 exec_lo, exec_lo, s31
	s_cbranch_execnz .LBB6_12815
.LBB6_11039:                            ;   in Loop: Header=BB6_10858 Depth=3
	s_or_b32 exec_lo, exec_lo, s31
	s_and_saveexec_b32 s17, s13
	s_cbranch_execz .LBB6_11041
.LBB6_11040:                            ;   in Loop: Header=BB6_10858 Depth=3
	v_bfe_u32 v45, v37, 16, 3
	v_bfe_u32 v56, v37, 19, 4
	v_lshlrev_b32_e32 v57, 24, v42
	s_delay_alu instid0(VALU_DEP_3) | instskip(NEXT) | instid1(VALU_DEP_3)
	v_clz_i32_u32_e32 v46, v45
	v_cmp_eq_u32_e32 vcc_lo, 0, v56
	s_delay_alu instid0(VALU_DEP_2) | instskip(NEXT) | instid1(VALU_DEP_1)
	v_min_u32_e32 v46, 32, v46
	v_subrev_nc_u32_e32 v47, 28, v46
	v_sub_nc_u32_e32 v46, 29, v46
	s_delay_alu instid0(VALU_DEP_2) | instskip(NEXT) | instid1(VALU_DEP_1)
	v_lshlrev_b32_e32 v47, v47, v42
	v_dual_cndmask_b32 v46, v56, v46 :: v_dual_and_b32 v47, 7, v47
	s_delay_alu instid0(VALU_DEP_1) | instskip(NEXT) | instid1(VALU_DEP_2)
	v_lshl_add_u32 v46, v46, 23, 0x3b800000
	v_cndmask_b32_e32 v45, v45, v47, vcc_lo
	v_and_b32_e32 v47, 0x80000000, v57
	s_delay_alu instid0(VALU_DEP_2) | instskip(NEXT) | instid1(VALU_DEP_1)
	v_lshlrev_b32_e32 v45, 20, v45
	v_or3_b32 v45, v47, v46, v45
.LBB6_11041:                            ;   in Loop: Header=BB6_10858 Depth=3
	s_or_b32 exec_lo, exec_lo, s17
	s_delay_alu instid0(VALU_DEP_1) | instskip(SKIP_1) | instid1(VALU_DEP_1)
	v_dual_max_f32 v45, v45, v45 :: v_dual_max_f32 v44, v44, v44
	s_mov_b32 s13, 0
	v_max_f32_e32 v44, v44, v45
	s_branch .LBB6_11043
.LBB6_11042:                            ;   in Loop: Header=BB6_10858 Depth=3
	s_mov_b32 s13, -1
                                        ; implicit-def: $vgpr44
.LBB6_11043:                            ;   in Loop: Header=BB6_10858 Depth=3
	s_delay_alu instid0(SALU_CYCLE_1)
	s_and_b32 vcc_lo, exec_lo, s13
	s_cbranch_vccz .LBB6_11053
; %bb.11044:                            ;   in Loop: Header=BB6_10858 Depth=3
	v_and_b32_e32 v45, 0xff, v43
	s_mov_b32 s13, 0
	s_mov_b32 s31, exec_lo
                                        ; implicit-def: $sgpr17
	s_delay_alu instid0(VALU_DEP_1)
	v_cmpx_lt_i16_e32 0x7f, v45
	s_xor_b32 s31, exec_lo, s31
	s_cbranch_execnz .LBB6_12816
; %bb.11045:                            ;   in Loop: Header=BB6_10858 Depth=3
	s_or_saveexec_b32 s31, s31
	v_mov_b32_e32 v44, s17
	s_xor_b32 exec_lo, exec_lo, s31
	s_cbranch_execnz .LBB6_12819
.LBB6_11046:                            ;   in Loop: Header=BB6_10858 Depth=3
	s_or_b32 exec_lo, exec_lo, s31
	s_and_saveexec_b32 s17, s13
	s_cbranch_execz .LBB6_11048
.LBB6_11047:                            ;   in Loop: Header=BB6_10858 Depth=3
	v_bfe_u32 v44, v49, 16, 3
	v_bfe_u32 v47, v49, 19, 4
	s_delay_alu instid0(VALU_DEP_2) | instskip(NEXT) | instid1(VALU_DEP_2)
	v_clz_i32_u32_e32 v45, v44
	v_cmp_eq_u32_e32 vcc_lo, 0, v47
	s_delay_alu instid0(VALU_DEP_2) | instskip(NEXT) | instid1(VALU_DEP_1)
	v_min_u32_e32 v45, 32, v45
	v_subrev_nc_u32_e32 v46, 28, v45
	v_sub_nc_u32_e32 v45, 29, v45
	s_delay_alu instid0(VALU_DEP_1) | instskip(NEXT) | instid1(VALU_DEP_1)
	v_dual_cndmask_b32 v45, v47, v45 :: v_dual_lshlrev_b32 v46, v46, v43
	v_and_b32_e32 v46, 7, v46
	v_lshlrev_b32_e32 v43, 24, v43
	s_delay_alu instid0(VALU_DEP_3) | instskip(NEXT) | instid1(VALU_DEP_2)
	v_lshl_add_u32 v45, v45, 23, 0x3b800000
	v_dual_cndmask_b32 v44, v44, v46 :: v_dual_and_b32 v43, 0x80000000, v43
	s_delay_alu instid0(VALU_DEP_1) | instskip(NEXT) | instid1(VALU_DEP_1)
	v_lshlrev_b32_e32 v44, 20, v44
	v_or3_b32 v44, v43, v45, v44
.LBB6_11048:                            ;   in Loop: Header=BB6_10858 Depth=3
	s_or_b32 exec_lo, exec_lo, s17
	v_and_b32_e32 v45, 0xff, v42
	s_mov_b32 s13, 0
	s_mov_b32 s31, exec_lo
                                        ; implicit-def: $sgpr17
	s_delay_alu instid0(VALU_DEP_1)
	v_cmpx_lt_i16_e32 0x7f, v45
	s_xor_b32 s31, exec_lo, s31
	s_cbranch_execnz .LBB6_12820
; %bb.11049:                            ;   in Loop: Header=BB6_10858 Depth=3
	s_or_saveexec_b32 s31, s31
	v_mov_b32_e32 v43, s17
	s_xor_b32 exec_lo, exec_lo, s31
	s_cbranch_execnz .LBB6_12823
.LBB6_11050:                            ;   in Loop: Header=BB6_10858 Depth=3
	s_or_b32 exec_lo, exec_lo, s31
	s_and_saveexec_b32 s17, s13
	s_cbranch_execz .LBB6_11052
.LBB6_11051:                            ;   in Loop: Header=BB6_10858 Depth=3
	v_bfe_u32 v43, v37, 16, 3
	v_bfe_u32 v47, v37, 19, 4
	s_delay_alu instid0(VALU_DEP_2) | instskip(NEXT) | instid1(VALU_DEP_2)
	v_clz_i32_u32_e32 v45, v43
	v_cmp_eq_u32_e32 vcc_lo, 0, v47
	s_delay_alu instid0(VALU_DEP_2) | instskip(NEXT) | instid1(VALU_DEP_1)
	v_min_u32_e32 v45, 32, v45
	v_subrev_nc_u32_e32 v46, 28, v45
	v_sub_nc_u32_e32 v45, 29, v45
	s_delay_alu instid0(VALU_DEP_1) | instskip(SKIP_1) | instid1(VALU_DEP_2)
	v_dual_cndmask_b32 v45, v47, v45 :: v_dual_lshlrev_b32 v46, v46, v42
	v_lshlrev_b32_e32 v42, 24, v42
	v_and_b32_e32 v46, 7, v46
	s_delay_alu instid0(VALU_DEP_3) | instskip(NEXT) | instid1(VALU_DEP_3)
	v_lshl_add_u32 v45, v45, 23, 0x3b800000
	v_and_b32_e32 v42, 0x80000000, v42
	s_delay_alu instid0(VALU_DEP_3) | instskip(NEXT) | instid1(VALU_DEP_1)
	v_cndmask_b32_e32 v43, v43, v46, vcc_lo
	v_lshlrev_b32_e32 v43, 20, v43
	s_delay_alu instid0(VALU_DEP_1)
	v_or3_b32 v43, v42, v45, v43
.LBB6_11052:                            ;   in Loop: Header=BB6_10858 Depth=3
	s_or_b32 exec_lo, exec_lo, s17
	s_delay_alu instid0(VALU_DEP_1) | instskip(NEXT) | instid1(VALU_DEP_1)
	v_dual_max_f32 v42, v43, v43 :: v_dual_max_f32 v43, v44, v44
	v_min_f32_e32 v44, v43, v42
.LBB6_11053:                            ;   in Loop: Header=BB6_10858 Depth=3
	s_delay_alu instid0(VALU_DEP_1) | instskip(NEXT) | instid1(VALU_DEP_1)
	v_and_b32_e32 v42, 0x7f800000, v44
	v_cmp_ne_u32_e32 vcc_lo, 0x7f800000, v42
	v_mov_b32_e32 v42, 0x80
	s_and_saveexec_b32 s17, vcc_lo
	s_cbranch_execz .LBB6_11061
; %bb.11054:                            ;   in Loop: Header=BB6_10858 Depth=3
	v_mov_b32_e32 v42, 0
	s_mov_b32 s31, exec_lo
	v_cmpx_ne_u32_e32 0, v44
	s_cbranch_execz .LBB6_11060
; %bb.11055:                            ;   in Loop: Header=BB6_10858 Depth=3
	v_bfe_u32 v42, v44, 23, 8
	v_and_b32_e32 v43, 0x7fffff, v44
	s_delay_alu instid0(VALU_DEP_2) | instskip(SKIP_1) | instid1(VALU_DEP_3)
	v_sub_nc_u32_e32 v45, 0x78, v42
	v_cmp_gt_u32_e32 vcc_lo, 0x79, v42
	v_or_b32_e32 v46, 0x800000, v43
	s_delay_alu instid0(VALU_DEP_3) | instskip(SKIP_2) | instid1(VALU_DEP_3)
	v_cndmask_b32_e32 v45, 0, v45, vcc_lo
	v_cmp_eq_u32_e32 vcc_lo, 0, v42
	v_add_nc_u32_e32 v42, 0xffffff89, v42
	v_cndmask_b32_e64 v45, v45, 0x77, vcc_lo
	v_cndmask_b32_e32 v43, v46, v43, vcc_lo
	s_delay_alu instid0(VALU_DEP_3) | instskip(NEXT) | instid1(VALU_DEP_3)
	v_cndmask_b32_e64 v42, v42, 0xffffff8a, vcc_lo
	v_lshl_add_u32 v46, 0x100000, v45, -1
	s_delay_alu instid0(VALU_DEP_3) | instskip(SKIP_1) | instid1(VALU_DEP_4)
	v_lshrrev_b32_e32 v47, v45, v43
	v_lshlrev_b32_e64 v57, v45, 0x80000
	v_add_nc_u32_e32 v45, v45, v42
	s_delay_alu instid0(VALU_DEP_4) | instskip(NEXT) | instid1(VALU_DEP_4)
	v_and_b32_e32 v43, v46, v43
	v_bfe_u32 v56, v47, 20, 1
	s_delay_alu instid0(VALU_DEP_2) | instskip(NEXT) | instid1(VALU_DEP_2)
	v_cmp_eq_u32_e64 s13, v43, v57
	v_add_nc_u32_e32 v46, -1, v56
	s_delay_alu instid0(VALU_DEP_1) | instskip(SKIP_2) | instid1(VALU_DEP_2)
	v_cndmask_b32_e64 v43, 0, v46, s13
	v_lshrrev_b32_e32 v46, 23, v47
	s_mov_b32 s13, exec_lo
	v_add_nc_u32_e32 v43, v43, v47
	s_delay_alu instid0(VALU_DEP_2) | instskip(NEXT) | instid1(VALU_DEP_2)
	v_xor_b32_e32 v46, 1, v46
	v_and_b32_e32 v42, 0xfffff, v43
	s_delay_alu instid0(VALU_DEP_1) | instskip(NEXT) | instid1(VALU_DEP_3)
	v_add_nc_u32_e32 v43, v42, v47
                                        ; implicit-def: $vgpr42
	v_cmpx_ne_u32_e64 v45, v46
	s_xor_b32 s13, exec_lo, s13
; %bb.11056:                            ;   in Loop: Header=BB6_10858 Depth=3
	s_delay_alu instid0(VALU_DEP_2) | instskip(SKIP_2) | instid1(VALU_DEP_2)
	v_cmp_lt_u32_e32 vcc_lo, 0xffffff, v43
	v_sub_nc_u32_e32 v42, v45, v46
	v_cndmask_b32_e64 v45, 0, 1, vcc_lo
	v_add_co_ci_u32_e32 v42, vcc_lo, 0, v42, vcc_lo
	s_delay_alu instid0(VALU_DEP_2)
	v_lshrrev_b32_e32 v43, v45, v43
; %bb.11057:                            ;   in Loop: Header=BB6_10858 Depth=3
	s_and_not1_saveexec_b32 s13, s13
; %bb.11058:                            ;   in Loop: Header=BB6_10858 Depth=3
	s_delay_alu instid0(VALU_DEP_1)
	v_bfe_u32 v42, v43, 23, 1
; %bb.11059:                            ;   in Loop: Header=BB6_10858 Depth=3
	s_or_b32 exec_lo, exec_lo, s13
	v_lshrrev_b32_e32 v43, 20, v43
	s_delay_alu instid0(VALU_DEP_2) | instskip(SKIP_2) | instid1(VALU_DEP_2)
	v_cmp_gt_i32_e32 vcc_lo, 16, v42
	v_lshrrev_b32_e32 v44, 24, v44
	v_min_i32_e32 v45, 15, v42
	v_dual_cndmask_b32 v43, 7, v43 :: v_dual_and_b32 v44, 0x80, v44
	s_delay_alu instid0(VALU_DEP_1) | instskip(SKIP_1) | instid1(VALU_DEP_2)
	v_or_b32_e32 v42, v42, v43
	v_and_b32_e32 v46, 7, v43
	v_cmp_ne_u32_e32 vcc_lo, 0, v42
	v_lshlrev_b32_e32 v45, 3, v45
	s_delay_alu instid0(VALU_DEP_1) | instskip(NEXT) | instid1(VALU_DEP_1)
	v_and_b32_e32 v45, 0xf8, v45
	v_or3_b32 v43, v45, v44, v46
	s_delay_alu instid0(VALU_DEP_1)
	v_cndmask_b32_e32 v42, 0, v43, vcc_lo
.LBB6_11060:                            ;   in Loop: Header=BB6_10858 Depth=3
	s_or_b32 exec_lo, exec_lo, s31
.LBB6_11061:                            ;   in Loop: Header=BB6_10858 Depth=3
	s_delay_alu instid0(SALU_CYCLE_1)
	s_or_b32 exec_lo, exec_lo, s17
	v_lshrrev_b32_e32 v44, 24, v49
	v_lshrrev_b32_e32 v43, 24, v37
	s_and_b32 vcc_lo, exec_lo, s16
	s_cbranch_vccz .LBB6_11071
; %bb.11062:                            ;   in Loop: Header=BB6_10858 Depth=3
	s_mov_b32 s13, 0
	s_mov_b32 s31, exec_lo
                                        ; implicit-def: $sgpr17
	v_cmpx_lt_i16_e32 0x7f, v44
	s_xor_b32 s31, exec_lo, s31
	s_cbranch_execnz .LBB6_12824
; %bb.11063:                            ;   in Loop: Header=BB6_10858 Depth=3
	s_or_saveexec_b32 s31, s31
	v_mov_b32_e32 v45, s17
	s_xor_b32 exec_lo, exec_lo, s31
	s_cbranch_execnz .LBB6_12827
.LBB6_11064:                            ;   in Loop: Header=BB6_10858 Depth=3
	s_or_b32 exec_lo, exec_lo, s31
	s_and_saveexec_b32 s17, s13
	s_cbranch_execz .LBB6_11066
.LBB6_11065:                            ;   in Loop: Header=BB6_10858 Depth=3
	v_bfe_u32 v45, v49, 24, 3
	v_bfe_u32 v56, v49, 27, 4
	s_delay_alu instid0(VALU_DEP_2) | instskip(NEXT) | instid1(VALU_DEP_2)
	v_clz_i32_u32_e32 v46, v45
	v_cmp_eq_u32_e32 vcc_lo, 0, v56
	s_delay_alu instid0(VALU_DEP_2) | instskip(NEXT) | instid1(VALU_DEP_1)
	v_min_u32_e32 v46, 32, v46
	v_subrev_nc_u32_e32 v47, 28, v46
	v_sub_nc_u32_e32 v46, 29, v46
	s_delay_alu instid0(VALU_DEP_1) | instskip(NEXT) | instid1(VALU_DEP_1)
	v_dual_cndmask_b32 v46, v56, v46 :: v_dual_lshlrev_b32 v47, v47, v44
	v_and_b32_e32 v47, 7, v47
	s_delay_alu instid0(VALU_DEP_2) | instskip(NEXT) | instid1(VALU_DEP_2)
	v_lshl_add_u32 v46, v46, 23, 0x3b800000
	v_cndmask_b32_e32 v45, v45, v47, vcc_lo
	v_and_b32_e32 v47, 0x80000000, v49
	s_delay_alu instid0(VALU_DEP_2) | instskip(NEXT) | instid1(VALU_DEP_1)
	v_lshlrev_b32_e32 v45, 20, v45
	v_or3_b32 v45, v47, v46, v45
.LBB6_11066:                            ;   in Loop: Header=BB6_10858 Depth=3
	s_or_b32 exec_lo, exec_lo, s17
	s_mov_b32 s13, 0
	s_mov_b32 s31, exec_lo
                                        ; implicit-def: $sgpr17
	v_cmpx_lt_i16_e32 0x7f, v43
	s_xor_b32 s31, exec_lo, s31
	s_cbranch_execnz .LBB6_12828
; %bb.11067:                            ;   in Loop: Header=BB6_10858 Depth=3
	s_or_saveexec_b32 s31, s31
	v_mov_b32_e32 v46, s17
	s_xor_b32 exec_lo, exec_lo, s31
	s_cbranch_execnz .LBB6_12831
.LBB6_11068:                            ;   in Loop: Header=BB6_10858 Depth=3
	s_or_b32 exec_lo, exec_lo, s31
	s_and_saveexec_b32 s17, s13
	s_cbranch_execz .LBB6_11070
.LBB6_11069:                            ;   in Loop: Header=BB6_10858 Depth=3
	v_bfe_u32 v46, v37, 24, 3
	v_bfe_u32 v57, v37, 27, 4
	s_delay_alu instid0(VALU_DEP_2) | instskip(NEXT) | instid1(VALU_DEP_2)
	v_clz_i32_u32_e32 v47, v46
	v_cmp_eq_u32_e32 vcc_lo, 0, v57
	s_delay_alu instid0(VALU_DEP_2) | instskip(NEXT) | instid1(VALU_DEP_1)
	v_min_u32_e32 v47, 32, v47
	v_subrev_nc_u32_e32 v56, 28, v47
	v_sub_nc_u32_e32 v47, 29, v47
	s_delay_alu instid0(VALU_DEP_2) | instskip(NEXT) | instid1(VALU_DEP_1)
	v_lshlrev_b32_e32 v56, v56, v43
	v_dual_cndmask_b32 v47, v57, v47 :: v_dual_and_b32 v56, 7, v56
	s_delay_alu instid0(VALU_DEP_1) | instskip(NEXT) | instid1(VALU_DEP_2)
	v_lshl_add_u32 v47, v47, 23, 0x3b800000
	v_cndmask_b32_e32 v46, v46, v56, vcc_lo
	v_and_b32_e32 v56, 0x80000000, v37
	s_delay_alu instid0(VALU_DEP_2) | instskip(NEXT) | instid1(VALU_DEP_1)
	v_lshlrev_b32_e32 v46, 20, v46
	v_or3_b32 v46, v56, v47, v46
.LBB6_11070:                            ;   in Loop: Header=BB6_10858 Depth=3
	s_or_b32 exec_lo, exec_lo, s17
	s_delay_alu instid0(VALU_DEP_1) | instskip(SKIP_1) | instid1(VALU_DEP_1)
	v_dual_max_f32 v46, v46, v46 :: v_dual_max_f32 v45, v45, v45
	s_mov_b32 s13, 0
	v_max_f32_e32 v45, v45, v46
	s_branch .LBB6_11072
.LBB6_11071:                            ;   in Loop: Header=BB6_10858 Depth=3
	s_mov_b32 s13, -1
                                        ; implicit-def: $vgpr45
.LBB6_11072:                            ;   in Loop: Header=BB6_10858 Depth=3
	s_delay_alu instid0(SALU_CYCLE_1)
	s_and_b32 vcc_lo, exec_lo, s13
	s_cbranch_vccz .LBB6_11082
; %bb.11073:                            ;   in Loop: Header=BB6_10858 Depth=3
	s_mov_b32 s13, 0
	s_mov_b32 s31, exec_lo
                                        ; implicit-def: $sgpr17
	v_cmpx_lt_i16_e32 0x7f, v44
	s_xor_b32 s31, exec_lo, s31
	s_cbranch_execnz .LBB6_12832
; %bb.11074:                            ;   in Loop: Header=BB6_10858 Depth=3
	s_or_saveexec_b32 s31, s31
	v_mov_b32_e32 v45, s17
	s_xor_b32 exec_lo, exec_lo, s31
	s_cbranch_execnz .LBB6_12835
.LBB6_11075:                            ;   in Loop: Header=BB6_10858 Depth=3
	s_or_b32 exec_lo, exec_lo, s31
	s_and_saveexec_b32 s17, s13
	s_cbranch_execz .LBB6_11077
.LBB6_11076:                            ;   in Loop: Header=BB6_10858 Depth=3
	v_bfe_u32 v45, v49, 24, 3
	s_delay_alu instid0(VALU_DEP_1) | instskip(NEXT) | instid1(VALU_DEP_1)
	v_clz_i32_u32_e32 v46, v45
	v_min_u32_e32 v46, 32, v46
	s_delay_alu instid0(VALU_DEP_1) | instskip(SKIP_1) | instid1(VALU_DEP_2)
	v_subrev_nc_u32_e32 v47, 28, v46
	v_sub_nc_u32_e32 v46, 29, v46
	v_lshlrev_b32_e32 v44, v47, v44
	v_bfe_u32 v47, v49, 27, 4
	v_and_b32_e32 v49, 0x80000000, v49
	s_delay_alu instid0(VALU_DEP_3) | instskip(NEXT) | instid1(VALU_DEP_3)
	v_and_b32_e32 v44, 7, v44
	v_cmp_eq_u32_e32 vcc_lo, 0, v47
	v_cndmask_b32_e32 v46, v47, v46, vcc_lo
	s_delay_alu instid0(VALU_DEP_3) | instskip(NEXT) | instid1(VALU_DEP_2)
	v_cndmask_b32_e32 v44, v45, v44, vcc_lo
	v_lshl_add_u32 v45, v46, 23, 0x3b800000
	s_delay_alu instid0(VALU_DEP_2) | instskip(NEXT) | instid1(VALU_DEP_1)
	v_lshlrev_b32_e32 v44, 20, v44
	v_or3_b32 v45, v49, v45, v44
.LBB6_11077:                            ;   in Loop: Header=BB6_10858 Depth=3
	s_or_b32 exec_lo, exec_lo, s17
	s_mov_b32 s13, 0
	s_mov_b32 s31, exec_lo
                                        ; implicit-def: $sgpr17
	v_cmpx_lt_i16_e32 0x7f, v43
	s_xor_b32 s31, exec_lo, s31
	s_cbranch_execnz .LBB6_12836
; %bb.11078:                            ;   in Loop: Header=BB6_10858 Depth=3
	s_or_saveexec_b32 s31, s31
	v_mov_b32_e32 v49, s17
	s_xor_b32 exec_lo, exec_lo, s31
	s_cbranch_execnz .LBB6_12839
.LBB6_11079:                            ;   in Loop: Header=BB6_10858 Depth=3
	s_or_b32 exec_lo, exec_lo, s31
	s_and_saveexec_b32 s17, s13
	s_cbranch_execz .LBB6_11081
.LBB6_11080:                            ;   in Loop: Header=BB6_10858 Depth=3
	v_bfe_u32 v49, v37, 24, 3
	s_delay_alu instid0(VALU_DEP_1) | instskip(NEXT) | instid1(VALU_DEP_1)
	v_clz_i32_u32_e32 v44, v49
	v_min_u32_e32 v44, 32, v44
	s_delay_alu instid0(VALU_DEP_1) | instskip(SKIP_1) | instid1(VALU_DEP_2)
	v_subrev_nc_u32_e32 v46, 28, v44
	v_sub_nc_u32_e32 v44, 29, v44
	v_lshlrev_b32_e32 v43, v46, v43
	v_bfe_u32 v46, v37, 27, 4
	v_and_b32_e32 v37, 0x80000000, v37
	s_delay_alu instid0(VALU_DEP_2) | instskip(NEXT) | instid1(VALU_DEP_4)
	v_cmp_eq_u32_e32 vcc_lo, 0, v46
	v_dual_cndmask_b32 v44, v46, v44 :: v_dual_and_b32 v43, 7, v43
	s_delay_alu instid0(VALU_DEP_1) | instskip(NEXT) | instid1(VALU_DEP_2)
	v_cndmask_b32_e32 v49, v49, v43, vcc_lo
	v_lshl_add_u32 v43, v44, 23, 0x3b800000
	s_delay_alu instid0(VALU_DEP_2) | instskip(NEXT) | instid1(VALU_DEP_1)
	v_lshlrev_b32_e32 v49, 20, v49
	v_or3_b32 v49, v37, v43, v49
.LBB6_11081:                            ;   in Loop: Header=BB6_10858 Depth=3
	s_or_b32 exec_lo, exec_lo, s17
	s_delay_alu instid0(VALU_DEP_1) | instskip(SKIP_1) | instid1(VALU_DEP_1)
	v_max_f32_e32 v37, v49, v49
	v_max_f32_e32 v49, v45, v45
	v_min_f32_e32 v45, v49, v37
.LBB6_11082:                            ;   in Loop: Header=BB6_10858 Depth=3
	s_delay_alu instid0(VALU_DEP_1) | instskip(NEXT) | instid1(VALU_DEP_1)
	v_and_b32_e32 v37, 0x7f800000, v45
	v_cmp_ne_u32_e32 vcc_lo, 0x7f800000, v37
	v_mov_b32_e32 v37, 0x8000
	s_and_saveexec_b32 s17, vcc_lo
	s_cbranch_execz .LBB6_11090
; %bb.11083:                            ;   in Loop: Header=BB6_10858 Depth=3
	v_mov_b32_e32 v37, 0
	s_mov_b32 s31, exec_lo
	v_cmpx_ne_u32_e32 0, v45
	s_cbranch_execz .LBB6_11089
; %bb.11084:                            ;   in Loop: Header=BB6_10858 Depth=3
	v_bfe_u32 v37, v45, 23, 8
	v_and_b32_e32 v49, 0x7fffff, v45
	s_delay_alu instid0(VALU_DEP_2) | instskip(SKIP_1) | instid1(VALU_DEP_3)
	v_sub_nc_u32_e32 v43, 0x78, v37
	v_cmp_gt_u32_e32 vcc_lo, 0x79, v37
	v_or_b32_e32 v44, 0x800000, v49
	s_delay_alu instid0(VALU_DEP_3) | instskip(SKIP_2) | instid1(VALU_DEP_3)
	v_cndmask_b32_e32 v43, 0, v43, vcc_lo
	v_cmp_eq_u32_e32 vcc_lo, 0, v37
	v_add_nc_u32_e32 v37, 0xffffff89, v37
	v_cndmask_b32_e64 v43, v43, 0x77, vcc_lo
	v_cndmask_b32_e32 v49, v44, v49, vcc_lo
	s_delay_alu instid0(VALU_DEP_3) | instskip(NEXT) | instid1(VALU_DEP_3)
	v_cndmask_b32_e64 v37, v37, 0xffffff8a, vcc_lo
	v_lshl_add_u32 v44, 0x100000, v43, -1
	s_delay_alu instid0(VALU_DEP_3) | instskip(SKIP_1) | instid1(VALU_DEP_4)
	v_lshrrev_b32_e32 v46, v43, v49
	v_lshlrev_b32_e64 v56, v43, 0x80000
	v_add_nc_u32_e32 v43, v43, v37
	s_delay_alu instid0(VALU_DEP_4) | instskip(NEXT) | instid1(VALU_DEP_4)
	v_and_b32_e32 v49, v44, v49
	v_bfe_u32 v47, v46, 20, 1
	s_delay_alu instid0(VALU_DEP_2) | instskip(NEXT) | instid1(VALU_DEP_2)
	v_cmp_eq_u32_e64 s13, v49, v56
	v_add_nc_u32_e32 v44, -1, v47
	s_delay_alu instid0(VALU_DEP_1) | instskip(SKIP_2) | instid1(VALU_DEP_2)
	v_cndmask_b32_e64 v49, 0, v44, s13
	v_lshrrev_b32_e32 v44, 23, v46
	s_mov_b32 s13, exec_lo
	v_add_nc_u32_e32 v49, v49, v46
	s_delay_alu instid0(VALU_DEP_2) | instskip(NEXT) | instid1(VALU_DEP_2)
	v_xor_b32_e32 v44, 1, v44
	v_and_b32_e32 v37, 0xfffff, v49
	s_delay_alu instid0(VALU_DEP_1) | instskip(NEXT) | instid1(VALU_DEP_3)
	v_add_nc_u32_e32 v49, v37, v46
                                        ; implicit-def: $vgpr37
	v_cmpx_ne_u32_e64 v43, v44
	s_xor_b32 s13, exec_lo, s13
; %bb.11085:                            ;   in Loop: Header=BB6_10858 Depth=3
	s_delay_alu instid0(VALU_DEP_2) | instskip(SKIP_2) | instid1(VALU_DEP_2)
	v_cmp_lt_u32_e32 vcc_lo, 0xffffff, v49
	v_sub_nc_u32_e32 v37, v43, v44
	v_cndmask_b32_e64 v43, 0, 1, vcc_lo
	v_add_co_ci_u32_e32 v37, vcc_lo, 0, v37, vcc_lo
	s_delay_alu instid0(VALU_DEP_2)
	v_lshrrev_b32_e32 v49, v43, v49
; %bb.11086:                            ;   in Loop: Header=BB6_10858 Depth=3
	s_and_not1_saveexec_b32 s13, s13
; %bb.11087:                            ;   in Loop: Header=BB6_10858 Depth=3
	s_delay_alu instid0(VALU_DEP_1)
	v_bfe_u32 v37, v49, 23, 1
; %bb.11088:                            ;   in Loop: Header=BB6_10858 Depth=3
	s_or_b32 exec_lo, exec_lo, s13
	v_lshrrev_b32_e32 v49, 20, v49
	s_delay_alu instid0(VALU_DEP_2) | instskip(SKIP_2) | instid1(VALU_DEP_3)
	v_min_i32_e32 v43, 15, v37
	v_cmp_gt_i32_e32 vcc_lo, 16, v37
	v_lshrrev_b32_e32 v44, 24, v45
	v_lshlrev_b32_e32 v43, 3, v43
	s_delay_alu instid0(VALU_DEP_2) | instskip(NEXT) | instid1(VALU_DEP_2)
	v_dual_cndmask_b32 v49, 7, v49 :: v_dual_and_b32 v44, 0x80, v44
	v_and_b32_e32 v43, 0xf8, v43
	s_delay_alu instid0(VALU_DEP_2) | instskip(SKIP_1) | instid1(VALU_DEP_2)
	v_and_b32_e32 v45, 7, v49
	v_or_b32_e32 v37, v37, v49
	v_or3_b32 v43, v44, v43, v45
	s_delay_alu instid0(VALU_DEP_2) | instskip(NEXT) | instid1(VALU_DEP_2)
	v_cmp_ne_u32_e32 vcc_lo, 0, v37
	v_lshlrev_b32_e32 v49, 8, v43
	s_delay_alu instid0(VALU_DEP_1)
	v_cndmask_b32_e32 v37, 0, v49, vcc_lo
.LBB6_11089:                            ;   in Loop: Header=BB6_10858 Depth=3
	s_or_b32 exec_lo, exec_lo, s31
.LBB6_11090:                            ;   in Loop: Header=BB6_10858 Depth=3
	s_delay_alu instid0(SALU_CYCLE_1) | instskip(NEXT) | instid1(SALU_CYCLE_1)
	s_or_b32 exec_lo, exec_lo, s17
	s_and_b32 vcc_lo, exec_lo, s16
	s_cbranch_vccz .LBB6_11100
; %bb.11091:                            ;   in Loop: Header=BB6_10858 Depth=3
	v_and_b32_e32 v43, 0xff, v50
	s_mov_b32 s13, 0
	s_mov_b32 s31, exec_lo
                                        ; implicit-def: $sgpr17
	s_delay_alu instid0(VALU_DEP_1)
	v_cmpx_lt_i16_e32 0x7f, v43
	s_xor_b32 s31, exec_lo, s31
	s_cbranch_execnz .LBB6_12840
; %bb.11092:                            ;   in Loop: Header=BB6_10858 Depth=3
	s_or_saveexec_b32 s31, s31
	v_mov_b32_e32 v49, s17
	s_xor_b32 exec_lo, exec_lo, s31
	s_cbranch_execnz .LBB6_12843
.LBB6_11093:                            ;   in Loop: Header=BB6_10858 Depth=3
	s_or_b32 exec_lo, exec_lo, s31
	s_and_saveexec_b32 s17, s13
	s_cbranch_execz .LBB6_11095
.LBB6_11094:                            ;   in Loop: Header=BB6_10858 Depth=3
	v_and_b32_e32 v49, 7, v50
	v_bfe_u32 v45, v50, 3, 4
	s_delay_alu instid0(VALU_DEP_2) | instskip(NEXT) | instid1(VALU_DEP_2)
	v_clz_i32_u32_e32 v43, v49
	v_cmp_eq_u32_e32 vcc_lo, 0, v45
	s_delay_alu instid0(VALU_DEP_2) | instskip(NEXT) | instid1(VALU_DEP_1)
	v_min_u32_e32 v43, 32, v43
	v_subrev_nc_u32_e32 v44, 28, v43
	v_sub_nc_u32_e32 v43, 29, v43
	s_delay_alu instid0(VALU_DEP_1) | instskip(NEXT) | instid1(VALU_DEP_1)
	v_dual_cndmask_b32 v43, v45, v43 :: v_dual_lshlrev_b32 v44, v44, v50
	v_and_b32_e32 v44, 7, v44
	v_lshlrev_b32_e32 v46, 24, v50
	s_delay_alu instid0(VALU_DEP_3) | instskip(NEXT) | instid1(VALU_DEP_2)
	v_lshl_add_u32 v43, v43, 23, 0x3b800000
	v_dual_cndmask_b32 v49, v49, v44 :: v_dual_and_b32 v44, 0x80000000, v46
	s_delay_alu instid0(VALU_DEP_1) | instskip(NEXT) | instid1(VALU_DEP_1)
	v_lshlrev_b32_e32 v49, 20, v49
	v_or3_b32 v49, v44, v43, v49
.LBB6_11095:                            ;   in Loop: Header=BB6_10858 Depth=3
	s_or_b32 exec_lo, exec_lo, s17
	v_and_b32_e32 v44, 0xff, v38
	s_mov_b32 s13, 0
	s_mov_b32 s31, exec_lo
                                        ; implicit-def: $sgpr17
	s_delay_alu instid0(VALU_DEP_1)
	v_cmpx_lt_i16_e32 0x7f, v44
	s_xor_b32 s31, exec_lo, s31
	s_cbranch_execnz .LBB6_12844
; %bb.11096:                            ;   in Loop: Header=BB6_10858 Depth=3
	s_or_saveexec_b32 s31, s31
	v_mov_b32_e32 v43, s17
	s_xor_b32 exec_lo, exec_lo, s31
	s_cbranch_execnz .LBB6_12847
.LBB6_11097:                            ;   in Loop: Header=BB6_10858 Depth=3
	s_or_b32 exec_lo, exec_lo, s31
	s_and_saveexec_b32 s17, s13
	s_cbranch_execz .LBB6_11099
.LBB6_11098:                            ;   in Loop: Header=BB6_10858 Depth=3
	v_bfe_u32 v46, v38, 3, 4
	v_lshlrev_b32_e32 v47, 24, v38
	s_delay_alu instid0(VALU_DEP_2) | instskip(SKIP_1) | instid1(VALU_DEP_1)
	v_cmp_eq_u32_e32 vcc_lo, 0, v46
	v_and_b32_e32 v43, 7, v38
	v_clz_i32_u32_e32 v44, v43
	s_delay_alu instid0(VALU_DEP_1) | instskip(NEXT) | instid1(VALU_DEP_1)
	v_min_u32_e32 v44, 32, v44
	v_subrev_nc_u32_e32 v45, 28, v44
	v_sub_nc_u32_e32 v44, 29, v44
	s_delay_alu instid0(VALU_DEP_1) | instskip(NEXT) | instid1(VALU_DEP_1)
	v_dual_cndmask_b32 v44, v46, v44 :: v_dual_lshlrev_b32 v45, v45, v38
	v_and_b32_e32 v45, 7, v45
	s_delay_alu instid0(VALU_DEP_2) | instskip(NEXT) | instid1(VALU_DEP_2)
	v_lshl_add_u32 v44, v44, 23, 0x3b800000
	v_cndmask_b32_e32 v43, v43, v45, vcc_lo
	v_and_b32_e32 v45, 0x80000000, v47
	s_delay_alu instid0(VALU_DEP_2) | instskip(NEXT) | instid1(VALU_DEP_1)
	v_lshlrev_b32_e32 v43, 20, v43
	v_or3_b32 v43, v45, v44, v43
.LBB6_11099:                            ;   in Loop: Header=BB6_10858 Depth=3
	s_or_b32 exec_lo, exec_lo, s17
	s_delay_alu instid0(VALU_DEP_1) | instskip(SKIP_2) | instid1(VALU_DEP_1)
	v_max_f32_e32 v43, v43, v43
	v_max_f32_e32 v49, v49, v49
	s_mov_b32 s13, 0
	v_max_f32_e32 v43, v49, v43
	s_branch .LBB6_11101
.LBB6_11100:                            ;   in Loop: Header=BB6_10858 Depth=3
	s_mov_b32 s13, -1
                                        ; implicit-def: $vgpr43
.LBB6_11101:                            ;   in Loop: Header=BB6_10858 Depth=3
	s_delay_alu instid0(SALU_CYCLE_1)
	s_and_b32 vcc_lo, exec_lo, s13
	s_cbranch_vccz .LBB6_11111
; %bb.11102:                            ;   in Loop: Header=BB6_10858 Depth=3
	v_and_b32_e32 v43, 0xff, v50
	s_mov_b32 s13, 0
	s_mov_b32 s31, exec_lo
                                        ; implicit-def: $sgpr17
	s_delay_alu instid0(VALU_DEP_1)
	v_cmpx_lt_i16_e32 0x7f, v43
	s_xor_b32 s31, exec_lo, s31
	s_cbranch_execnz .LBB6_12848
; %bb.11103:                            ;   in Loop: Header=BB6_10858 Depth=3
	s_or_saveexec_b32 s31, s31
	v_mov_b32_e32 v49, s17
	s_xor_b32 exec_lo, exec_lo, s31
	s_cbranch_execnz .LBB6_12851
.LBB6_11104:                            ;   in Loop: Header=BB6_10858 Depth=3
	s_or_b32 exec_lo, exec_lo, s31
	s_and_saveexec_b32 s17, s13
	s_cbranch_execz .LBB6_11106
.LBB6_11105:                            ;   in Loop: Header=BB6_10858 Depth=3
	v_and_b32_e32 v49, 7, v50
	v_bfe_u32 v45, v50, 3, 4
	s_delay_alu instid0(VALU_DEP_2) | instskip(NEXT) | instid1(VALU_DEP_2)
	v_clz_i32_u32_e32 v43, v49
	v_cmp_eq_u32_e32 vcc_lo, 0, v45
	s_delay_alu instid0(VALU_DEP_2) | instskip(NEXT) | instid1(VALU_DEP_1)
	v_min_u32_e32 v43, 32, v43
	v_subrev_nc_u32_e32 v44, 28, v43
	v_sub_nc_u32_e32 v43, 29, v43
	s_delay_alu instid0(VALU_DEP_1) | instskip(NEXT) | instid1(VALU_DEP_1)
	v_dual_cndmask_b32 v43, v45, v43 :: v_dual_lshlrev_b32 v44, v44, v50
	v_and_b32_e32 v44, 7, v44
	v_lshlrev_b32_e32 v46, 24, v50
	s_delay_alu instid0(VALU_DEP_3) | instskip(NEXT) | instid1(VALU_DEP_2)
	v_lshl_add_u32 v43, v43, 23, 0x3b800000
	v_dual_cndmask_b32 v49, v49, v44 :: v_dual_and_b32 v44, 0x80000000, v46
	s_delay_alu instid0(VALU_DEP_1) | instskip(NEXT) | instid1(VALU_DEP_1)
	v_lshlrev_b32_e32 v49, 20, v49
	v_or3_b32 v49, v44, v43, v49
.LBB6_11106:                            ;   in Loop: Header=BB6_10858 Depth=3
	s_or_b32 exec_lo, exec_lo, s17
	v_and_b32_e32 v44, 0xff, v38
	s_mov_b32 s13, 0
	s_mov_b32 s31, exec_lo
                                        ; implicit-def: $sgpr17
	s_delay_alu instid0(VALU_DEP_1)
	v_cmpx_lt_i16_e32 0x7f, v44
	s_xor_b32 s31, exec_lo, s31
	s_cbranch_execnz .LBB6_12852
; %bb.11107:                            ;   in Loop: Header=BB6_10858 Depth=3
	s_or_saveexec_b32 s31, s31
	v_mov_b32_e32 v43, s17
	s_xor_b32 exec_lo, exec_lo, s31
	s_cbranch_execnz .LBB6_12855
.LBB6_11108:                            ;   in Loop: Header=BB6_10858 Depth=3
	s_or_b32 exec_lo, exec_lo, s31
	s_and_saveexec_b32 s17, s13
	s_cbranch_execz .LBB6_11110
.LBB6_11109:                            ;   in Loop: Header=BB6_10858 Depth=3
	v_bfe_u32 v46, v38, 3, 4
	v_lshlrev_b32_e32 v47, 24, v38
	s_delay_alu instid0(VALU_DEP_2) | instskip(SKIP_1) | instid1(VALU_DEP_1)
	v_cmp_eq_u32_e32 vcc_lo, 0, v46
	v_and_b32_e32 v43, 7, v38
	v_clz_i32_u32_e32 v44, v43
	s_delay_alu instid0(VALU_DEP_1) | instskip(NEXT) | instid1(VALU_DEP_1)
	v_min_u32_e32 v44, 32, v44
	v_subrev_nc_u32_e32 v45, 28, v44
	v_sub_nc_u32_e32 v44, 29, v44
	s_delay_alu instid0(VALU_DEP_1) | instskip(NEXT) | instid1(VALU_DEP_1)
	v_dual_cndmask_b32 v44, v46, v44 :: v_dual_lshlrev_b32 v45, v45, v38
	v_and_b32_e32 v45, 7, v45
	s_delay_alu instid0(VALU_DEP_2) | instskip(NEXT) | instid1(VALU_DEP_2)
	v_lshl_add_u32 v44, v44, 23, 0x3b800000
	v_cndmask_b32_e32 v43, v43, v45, vcc_lo
	v_and_b32_e32 v45, 0x80000000, v47
	s_delay_alu instid0(VALU_DEP_2) | instskip(NEXT) | instid1(VALU_DEP_1)
	v_lshlrev_b32_e32 v43, 20, v43
	v_or3_b32 v43, v45, v44, v43
.LBB6_11110:                            ;   in Loop: Header=BB6_10858 Depth=3
	s_or_b32 exec_lo, exec_lo, s17
	s_delay_alu instid0(VALU_DEP_1) | instskip(SKIP_1) | instid1(VALU_DEP_1)
	v_max_f32_e32 v43, v43, v43
	v_max_f32_e32 v49, v49, v49
	v_min_f32_e32 v43, v49, v43
.LBB6_11111:                            ;   in Loop: Header=BB6_10858 Depth=3
	s_delay_alu instid0(VALU_DEP_1) | instskip(NEXT) | instid1(VALU_DEP_1)
	v_and_b32_e32 v49, 0x7f800000, v43
	v_cmp_ne_u32_e32 vcc_lo, 0x7f800000, v49
	v_mov_b32_e32 v49, 0x80
	s_and_saveexec_b32 s17, vcc_lo
	s_cbranch_execz .LBB6_11119
; %bb.11112:                            ;   in Loop: Header=BB6_10858 Depth=3
	v_mov_b32_e32 v49, 0
	s_mov_b32 s31, exec_lo
	v_cmpx_ne_u32_e32 0, v43
	s_cbranch_execz .LBB6_11118
; %bb.11113:                            ;   in Loop: Header=BB6_10858 Depth=3
	v_bfe_u32 v49, v43, 23, 8
	s_delay_alu instid0(VALU_DEP_1) | instskip(SKIP_1) | instid1(VALU_DEP_2)
	v_sub_nc_u32_e32 v45, 0x78, v49
	v_cmp_gt_u32_e32 vcc_lo, 0x79, v49
	v_dual_cndmask_b32 v45, 0, v45 :: v_dual_and_b32 v44, 0x7fffff, v43
	s_delay_alu instid0(VALU_DEP_1) | instskip(SKIP_2) | instid1(VALU_DEP_4)
	v_or_b32_e32 v46, 0x800000, v44
	v_cmp_eq_u32_e32 vcc_lo, 0, v49
	v_add_nc_u32_e32 v49, 0xffffff89, v49
	v_cndmask_b32_e64 v45, v45, 0x77, vcc_lo
	s_delay_alu instid0(VALU_DEP_4) | instskip(NEXT) | instid1(VALU_DEP_3)
	v_cndmask_b32_e32 v44, v46, v44, vcc_lo
	v_cndmask_b32_e64 v49, v49, 0xffffff8a, vcc_lo
	s_delay_alu instid0(VALU_DEP_3) | instskip(NEXT) | instid1(VALU_DEP_3)
	v_lshl_add_u32 v46, 0x100000, v45, -1
	v_lshrrev_b32_e32 v47, v45, v44
	v_lshlrev_b32_e64 v57, v45, 0x80000
	s_delay_alu instid0(VALU_DEP_4) | instskip(NEXT) | instid1(VALU_DEP_4)
	v_add_nc_u32_e32 v45, v45, v49
	v_and_b32_e32 v44, v46, v44
	s_delay_alu instid0(VALU_DEP_4) | instskip(NEXT) | instid1(VALU_DEP_2)
	v_bfe_u32 v56, v47, 20, 1
	v_cmp_eq_u32_e64 s13, v44, v57
	s_delay_alu instid0(VALU_DEP_2) | instskip(NEXT) | instid1(VALU_DEP_1)
	v_add_nc_u32_e32 v46, -1, v56
	v_cndmask_b32_e64 v44, 0, v46, s13
	v_lshrrev_b32_e32 v46, 23, v47
	s_mov_b32 s13, exec_lo
	s_delay_alu instid0(VALU_DEP_2) | instskip(NEXT) | instid1(VALU_DEP_2)
	v_add_nc_u32_e32 v44, v44, v47
	v_xor_b32_e32 v46, 1, v46
	s_delay_alu instid0(VALU_DEP_2) | instskip(NEXT) | instid1(VALU_DEP_1)
	v_and_b32_e32 v49, 0xfffff, v44
	v_add_nc_u32_e32 v44, v49, v47
                                        ; implicit-def: $vgpr49
	s_delay_alu instid0(VALU_DEP_3)
	v_cmpx_ne_u32_e64 v45, v46
	s_xor_b32 s13, exec_lo, s13
; %bb.11114:                            ;   in Loop: Header=BB6_10858 Depth=3
	s_delay_alu instid0(VALU_DEP_2) | instskip(SKIP_2) | instid1(VALU_DEP_2)
	v_cmp_lt_u32_e32 vcc_lo, 0xffffff, v44
	v_sub_nc_u32_e32 v49, v45, v46
	v_cndmask_b32_e64 v45, 0, 1, vcc_lo
	v_add_co_ci_u32_e32 v49, vcc_lo, 0, v49, vcc_lo
	s_delay_alu instid0(VALU_DEP_2)
	v_lshrrev_b32_e32 v44, v45, v44
; %bb.11115:                            ;   in Loop: Header=BB6_10858 Depth=3
	s_and_not1_saveexec_b32 s13, s13
; %bb.11116:                            ;   in Loop: Header=BB6_10858 Depth=3
	s_delay_alu instid0(VALU_DEP_1)
	v_bfe_u32 v49, v44, 23, 1
; %bb.11117:                            ;   in Loop: Header=BB6_10858 Depth=3
	s_or_b32 exec_lo, exec_lo, s13
	v_lshrrev_b32_e32 v44, 20, v44
	s_delay_alu instid0(VALU_DEP_2) | instskip(SKIP_2) | instid1(VALU_DEP_2)
	v_cmp_gt_i32_e32 vcc_lo, 16, v49
	v_lshrrev_b32_e32 v43, 24, v43
	v_min_i32_e32 v45, 15, v49
	v_dual_cndmask_b32 v44, 7, v44 :: v_dual_and_b32 v43, 0x80, v43
	s_delay_alu instid0(VALU_DEP_2) | instskip(NEXT) | instid1(VALU_DEP_2)
	v_lshlrev_b32_e32 v45, 3, v45
	v_or_b32_e32 v49, v49, v44
	s_delay_alu instid0(VALU_DEP_1) | instskip(SKIP_1) | instid1(VALU_DEP_1)
	v_cmp_ne_u32_e32 vcc_lo, 0, v49
	v_and_b32_e32 v46, 7, v44
	v_or3_b32 v43, v45, v43, v46
	s_delay_alu instid0(VALU_DEP_1)
	v_cndmask_b32_e32 v49, 0, v43, vcc_lo
.LBB6_11118:                            ;   in Loop: Header=BB6_10858 Depth=3
	s_or_b32 exec_lo, exec_lo, s31
.LBB6_11119:                            ;   in Loop: Header=BB6_10858 Depth=3
	s_delay_alu instid0(SALU_CYCLE_1)
	s_or_b32 exec_lo, exec_lo, s17
	v_lshrrev_b16 v44, 8, v50
	v_lshrrev_b16 v43, 8, v38
	s_and_b32 vcc_lo, exec_lo, s16
	s_cbranch_vccz .LBB6_11129
; %bb.11120:                            ;   in Loop: Header=BB6_10858 Depth=3
	s_mov_b32 s13, 0
	s_mov_b32 s31, exec_lo
                                        ; implicit-def: $sgpr17
	v_cmpx_lt_i16_e32 0x7f, v44
	s_xor_b32 s31, exec_lo, s31
	s_cbranch_execnz .LBB6_12856
; %bb.11121:                            ;   in Loop: Header=BB6_10858 Depth=3
	s_or_saveexec_b32 s31, s31
	v_mov_b32_e32 v45, s17
	s_xor_b32 exec_lo, exec_lo, s31
	s_cbranch_execnz .LBB6_12859
.LBB6_11122:                            ;   in Loop: Header=BB6_10858 Depth=3
	s_or_b32 exec_lo, exec_lo, s31
	s_and_saveexec_b32 s17, s13
	s_cbranch_execz .LBB6_11124
.LBB6_11123:                            ;   in Loop: Header=BB6_10858 Depth=3
	v_and_b32_e32 v45, 0xffff, v44
	s_delay_alu instid0(VALU_DEP_1) | instskip(NEXT) | instid1(VALU_DEP_1)
	v_and_b32_e32 v46, 7, v45
	v_clz_i32_u32_e32 v47, v46
	s_delay_alu instid0(VALU_DEP_1) | instskip(NEXT) | instid1(VALU_DEP_1)
	v_min_u32_e32 v47, 32, v47
	v_subrev_nc_u32_e32 v56, 28, v47
	v_sub_nc_u32_e32 v47, 29, v47
	s_delay_alu instid0(VALU_DEP_2) | instskip(SKIP_1) | instid1(VALU_DEP_2)
	v_lshlrev_b32_e32 v56, v56, v45
	v_bfe_u32 v45, v45, 3, 4
	v_and_b32_e32 v56, 7, v56
	s_delay_alu instid0(VALU_DEP_2) | instskip(SKIP_1) | instid1(VALU_DEP_3)
	v_cmp_eq_u32_e32 vcc_lo, 0, v45
	v_cndmask_b32_e32 v45, v45, v47, vcc_lo
	v_dual_cndmask_b32 v46, v46, v56 :: v_dual_lshlrev_b32 v57, 16, v50
	s_delay_alu instid0(VALU_DEP_2) | instskip(NEXT) | instid1(VALU_DEP_2)
	v_lshl_add_u32 v45, v45, 23, 0x3b800000
	v_and_b32_e32 v47, 0x80000000, v57
	s_delay_alu instid0(VALU_DEP_3) | instskip(NEXT) | instid1(VALU_DEP_1)
	v_lshlrev_b32_e32 v46, 20, v46
	v_or3_b32 v45, v47, v45, v46
.LBB6_11124:                            ;   in Loop: Header=BB6_10858 Depth=3
	s_or_b32 exec_lo, exec_lo, s17
	s_mov_b32 s13, 0
	s_mov_b32 s31, exec_lo
                                        ; implicit-def: $sgpr17
	v_cmpx_lt_i16_e32 0x7f, v43
	s_xor_b32 s31, exec_lo, s31
	s_cbranch_execnz .LBB6_12860
; %bb.11125:                            ;   in Loop: Header=BB6_10858 Depth=3
	s_or_saveexec_b32 s31, s31
	v_mov_b32_e32 v46, s17
	s_xor_b32 exec_lo, exec_lo, s31
	s_cbranch_execnz .LBB6_12863
.LBB6_11126:                            ;   in Loop: Header=BB6_10858 Depth=3
	s_or_b32 exec_lo, exec_lo, s31
	s_and_saveexec_b32 s17, s13
	s_cbranch_execz .LBB6_11128
.LBB6_11127:                            ;   in Loop: Header=BB6_10858 Depth=3
	v_and_b32_e32 v46, 0xffff, v43
	v_lshlrev_b32_e32 v58, 16, v38
	s_delay_alu instid0(VALU_DEP_2) | instskip(NEXT) | instid1(VALU_DEP_1)
	v_and_b32_e32 v47, 7, v46
	v_clz_i32_u32_e32 v56, v47
	s_delay_alu instid0(VALU_DEP_1) | instskip(NEXT) | instid1(VALU_DEP_1)
	v_min_u32_e32 v56, 32, v56
	v_subrev_nc_u32_e32 v57, 28, v56
	v_sub_nc_u32_e32 v56, 29, v56
	s_delay_alu instid0(VALU_DEP_2) | instskip(SKIP_1) | instid1(VALU_DEP_2)
	v_lshlrev_b32_e32 v57, v57, v46
	v_bfe_u32 v46, v46, 3, 4
	v_and_b32_e32 v57, 7, v57
	s_delay_alu instid0(VALU_DEP_2) | instskip(NEXT) | instid1(VALU_DEP_2)
	v_cmp_eq_u32_e32 vcc_lo, 0, v46
	v_dual_cndmask_b32 v46, v46, v56 :: v_dual_cndmask_b32 v47, v47, v57
	v_and_b32_e32 v56, 0x80000000, v58
	s_delay_alu instid0(VALU_DEP_2) | instskip(NEXT) | instid1(VALU_DEP_3)
	v_lshl_add_u32 v46, v46, 23, 0x3b800000
	v_lshlrev_b32_e32 v47, 20, v47
	s_delay_alu instid0(VALU_DEP_1)
	v_or3_b32 v46, v56, v46, v47
.LBB6_11128:                            ;   in Loop: Header=BB6_10858 Depth=3
	s_or_b32 exec_lo, exec_lo, s17
	s_delay_alu instid0(VALU_DEP_1) | instskip(SKIP_1) | instid1(VALU_DEP_1)
	v_dual_max_f32 v46, v46, v46 :: v_dual_max_f32 v45, v45, v45
	s_mov_b32 s13, 0
	v_max_f32_e32 v45, v45, v46
	s_branch .LBB6_11130
.LBB6_11129:                            ;   in Loop: Header=BB6_10858 Depth=3
	s_mov_b32 s13, -1
                                        ; implicit-def: $vgpr45
.LBB6_11130:                            ;   in Loop: Header=BB6_10858 Depth=3
	s_delay_alu instid0(SALU_CYCLE_1)
	s_and_b32 vcc_lo, exec_lo, s13
	s_cbranch_vccz .LBB6_11140
; %bb.11131:                            ;   in Loop: Header=BB6_10858 Depth=3
	s_mov_b32 s13, 0
	s_mov_b32 s31, exec_lo
                                        ; implicit-def: $sgpr17
	v_cmpx_lt_i16_e32 0x7f, v44
	s_xor_b32 s31, exec_lo, s31
	s_cbranch_execnz .LBB6_12864
; %bb.11132:                            ;   in Loop: Header=BB6_10858 Depth=3
	s_or_saveexec_b32 s31, s31
	v_mov_b32_e32 v45, s17
	s_xor_b32 exec_lo, exec_lo, s31
	s_cbranch_execnz .LBB6_12867
.LBB6_11133:                            ;   in Loop: Header=BB6_10858 Depth=3
	s_or_b32 exec_lo, exec_lo, s31
	s_and_saveexec_b32 s17, s13
	s_cbranch_execz .LBB6_11135
.LBB6_11134:                            ;   in Loop: Header=BB6_10858 Depth=3
	v_and_b32_e32 v44, 0xffff, v44
	v_lshlrev_b32_e32 v56, 16, v50
	s_delay_alu instid0(VALU_DEP_2) | instskip(NEXT) | instid1(VALU_DEP_1)
	v_and_b32_e32 v45, 7, v44
	v_clz_i32_u32_e32 v46, v45
	s_delay_alu instid0(VALU_DEP_1) | instskip(NEXT) | instid1(VALU_DEP_1)
	v_min_u32_e32 v46, 32, v46
	v_subrev_nc_u32_e32 v47, 28, v46
	v_sub_nc_u32_e32 v46, 29, v46
	s_delay_alu instid0(VALU_DEP_2) | instskip(SKIP_1) | instid1(VALU_DEP_2)
	v_lshlrev_b32_e32 v47, v47, v44
	v_bfe_u32 v44, v44, 3, 4
	v_and_b32_e32 v47, 7, v47
	s_delay_alu instid0(VALU_DEP_2) | instskip(NEXT) | instid1(VALU_DEP_2)
	v_cmp_eq_u32_e32 vcc_lo, 0, v44
	v_dual_cndmask_b32 v44, v44, v46 :: v_dual_cndmask_b32 v45, v45, v47
	v_and_b32_e32 v46, 0x80000000, v56
	s_delay_alu instid0(VALU_DEP_2) | instskip(NEXT) | instid1(VALU_DEP_3)
	v_lshl_add_u32 v44, v44, 23, 0x3b800000
	v_lshlrev_b32_e32 v45, 20, v45
	s_delay_alu instid0(VALU_DEP_1)
	v_or3_b32 v45, v46, v44, v45
.LBB6_11135:                            ;   in Loop: Header=BB6_10858 Depth=3
	s_or_b32 exec_lo, exec_lo, s17
	s_mov_b32 s13, 0
	s_mov_b32 s31, exec_lo
                                        ; implicit-def: $sgpr17
	v_cmpx_lt_i16_e32 0x7f, v43
	s_xor_b32 s31, exec_lo, s31
	s_cbranch_execnz .LBB6_12868
; %bb.11136:                            ;   in Loop: Header=BB6_10858 Depth=3
	s_or_saveexec_b32 s31, s31
	v_mov_b32_e32 v44, s17
	s_xor_b32 exec_lo, exec_lo, s31
	s_cbranch_execnz .LBB6_12871
.LBB6_11137:                            ;   in Loop: Header=BB6_10858 Depth=3
	s_or_b32 exec_lo, exec_lo, s31
	s_and_saveexec_b32 s17, s13
	s_cbranch_execz .LBB6_11139
.LBB6_11138:                            ;   in Loop: Header=BB6_10858 Depth=3
	v_and_b32_e32 v43, 0xffff, v43
	v_lshlrev_b32_e32 v56, 16, v38
	s_delay_alu instid0(VALU_DEP_2) | instskip(NEXT) | instid1(VALU_DEP_1)
	v_and_b32_e32 v44, 7, v43
	v_clz_i32_u32_e32 v46, v44
	s_delay_alu instid0(VALU_DEP_1) | instskip(NEXT) | instid1(VALU_DEP_1)
	v_min_u32_e32 v46, 32, v46
	v_subrev_nc_u32_e32 v47, 28, v46
	v_sub_nc_u32_e32 v46, 29, v46
	s_delay_alu instid0(VALU_DEP_2) | instskip(SKIP_1) | instid1(VALU_DEP_2)
	v_lshlrev_b32_e32 v47, v47, v43
	v_bfe_u32 v43, v43, 3, 4
	v_and_b32_e32 v47, 7, v47
	s_delay_alu instid0(VALU_DEP_2) | instskip(NEXT) | instid1(VALU_DEP_2)
	v_cmp_eq_u32_e32 vcc_lo, 0, v43
	v_dual_cndmask_b32 v43, v43, v46 :: v_dual_cndmask_b32 v44, v44, v47
	v_and_b32_e32 v46, 0x80000000, v56
	s_delay_alu instid0(VALU_DEP_2) | instskip(NEXT) | instid1(VALU_DEP_3)
	v_lshl_add_u32 v43, v43, 23, 0x3b800000
	v_lshlrev_b32_e32 v44, 20, v44
	s_delay_alu instid0(VALU_DEP_1)
	v_or3_b32 v44, v46, v43, v44
.LBB6_11139:                            ;   in Loop: Header=BB6_10858 Depth=3
	s_or_b32 exec_lo, exec_lo, s17
	s_delay_alu instid0(VALU_DEP_1) | instskip(NEXT) | instid1(VALU_DEP_1)
	v_dual_max_f32 v43, v44, v44 :: v_dual_max_f32 v44, v45, v45
	v_min_f32_e32 v45, v44, v43
.LBB6_11140:                            ;   in Loop: Header=BB6_10858 Depth=3
	s_delay_alu instid0(VALU_DEP_1) | instskip(NEXT) | instid1(VALU_DEP_1)
	v_and_b32_e32 v43, 0x7f800000, v45
	v_cmp_ne_u32_e32 vcc_lo, 0x7f800000, v43
	v_mov_b32_e32 v43, 0x80
	s_and_saveexec_b32 s17, vcc_lo
	s_cbranch_execz .LBB6_11148
; %bb.11141:                            ;   in Loop: Header=BB6_10858 Depth=3
	v_mov_b32_e32 v43, 0
	s_mov_b32 s31, exec_lo
	v_cmpx_ne_u32_e32 0, v45
	s_cbranch_execz .LBB6_11147
; %bb.11142:                            ;   in Loop: Header=BB6_10858 Depth=3
	v_bfe_u32 v43, v45, 23, 8
	v_and_b32_e32 v44, 0x7fffff, v45
	s_delay_alu instid0(VALU_DEP_2) | instskip(SKIP_1) | instid1(VALU_DEP_3)
	v_sub_nc_u32_e32 v46, 0x78, v43
	v_cmp_gt_u32_e32 vcc_lo, 0x79, v43
	v_or_b32_e32 v47, 0x800000, v44
	s_delay_alu instid0(VALU_DEP_3) | instskip(SKIP_2) | instid1(VALU_DEP_3)
	v_cndmask_b32_e32 v46, 0, v46, vcc_lo
	v_cmp_eq_u32_e32 vcc_lo, 0, v43
	v_add_nc_u32_e32 v43, 0xffffff89, v43
	v_cndmask_b32_e64 v46, v46, 0x77, vcc_lo
	v_cndmask_b32_e32 v44, v47, v44, vcc_lo
	s_delay_alu instid0(VALU_DEP_3) | instskip(NEXT) | instid1(VALU_DEP_3)
	v_cndmask_b32_e64 v43, v43, 0xffffff8a, vcc_lo
	v_lshl_add_u32 v47, 0x100000, v46, -1
	s_delay_alu instid0(VALU_DEP_3) | instskip(SKIP_1) | instid1(VALU_DEP_4)
	v_lshrrev_b32_e32 v56, v46, v44
	v_lshlrev_b32_e64 v58, v46, 0x80000
	v_add_nc_u32_e32 v46, v46, v43
	s_delay_alu instid0(VALU_DEP_4) | instskip(NEXT) | instid1(VALU_DEP_4)
	v_and_b32_e32 v44, v47, v44
	v_bfe_u32 v57, v56, 20, 1
	s_delay_alu instid0(VALU_DEP_2) | instskip(NEXT) | instid1(VALU_DEP_2)
	v_cmp_eq_u32_e64 s13, v44, v58
	v_add_nc_u32_e32 v47, -1, v57
	s_delay_alu instid0(VALU_DEP_1) | instskip(SKIP_2) | instid1(VALU_DEP_2)
	v_cndmask_b32_e64 v44, 0, v47, s13
	v_lshrrev_b32_e32 v47, 23, v56
	s_mov_b32 s13, exec_lo
	v_add_nc_u32_e32 v44, v44, v56
	s_delay_alu instid0(VALU_DEP_2) | instskip(NEXT) | instid1(VALU_DEP_2)
	v_xor_b32_e32 v47, 1, v47
	v_and_b32_e32 v43, 0xfffff, v44
	s_delay_alu instid0(VALU_DEP_1) | instskip(NEXT) | instid1(VALU_DEP_3)
	v_add_nc_u32_e32 v44, v43, v56
                                        ; implicit-def: $vgpr43
	v_cmpx_ne_u32_e64 v46, v47
	s_xor_b32 s13, exec_lo, s13
; %bb.11143:                            ;   in Loop: Header=BB6_10858 Depth=3
	s_delay_alu instid0(VALU_DEP_2) | instskip(SKIP_2) | instid1(VALU_DEP_2)
	v_cmp_lt_u32_e32 vcc_lo, 0xffffff, v44
	v_sub_nc_u32_e32 v43, v46, v47
	v_cndmask_b32_e64 v46, 0, 1, vcc_lo
	v_add_co_ci_u32_e32 v43, vcc_lo, 0, v43, vcc_lo
	s_delay_alu instid0(VALU_DEP_2)
	v_lshrrev_b32_e32 v44, v46, v44
; %bb.11144:                            ;   in Loop: Header=BB6_10858 Depth=3
	s_and_not1_saveexec_b32 s13, s13
; %bb.11145:                            ;   in Loop: Header=BB6_10858 Depth=3
	s_delay_alu instid0(VALU_DEP_1)
	v_bfe_u32 v43, v44, 23, 1
; %bb.11146:                            ;   in Loop: Header=BB6_10858 Depth=3
	s_or_b32 exec_lo, exec_lo, s13
	v_lshrrev_b32_e32 v44, 20, v44
	s_delay_alu instid0(VALU_DEP_2) | instskip(SKIP_2) | instid1(VALU_DEP_2)
	v_cmp_gt_i32_e32 vcc_lo, 16, v43
	v_lshrrev_b32_e32 v45, 24, v45
	v_min_i32_e32 v46, 15, v43
	v_dual_cndmask_b32 v44, 7, v44 :: v_dual_and_b32 v45, 0x80, v45
	s_delay_alu instid0(VALU_DEP_1) | instskip(SKIP_1) | instid1(VALU_DEP_2)
	v_or_b32_e32 v43, v43, v44
	v_and_b32_e32 v47, 7, v44
	v_cmp_ne_u32_e32 vcc_lo, 0, v43
	v_lshlrev_b32_e32 v46, 3, v46
	s_delay_alu instid0(VALU_DEP_1) | instskip(NEXT) | instid1(VALU_DEP_1)
	v_or3_b32 v44, v46, v45, v47
	v_cndmask_b32_e32 v43, 0, v44, vcc_lo
.LBB6_11147:                            ;   in Loop: Header=BB6_10858 Depth=3
	s_or_b32 exec_lo, exec_lo, s31
.LBB6_11148:                            ;   in Loop: Header=BB6_10858 Depth=3
	s_delay_alu instid0(SALU_CYCLE_1)
	s_or_b32 exec_lo, exec_lo, s17
	v_lshrrev_b32_e32 v45, 16, v50
	v_lshrrev_b32_e32 v44, 16, v38
	s_and_b32 vcc_lo, exec_lo, s16
	s_cbranch_vccz .LBB6_11158
; %bb.11149:                            ;   in Loop: Header=BB6_10858 Depth=3
	s_delay_alu instid0(VALU_DEP_2) | instskip(SKIP_2) | instid1(VALU_DEP_1)
	v_and_b32_e32 v47, 0xff, v45
	s_mov_b32 s13, 0
	s_mov_b32 s31, exec_lo
                                        ; implicit-def: $sgpr17
	v_cmpx_lt_i16_e32 0x7f, v47
	s_xor_b32 s31, exec_lo, s31
	s_cbranch_execnz .LBB6_12872
; %bb.11150:                            ;   in Loop: Header=BB6_10858 Depth=3
	s_or_saveexec_b32 s31, s31
	v_mov_b32_e32 v46, s17
	s_xor_b32 exec_lo, exec_lo, s31
	s_cbranch_execnz .LBB6_12875
.LBB6_11151:                            ;   in Loop: Header=BB6_10858 Depth=3
	s_or_b32 exec_lo, exec_lo, s31
	s_and_saveexec_b32 s17, s13
	s_cbranch_execz .LBB6_11153
.LBB6_11152:                            ;   in Loop: Header=BB6_10858 Depth=3
	v_bfe_u32 v46, v50, 16, 3
	v_bfe_u32 v57, v50, 19, 4
	v_lshlrev_b32_e32 v58, 24, v45
	s_delay_alu instid0(VALU_DEP_3) | instskip(NEXT) | instid1(VALU_DEP_3)
	v_clz_i32_u32_e32 v47, v46
	v_cmp_eq_u32_e32 vcc_lo, 0, v57
	s_delay_alu instid0(VALU_DEP_2) | instskip(NEXT) | instid1(VALU_DEP_1)
	v_min_u32_e32 v47, 32, v47
	v_subrev_nc_u32_e32 v56, 28, v47
	v_sub_nc_u32_e32 v47, 29, v47
	s_delay_alu instid0(VALU_DEP_1) | instskip(NEXT) | instid1(VALU_DEP_1)
	v_dual_cndmask_b32 v47, v57, v47 :: v_dual_lshlrev_b32 v56, v56, v45
	v_and_b32_e32 v56, 7, v56
	s_delay_alu instid0(VALU_DEP_2) | instskip(NEXT) | instid1(VALU_DEP_2)
	v_lshl_add_u32 v47, v47, 23, 0x3b800000
	v_cndmask_b32_e32 v46, v46, v56, vcc_lo
	v_and_b32_e32 v56, 0x80000000, v58
	s_delay_alu instid0(VALU_DEP_2) | instskip(NEXT) | instid1(VALU_DEP_1)
	v_lshlrev_b32_e32 v46, 20, v46
	v_or3_b32 v46, v56, v47, v46
.LBB6_11153:                            ;   in Loop: Header=BB6_10858 Depth=3
	s_or_b32 exec_lo, exec_lo, s17
	v_and_b32_e32 v56, 0xff, v44
	s_mov_b32 s13, 0
	s_mov_b32 s31, exec_lo
                                        ; implicit-def: $sgpr17
	s_delay_alu instid0(VALU_DEP_1)
	v_cmpx_lt_i16_e32 0x7f, v56
	s_xor_b32 s31, exec_lo, s31
	s_cbranch_execnz .LBB6_12876
; %bb.11154:                            ;   in Loop: Header=BB6_10858 Depth=3
	s_or_saveexec_b32 s31, s31
	v_mov_b32_e32 v47, s17
	s_xor_b32 exec_lo, exec_lo, s31
	s_cbranch_execnz .LBB6_12879
.LBB6_11155:                            ;   in Loop: Header=BB6_10858 Depth=3
	s_or_b32 exec_lo, exec_lo, s31
	s_and_saveexec_b32 s17, s13
	s_cbranch_execz .LBB6_11157
.LBB6_11156:                            ;   in Loop: Header=BB6_10858 Depth=3
	v_bfe_u32 v47, v38, 16, 3
	v_bfe_u32 v58, v38, 19, 4
	v_lshlrev_b32_e32 v59, 24, v44
	s_delay_alu instid0(VALU_DEP_3) | instskip(NEXT) | instid1(VALU_DEP_3)
	v_clz_i32_u32_e32 v56, v47
	v_cmp_eq_u32_e32 vcc_lo, 0, v58
	s_delay_alu instid0(VALU_DEP_2) | instskip(NEXT) | instid1(VALU_DEP_1)
	v_min_u32_e32 v56, 32, v56
	v_subrev_nc_u32_e32 v57, 28, v56
	v_sub_nc_u32_e32 v56, 29, v56
	s_delay_alu instid0(VALU_DEP_2) | instskip(NEXT) | instid1(VALU_DEP_1)
	v_lshlrev_b32_e32 v57, v57, v44
	v_dual_cndmask_b32 v56, v58, v56 :: v_dual_and_b32 v57, 7, v57
	s_delay_alu instid0(VALU_DEP_1) | instskip(NEXT) | instid1(VALU_DEP_2)
	v_lshl_add_u32 v56, v56, 23, 0x3b800000
	v_cndmask_b32_e32 v47, v47, v57, vcc_lo
	v_and_b32_e32 v57, 0x80000000, v59
	s_delay_alu instid0(VALU_DEP_2) | instskip(NEXT) | instid1(VALU_DEP_1)
	v_lshlrev_b32_e32 v47, 20, v47
	v_or3_b32 v47, v57, v56, v47
.LBB6_11157:                            ;   in Loop: Header=BB6_10858 Depth=3
	s_or_b32 exec_lo, exec_lo, s17
	s_delay_alu instid0(VALU_DEP_1) | instskip(SKIP_1) | instid1(VALU_DEP_1)
	v_dual_max_f32 v47, v47, v47 :: v_dual_max_f32 v46, v46, v46
	s_mov_b32 s13, 0
	v_max_f32_e32 v46, v46, v47
	s_branch .LBB6_11159
.LBB6_11158:                            ;   in Loop: Header=BB6_10858 Depth=3
	s_mov_b32 s13, -1
                                        ; implicit-def: $vgpr46
.LBB6_11159:                            ;   in Loop: Header=BB6_10858 Depth=3
	s_delay_alu instid0(SALU_CYCLE_1)
	s_and_b32 vcc_lo, exec_lo, s13
	s_cbranch_vccz .LBB6_11169
; %bb.11160:                            ;   in Loop: Header=BB6_10858 Depth=3
	v_and_b32_e32 v47, 0xff, v45
	s_mov_b32 s13, 0
	s_mov_b32 s31, exec_lo
                                        ; implicit-def: $sgpr17
	s_delay_alu instid0(VALU_DEP_1)
	v_cmpx_lt_i16_e32 0x7f, v47
	s_xor_b32 s31, exec_lo, s31
	s_cbranch_execnz .LBB6_12880
; %bb.11161:                            ;   in Loop: Header=BB6_10858 Depth=3
	s_or_saveexec_b32 s31, s31
	v_mov_b32_e32 v46, s17
	s_xor_b32 exec_lo, exec_lo, s31
	s_cbranch_execnz .LBB6_12883
.LBB6_11162:                            ;   in Loop: Header=BB6_10858 Depth=3
	s_or_b32 exec_lo, exec_lo, s31
	s_and_saveexec_b32 s17, s13
	s_cbranch_execz .LBB6_11164
.LBB6_11163:                            ;   in Loop: Header=BB6_10858 Depth=3
	v_bfe_u32 v46, v50, 16, 3
	v_bfe_u32 v57, v50, 19, 4
	s_delay_alu instid0(VALU_DEP_2) | instskip(NEXT) | instid1(VALU_DEP_2)
	v_clz_i32_u32_e32 v47, v46
	v_cmp_eq_u32_e32 vcc_lo, 0, v57
	s_delay_alu instid0(VALU_DEP_2) | instskip(NEXT) | instid1(VALU_DEP_1)
	v_min_u32_e32 v47, 32, v47
	v_subrev_nc_u32_e32 v56, 28, v47
	v_sub_nc_u32_e32 v47, 29, v47
	s_delay_alu instid0(VALU_DEP_1) | instskip(NEXT) | instid1(VALU_DEP_1)
	v_dual_cndmask_b32 v47, v57, v47 :: v_dual_lshlrev_b32 v56, v56, v45
	v_and_b32_e32 v56, 7, v56
	v_lshlrev_b32_e32 v45, 24, v45
	s_delay_alu instid0(VALU_DEP_3) | instskip(NEXT) | instid1(VALU_DEP_2)
	v_lshl_add_u32 v47, v47, 23, 0x3b800000
	v_dual_cndmask_b32 v46, v46, v56 :: v_dual_and_b32 v45, 0x80000000, v45
	s_delay_alu instid0(VALU_DEP_1) | instskip(NEXT) | instid1(VALU_DEP_1)
	v_lshlrev_b32_e32 v46, 20, v46
	v_or3_b32 v46, v45, v47, v46
.LBB6_11164:                            ;   in Loop: Header=BB6_10858 Depth=3
	s_or_b32 exec_lo, exec_lo, s17
	v_and_b32_e32 v47, 0xff, v44
	s_mov_b32 s13, 0
	s_mov_b32 s31, exec_lo
                                        ; implicit-def: $sgpr17
	s_delay_alu instid0(VALU_DEP_1)
	v_cmpx_lt_i16_e32 0x7f, v47
	s_xor_b32 s31, exec_lo, s31
	s_cbranch_execnz .LBB6_12884
; %bb.11165:                            ;   in Loop: Header=BB6_10858 Depth=3
	s_or_saveexec_b32 s31, s31
	v_mov_b32_e32 v45, s17
	s_xor_b32 exec_lo, exec_lo, s31
	s_cbranch_execnz .LBB6_12887
.LBB6_11166:                            ;   in Loop: Header=BB6_10858 Depth=3
	s_or_b32 exec_lo, exec_lo, s31
	s_and_saveexec_b32 s17, s13
	s_cbranch_execz .LBB6_11168
.LBB6_11167:                            ;   in Loop: Header=BB6_10858 Depth=3
	v_bfe_u32 v45, v38, 16, 3
	v_bfe_u32 v57, v38, 19, 4
	s_delay_alu instid0(VALU_DEP_2) | instskip(NEXT) | instid1(VALU_DEP_2)
	v_clz_i32_u32_e32 v47, v45
	v_cmp_eq_u32_e32 vcc_lo, 0, v57
	s_delay_alu instid0(VALU_DEP_2) | instskip(NEXT) | instid1(VALU_DEP_1)
	v_min_u32_e32 v47, 32, v47
	v_subrev_nc_u32_e32 v56, 28, v47
	v_sub_nc_u32_e32 v47, 29, v47
	s_delay_alu instid0(VALU_DEP_1) | instskip(SKIP_1) | instid1(VALU_DEP_2)
	v_dual_cndmask_b32 v47, v57, v47 :: v_dual_lshlrev_b32 v56, v56, v44
	v_lshlrev_b32_e32 v44, 24, v44
	v_and_b32_e32 v56, 7, v56
	s_delay_alu instid0(VALU_DEP_3) | instskip(NEXT) | instid1(VALU_DEP_3)
	v_lshl_add_u32 v47, v47, 23, 0x3b800000
	v_and_b32_e32 v44, 0x80000000, v44
	s_delay_alu instid0(VALU_DEP_3) | instskip(NEXT) | instid1(VALU_DEP_1)
	v_cndmask_b32_e32 v45, v45, v56, vcc_lo
	v_lshlrev_b32_e32 v45, 20, v45
	s_delay_alu instid0(VALU_DEP_1)
	v_or3_b32 v45, v44, v47, v45
.LBB6_11168:                            ;   in Loop: Header=BB6_10858 Depth=3
	s_or_b32 exec_lo, exec_lo, s17
	s_delay_alu instid0(VALU_DEP_1) | instskip(NEXT) | instid1(VALU_DEP_1)
	v_dual_max_f32 v44, v45, v45 :: v_dual_max_f32 v45, v46, v46
	v_min_f32_e32 v46, v45, v44
.LBB6_11169:                            ;   in Loop: Header=BB6_10858 Depth=3
	s_delay_alu instid0(VALU_DEP_1) | instskip(NEXT) | instid1(VALU_DEP_1)
	v_and_b32_e32 v44, 0x7f800000, v46
	v_cmp_ne_u32_e32 vcc_lo, 0x7f800000, v44
	v_mov_b32_e32 v44, 0x80
	s_and_saveexec_b32 s17, vcc_lo
	s_cbranch_execz .LBB6_11177
; %bb.11170:                            ;   in Loop: Header=BB6_10858 Depth=3
	v_mov_b32_e32 v44, 0
	s_mov_b32 s31, exec_lo
	v_cmpx_ne_u32_e32 0, v46
	s_cbranch_execz .LBB6_11176
; %bb.11171:                            ;   in Loop: Header=BB6_10858 Depth=3
	v_bfe_u32 v44, v46, 23, 8
	v_and_b32_e32 v45, 0x7fffff, v46
	s_delay_alu instid0(VALU_DEP_2) | instskip(SKIP_1) | instid1(VALU_DEP_3)
	v_sub_nc_u32_e32 v47, 0x78, v44
	v_cmp_gt_u32_e32 vcc_lo, 0x79, v44
	v_or_b32_e32 v56, 0x800000, v45
	s_delay_alu instid0(VALU_DEP_3) | instskip(SKIP_2) | instid1(VALU_DEP_3)
	v_cndmask_b32_e32 v47, 0, v47, vcc_lo
	v_cmp_eq_u32_e32 vcc_lo, 0, v44
	v_add_nc_u32_e32 v44, 0xffffff89, v44
	v_cndmask_b32_e64 v47, v47, 0x77, vcc_lo
	v_cndmask_b32_e32 v45, v56, v45, vcc_lo
	s_delay_alu instid0(VALU_DEP_3) | instskip(NEXT) | instid1(VALU_DEP_3)
	v_cndmask_b32_e64 v44, v44, 0xffffff8a, vcc_lo
	v_lshl_add_u32 v56, 0x100000, v47, -1
	s_delay_alu instid0(VALU_DEP_3) | instskip(SKIP_1) | instid1(VALU_DEP_4)
	v_lshrrev_b32_e32 v57, v47, v45
	v_lshlrev_b32_e64 v59, v47, 0x80000
	v_add_nc_u32_e32 v47, v47, v44
	s_delay_alu instid0(VALU_DEP_4) | instskip(NEXT) | instid1(VALU_DEP_4)
	v_and_b32_e32 v45, v56, v45
	v_bfe_u32 v58, v57, 20, 1
	s_delay_alu instid0(VALU_DEP_2) | instskip(NEXT) | instid1(VALU_DEP_2)
	v_cmp_eq_u32_e64 s13, v45, v59
	v_add_nc_u32_e32 v56, -1, v58
	s_delay_alu instid0(VALU_DEP_1) | instskip(SKIP_2) | instid1(VALU_DEP_2)
	v_cndmask_b32_e64 v45, 0, v56, s13
	v_lshrrev_b32_e32 v56, 23, v57
	s_mov_b32 s13, exec_lo
	v_add_nc_u32_e32 v45, v45, v57
	s_delay_alu instid0(VALU_DEP_2) | instskip(NEXT) | instid1(VALU_DEP_2)
	v_xor_b32_e32 v56, 1, v56
	v_and_b32_e32 v44, 0xfffff, v45
	s_delay_alu instid0(VALU_DEP_1) | instskip(NEXT) | instid1(VALU_DEP_3)
	v_add_nc_u32_e32 v45, v44, v57
                                        ; implicit-def: $vgpr44
	v_cmpx_ne_u32_e64 v47, v56
	s_xor_b32 s13, exec_lo, s13
; %bb.11172:                            ;   in Loop: Header=BB6_10858 Depth=3
	s_delay_alu instid0(VALU_DEP_2) | instskip(SKIP_2) | instid1(VALU_DEP_2)
	v_cmp_lt_u32_e32 vcc_lo, 0xffffff, v45
	v_sub_nc_u32_e32 v44, v47, v56
	v_cndmask_b32_e64 v47, 0, 1, vcc_lo
	v_add_co_ci_u32_e32 v44, vcc_lo, 0, v44, vcc_lo
	s_delay_alu instid0(VALU_DEP_2)
	v_lshrrev_b32_e32 v45, v47, v45
; %bb.11173:                            ;   in Loop: Header=BB6_10858 Depth=3
	s_and_not1_saveexec_b32 s13, s13
; %bb.11174:                            ;   in Loop: Header=BB6_10858 Depth=3
	s_delay_alu instid0(VALU_DEP_1)
	v_bfe_u32 v44, v45, 23, 1
; %bb.11175:                            ;   in Loop: Header=BB6_10858 Depth=3
	s_or_b32 exec_lo, exec_lo, s13
	v_lshrrev_b32_e32 v45, 20, v45
	s_delay_alu instid0(VALU_DEP_2) | instskip(SKIP_2) | instid1(VALU_DEP_2)
	v_cmp_gt_i32_e32 vcc_lo, 16, v44
	v_lshrrev_b32_e32 v46, 24, v46
	v_min_i32_e32 v47, 15, v44
	v_dual_cndmask_b32 v45, 7, v45 :: v_dual_and_b32 v46, 0x80, v46
	s_delay_alu instid0(VALU_DEP_1) | instskip(SKIP_1) | instid1(VALU_DEP_2)
	v_or_b32_e32 v44, v44, v45
	v_and_b32_e32 v56, 7, v45
	v_cmp_ne_u32_e32 vcc_lo, 0, v44
	v_lshlrev_b32_e32 v47, 3, v47
	s_delay_alu instid0(VALU_DEP_1) | instskip(NEXT) | instid1(VALU_DEP_1)
	v_or3_b32 v45, v47, v46, v56
	v_cndmask_b32_e32 v44, 0, v45, vcc_lo
.LBB6_11176:                            ;   in Loop: Header=BB6_10858 Depth=3
	s_or_b32 exec_lo, exec_lo, s31
.LBB6_11177:                            ;   in Loop: Header=BB6_10858 Depth=3
	s_delay_alu instid0(SALU_CYCLE_1)
	s_or_b32 exec_lo, exec_lo, s17
	v_lshrrev_b32_e32 v46, 24, v50
	v_lshrrev_b32_e32 v45, 24, v38
	s_and_b32 vcc_lo, exec_lo, s16
	s_cbranch_vccz .LBB6_11187
; %bb.11178:                            ;   in Loop: Header=BB6_10858 Depth=3
	s_mov_b32 s13, 0
	s_mov_b32 s31, exec_lo
                                        ; implicit-def: $sgpr17
	v_cmpx_lt_i16_e32 0x7f, v46
	s_xor_b32 s31, exec_lo, s31
	s_cbranch_execnz .LBB6_12888
; %bb.11179:                            ;   in Loop: Header=BB6_10858 Depth=3
	s_or_saveexec_b32 s31, s31
	v_mov_b32_e32 v47, s17
	s_xor_b32 exec_lo, exec_lo, s31
	s_cbranch_execnz .LBB6_12891
.LBB6_11180:                            ;   in Loop: Header=BB6_10858 Depth=3
	s_or_b32 exec_lo, exec_lo, s31
	s_and_saveexec_b32 s17, s13
	s_cbranch_execz .LBB6_11182
.LBB6_11181:                            ;   in Loop: Header=BB6_10858 Depth=3
	v_bfe_u32 v47, v50, 24, 3
	v_bfe_u32 v58, v50, 27, 4
	s_delay_alu instid0(VALU_DEP_2) | instskip(NEXT) | instid1(VALU_DEP_2)
	v_clz_i32_u32_e32 v56, v47
	v_cmp_eq_u32_e32 vcc_lo, 0, v58
	s_delay_alu instid0(VALU_DEP_2) | instskip(NEXT) | instid1(VALU_DEP_1)
	v_min_u32_e32 v56, 32, v56
	v_subrev_nc_u32_e32 v57, 28, v56
	v_sub_nc_u32_e32 v56, 29, v56
	s_delay_alu instid0(VALU_DEP_1) | instskip(NEXT) | instid1(VALU_DEP_1)
	v_dual_cndmask_b32 v56, v58, v56 :: v_dual_lshlrev_b32 v57, v57, v46
	v_and_b32_e32 v57, 7, v57
	s_delay_alu instid0(VALU_DEP_2) | instskip(NEXT) | instid1(VALU_DEP_2)
	v_lshl_add_u32 v56, v56, 23, 0x3b800000
	v_cndmask_b32_e32 v47, v47, v57, vcc_lo
	v_and_b32_e32 v57, 0x80000000, v50
	s_delay_alu instid0(VALU_DEP_2) | instskip(NEXT) | instid1(VALU_DEP_1)
	v_lshlrev_b32_e32 v47, 20, v47
	v_or3_b32 v47, v57, v56, v47
.LBB6_11182:                            ;   in Loop: Header=BB6_10858 Depth=3
	s_or_b32 exec_lo, exec_lo, s17
	s_mov_b32 s13, 0
	s_mov_b32 s31, exec_lo
                                        ; implicit-def: $sgpr17
	v_cmpx_lt_i16_e32 0x7f, v45
	s_xor_b32 s31, exec_lo, s31
	s_cbranch_execnz .LBB6_12892
; %bb.11183:                            ;   in Loop: Header=BB6_10858 Depth=3
	s_or_saveexec_b32 s31, s31
	v_mov_b32_e32 v56, s17
	s_xor_b32 exec_lo, exec_lo, s31
	s_cbranch_execnz .LBB6_12895
.LBB6_11184:                            ;   in Loop: Header=BB6_10858 Depth=3
	s_or_b32 exec_lo, exec_lo, s31
	s_and_saveexec_b32 s17, s13
	s_cbranch_execz .LBB6_11186
.LBB6_11185:                            ;   in Loop: Header=BB6_10858 Depth=3
	v_bfe_u32 v56, v38, 24, 3
	v_bfe_u32 v59, v38, 27, 4
	s_delay_alu instid0(VALU_DEP_2) | instskip(NEXT) | instid1(VALU_DEP_2)
	v_clz_i32_u32_e32 v57, v56
	v_cmp_eq_u32_e32 vcc_lo, 0, v59
	s_delay_alu instid0(VALU_DEP_2) | instskip(NEXT) | instid1(VALU_DEP_1)
	v_min_u32_e32 v57, 32, v57
	v_subrev_nc_u32_e32 v58, 28, v57
	v_sub_nc_u32_e32 v57, 29, v57
	s_delay_alu instid0(VALU_DEP_2) | instskip(NEXT) | instid1(VALU_DEP_1)
	v_lshlrev_b32_e32 v58, v58, v45
	v_dual_cndmask_b32 v57, v59, v57 :: v_dual_and_b32 v58, 7, v58
	s_delay_alu instid0(VALU_DEP_1) | instskip(NEXT) | instid1(VALU_DEP_2)
	v_lshl_add_u32 v57, v57, 23, 0x3b800000
	v_cndmask_b32_e32 v56, v56, v58, vcc_lo
	v_and_b32_e32 v58, 0x80000000, v38
	s_delay_alu instid0(VALU_DEP_2) | instskip(NEXT) | instid1(VALU_DEP_1)
	v_lshlrev_b32_e32 v56, 20, v56
	v_or3_b32 v56, v58, v57, v56
.LBB6_11186:                            ;   in Loop: Header=BB6_10858 Depth=3
	s_or_b32 exec_lo, exec_lo, s17
	s_delay_alu instid0(VALU_DEP_1) | instskip(SKIP_1) | instid1(VALU_DEP_1)
	v_dual_max_f32 v56, v56, v56 :: v_dual_max_f32 v47, v47, v47
	s_mov_b32 s13, 0
	v_max_f32_e32 v47, v47, v56
	s_branch .LBB6_11188
.LBB6_11187:                            ;   in Loop: Header=BB6_10858 Depth=3
	s_mov_b32 s13, -1
                                        ; implicit-def: $vgpr47
.LBB6_11188:                            ;   in Loop: Header=BB6_10858 Depth=3
	s_delay_alu instid0(SALU_CYCLE_1)
	s_and_b32 vcc_lo, exec_lo, s13
	s_cbranch_vccz .LBB6_11198
; %bb.11189:                            ;   in Loop: Header=BB6_10858 Depth=3
	s_mov_b32 s13, 0
	s_mov_b32 s31, exec_lo
                                        ; implicit-def: $sgpr17
	v_cmpx_lt_i16_e32 0x7f, v46
	s_xor_b32 s31, exec_lo, s31
	s_cbranch_execnz .LBB6_12896
; %bb.11190:                            ;   in Loop: Header=BB6_10858 Depth=3
	s_or_saveexec_b32 s31, s31
	v_mov_b32_e32 v47, s17
	s_xor_b32 exec_lo, exec_lo, s31
	s_cbranch_execnz .LBB6_12899
.LBB6_11191:                            ;   in Loop: Header=BB6_10858 Depth=3
	s_or_b32 exec_lo, exec_lo, s31
	s_and_saveexec_b32 s17, s13
	s_cbranch_execz .LBB6_11193
.LBB6_11192:                            ;   in Loop: Header=BB6_10858 Depth=3
	v_bfe_u32 v47, v50, 24, 3
	s_delay_alu instid0(VALU_DEP_1) | instskip(NEXT) | instid1(VALU_DEP_1)
	v_clz_i32_u32_e32 v56, v47
	v_min_u32_e32 v56, 32, v56
	s_delay_alu instid0(VALU_DEP_1) | instskip(SKIP_1) | instid1(VALU_DEP_2)
	v_subrev_nc_u32_e32 v57, 28, v56
	v_sub_nc_u32_e32 v56, 29, v56
	v_lshlrev_b32_e32 v46, v57, v46
	v_bfe_u32 v57, v50, 27, 4
	v_and_b32_e32 v50, 0x80000000, v50
	s_delay_alu instid0(VALU_DEP_3) | instskip(NEXT) | instid1(VALU_DEP_3)
	v_and_b32_e32 v46, 7, v46
	v_cmp_eq_u32_e32 vcc_lo, 0, v57
	v_cndmask_b32_e32 v56, v57, v56, vcc_lo
	s_delay_alu instid0(VALU_DEP_3) | instskip(NEXT) | instid1(VALU_DEP_2)
	v_cndmask_b32_e32 v46, v47, v46, vcc_lo
	v_lshl_add_u32 v47, v56, 23, 0x3b800000
	s_delay_alu instid0(VALU_DEP_2) | instskip(NEXT) | instid1(VALU_DEP_1)
	v_lshlrev_b32_e32 v46, 20, v46
	v_or3_b32 v47, v50, v47, v46
.LBB6_11193:                            ;   in Loop: Header=BB6_10858 Depth=3
	s_or_b32 exec_lo, exec_lo, s17
	s_mov_b32 s13, 0
	s_mov_b32 s31, exec_lo
                                        ; implicit-def: $sgpr17
	v_cmpx_lt_i16_e32 0x7f, v45
	s_xor_b32 s31, exec_lo, s31
	s_cbranch_execnz .LBB6_12900
; %bb.11194:                            ;   in Loop: Header=BB6_10858 Depth=3
	s_or_saveexec_b32 s31, s31
	v_mov_b32_e32 v50, s17
	s_xor_b32 exec_lo, exec_lo, s31
	s_cbranch_execnz .LBB6_12903
.LBB6_11195:                            ;   in Loop: Header=BB6_10858 Depth=3
	s_or_b32 exec_lo, exec_lo, s31
	s_and_saveexec_b32 s17, s13
	s_cbranch_execz .LBB6_11197
.LBB6_11196:                            ;   in Loop: Header=BB6_10858 Depth=3
	v_bfe_u32 v50, v38, 24, 3
	s_delay_alu instid0(VALU_DEP_1) | instskip(NEXT) | instid1(VALU_DEP_1)
	v_clz_i32_u32_e32 v46, v50
	v_min_u32_e32 v46, 32, v46
	s_delay_alu instid0(VALU_DEP_1) | instskip(SKIP_1) | instid1(VALU_DEP_2)
	v_subrev_nc_u32_e32 v56, 28, v46
	v_sub_nc_u32_e32 v46, 29, v46
	v_lshlrev_b32_e32 v45, v56, v45
	v_bfe_u32 v56, v38, 27, 4
	v_and_b32_e32 v38, 0x80000000, v38
	s_delay_alu instid0(VALU_DEP_2) | instskip(NEXT) | instid1(VALU_DEP_4)
	v_cmp_eq_u32_e32 vcc_lo, 0, v56
	v_dual_cndmask_b32 v46, v56, v46 :: v_dual_and_b32 v45, 7, v45
	s_delay_alu instid0(VALU_DEP_1) | instskip(NEXT) | instid1(VALU_DEP_2)
	v_cndmask_b32_e32 v50, v50, v45, vcc_lo
	v_lshl_add_u32 v45, v46, 23, 0x3b800000
	s_delay_alu instid0(VALU_DEP_2) | instskip(NEXT) | instid1(VALU_DEP_1)
	v_lshlrev_b32_e32 v50, 20, v50
	v_or3_b32 v50, v38, v45, v50
.LBB6_11197:                            ;   in Loop: Header=BB6_10858 Depth=3
	s_or_b32 exec_lo, exec_lo, s17
	s_delay_alu instid0(VALU_DEP_1) | instskip(SKIP_1) | instid1(VALU_DEP_1)
	v_max_f32_e32 v38, v50, v50
	v_max_f32_e32 v50, v47, v47
	v_min_f32_e32 v47, v50, v38
.LBB6_11198:                            ;   in Loop: Header=BB6_10858 Depth=3
	s_delay_alu instid0(VALU_DEP_1) | instskip(NEXT) | instid1(VALU_DEP_1)
	v_and_b32_e32 v38, 0x7f800000, v47
	v_cmp_ne_u32_e32 vcc_lo, 0x7f800000, v38
	v_mov_b32_e32 v38, 0x80
	s_and_saveexec_b32 s17, vcc_lo
	s_cbranch_execz .LBB6_11206
; %bb.11199:                            ;   in Loop: Header=BB6_10858 Depth=3
	v_mov_b32_e32 v38, 0
	s_mov_b32 s31, exec_lo
	v_cmpx_ne_u32_e32 0, v47
	s_cbranch_execz .LBB6_11205
; %bb.11200:                            ;   in Loop: Header=BB6_10858 Depth=3
	v_bfe_u32 v38, v47, 23, 8
	s_delay_alu instid0(VALU_DEP_1) | instskip(SKIP_1) | instid1(VALU_DEP_2)
	v_sub_nc_u32_e32 v45, 0x78, v38
	v_cmp_gt_u32_e32 vcc_lo, 0x79, v38
	v_dual_cndmask_b32 v45, 0, v45 :: v_dual_and_b32 v50, 0x7fffff, v47
	s_delay_alu instid0(VALU_DEP_1) | instskip(SKIP_2) | instid1(VALU_DEP_4)
	v_or_b32_e32 v46, 0x800000, v50
	v_cmp_eq_u32_e32 vcc_lo, 0, v38
	v_add_nc_u32_e32 v38, 0xffffff89, v38
	v_cndmask_b32_e64 v45, v45, 0x77, vcc_lo
	s_delay_alu instid0(VALU_DEP_4) | instskip(NEXT) | instid1(VALU_DEP_3)
	v_cndmask_b32_e32 v50, v46, v50, vcc_lo
	v_cndmask_b32_e64 v38, v38, 0xffffff8a, vcc_lo
	s_delay_alu instid0(VALU_DEP_3) | instskip(NEXT) | instid1(VALU_DEP_3)
	v_lshl_add_u32 v46, 0x100000, v45, -1
	v_lshrrev_b32_e32 v56, v45, v50
	v_lshlrev_b32_e64 v58, v45, 0x80000
	s_delay_alu instid0(VALU_DEP_4) | instskip(NEXT) | instid1(VALU_DEP_4)
	v_add_nc_u32_e32 v45, v45, v38
	v_and_b32_e32 v50, v46, v50
	s_delay_alu instid0(VALU_DEP_4) | instskip(NEXT) | instid1(VALU_DEP_2)
	v_bfe_u32 v57, v56, 20, 1
	v_cmp_eq_u32_e64 s13, v50, v58
	s_delay_alu instid0(VALU_DEP_2) | instskip(NEXT) | instid1(VALU_DEP_1)
	v_add_nc_u32_e32 v46, -1, v57
	v_cndmask_b32_e64 v50, 0, v46, s13
	v_lshrrev_b32_e32 v46, 23, v56
	s_mov_b32 s13, exec_lo
	s_delay_alu instid0(VALU_DEP_2) | instskip(NEXT) | instid1(VALU_DEP_2)
	v_add_nc_u32_e32 v50, v50, v56
	v_xor_b32_e32 v46, 1, v46
	s_delay_alu instid0(VALU_DEP_2) | instskip(NEXT) | instid1(VALU_DEP_1)
	v_and_b32_e32 v38, 0xfffff, v50
	v_add_nc_u32_e32 v50, v38, v56
                                        ; implicit-def: $vgpr38
	s_delay_alu instid0(VALU_DEP_3)
	v_cmpx_ne_u32_e64 v45, v46
	s_xor_b32 s13, exec_lo, s13
; %bb.11201:                            ;   in Loop: Header=BB6_10858 Depth=3
	s_delay_alu instid0(VALU_DEP_2) | instskip(SKIP_2) | instid1(VALU_DEP_2)
	v_cmp_lt_u32_e32 vcc_lo, 0xffffff, v50
	v_sub_nc_u32_e32 v38, v45, v46
	v_cndmask_b32_e64 v45, 0, 1, vcc_lo
	v_add_co_ci_u32_e32 v38, vcc_lo, 0, v38, vcc_lo
	s_delay_alu instid0(VALU_DEP_2)
	v_lshrrev_b32_e32 v50, v45, v50
; %bb.11202:                            ;   in Loop: Header=BB6_10858 Depth=3
	s_and_not1_saveexec_b32 s13, s13
; %bb.11203:                            ;   in Loop: Header=BB6_10858 Depth=3
	s_delay_alu instid0(VALU_DEP_1)
	v_bfe_u32 v38, v50, 23, 1
; %bb.11204:                            ;   in Loop: Header=BB6_10858 Depth=3
	s_or_b32 exec_lo, exec_lo, s13
	v_lshrrev_b32_e32 v50, 20, v50
	s_delay_alu instid0(VALU_DEP_2) | instskip(SKIP_2) | instid1(VALU_DEP_2)
	v_cmp_gt_i32_e32 vcc_lo, 16, v38
	v_lshrrev_b32_e32 v45, 24, v47
	v_min_i32_e32 v46, 15, v38
	v_dual_cndmask_b32 v50, 7, v50 :: v_dual_and_b32 v45, 0x80, v45
	s_delay_alu instid0(VALU_DEP_2) | instskip(NEXT) | instid1(VALU_DEP_2)
	v_lshlrev_b32_e32 v46, 3, v46
	v_and_b32_e32 v47, 7, v50
	v_or_b32_e32 v38, v38, v50
	s_delay_alu instid0(VALU_DEP_2) | instskip(NEXT) | instid1(VALU_DEP_2)
	v_or3_b32 v50, v46, v45, v47
	v_cmp_ne_u32_e32 vcc_lo, 0, v38
	s_delay_alu instid0(VALU_DEP_2)
	v_cndmask_b32_e32 v38, 0, v50, vcc_lo
.LBB6_11205:                            ;   in Loop: Header=BB6_10858 Depth=3
	s_or_b32 exec_lo, exec_lo, s31
.LBB6_11206:                            ;   in Loop: Header=BB6_10858 Depth=3
	s_delay_alu instid0(SALU_CYCLE_1) | instskip(NEXT) | instid1(SALU_CYCLE_1)
	s_or_b32 exec_lo, exec_lo, s17
	s_and_b32 vcc_lo, exec_lo, s16
	s_cbranch_vccz .LBB6_11216
; %bb.11207:                            ;   in Loop: Header=BB6_10858 Depth=3
	v_and_b32_e32 v45, 0xff, v51
	s_mov_b32 s13, 0
	s_mov_b32 s31, exec_lo
                                        ; implicit-def: $sgpr17
	s_delay_alu instid0(VALU_DEP_1)
	v_cmpx_lt_i16_e32 0x7f, v45
	s_xor_b32 s31, exec_lo, s31
	s_cbranch_execnz .LBB6_12904
; %bb.11208:                            ;   in Loop: Header=BB6_10858 Depth=3
	s_or_saveexec_b32 s31, s31
	v_mov_b32_e32 v50, s17
	s_xor_b32 exec_lo, exec_lo, s31
	s_cbranch_execnz .LBB6_12907
.LBB6_11209:                            ;   in Loop: Header=BB6_10858 Depth=3
	s_or_b32 exec_lo, exec_lo, s31
	s_and_saveexec_b32 s17, s13
	s_cbranch_execz .LBB6_11211
.LBB6_11210:                            ;   in Loop: Header=BB6_10858 Depth=3
	v_bfe_u32 v47, v51, 3, 4
	v_lshlrev_b32_e32 v56, 24, v51
	s_delay_alu instid0(VALU_DEP_2) | instskip(SKIP_1) | instid1(VALU_DEP_1)
	v_cmp_eq_u32_e32 vcc_lo, 0, v47
	v_and_b32_e32 v50, 7, v51
	v_clz_i32_u32_e32 v45, v50
	s_delay_alu instid0(VALU_DEP_1) | instskip(NEXT) | instid1(VALU_DEP_1)
	v_min_u32_e32 v45, 32, v45
	v_subrev_nc_u32_e32 v46, 28, v45
	v_sub_nc_u32_e32 v45, 29, v45
	s_delay_alu instid0(VALU_DEP_1) | instskip(NEXT) | instid1(VALU_DEP_1)
	v_dual_cndmask_b32 v45, v47, v45 :: v_dual_lshlrev_b32 v46, v46, v51
	v_and_b32_e32 v46, 7, v46
	s_delay_alu instid0(VALU_DEP_2) | instskip(NEXT) | instid1(VALU_DEP_2)
	v_lshl_add_u32 v45, v45, 23, 0x3b800000
	v_cndmask_b32_e32 v50, v50, v46, vcc_lo
	v_and_b32_e32 v46, 0x80000000, v56
	s_delay_alu instid0(VALU_DEP_2) | instskip(NEXT) | instid1(VALU_DEP_1)
	v_lshlrev_b32_e32 v50, 20, v50
	v_or3_b32 v50, v46, v45, v50
.LBB6_11211:                            ;   in Loop: Header=BB6_10858 Depth=3
	s_or_b32 exec_lo, exec_lo, s17
	v_and_b32_e32 v46, 0xff, v39
	s_mov_b32 s13, 0
	s_mov_b32 s31, exec_lo
                                        ; implicit-def: $sgpr17
	s_delay_alu instid0(VALU_DEP_1)
	v_cmpx_lt_i16_e32 0x7f, v46
	s_xor_b32 s31, exec_lo, s31
	s_cbranch_execnz .LBB6_12908
; %bb.11212:                            ;   in Loop: Header=BB6_10858 Depth=3
	s_or_saveexec_b32 s31, s31
	v_mov_b32_e32 v45, s17
	s_xor_b32 exec_lo, exec_lo, s31
	s_cbranch_execnz .LBB6_12911
.LBB6_11213:                            ;   in Loop: Header=BB6_10858 Depth=3
	s_or_b32 exec_lo, exec_lo, s31
	s_and_saveexec_b32 s17, s13
	s_cbranch_execz .LBB6_11215
.LBB6_11214:                            ;   in Loop: Header=BB6_10858 Depth=3
	v_bfe_u32 v56, v39, 3, 4
	v_lshlrev_b32_e32 v57, 24, v39
	s_delay_alu instid0(VALU_DEP_2) | instskip(SKIP_1) | instid1(VALU_DEP_1)
	v_cmp_eq_u32_e32 vcc_lo, 0, v56
	v_and_b32_e32 v45, 7, v39
	v_clz_i32_u32_e32 v46, v45
	s_delay_alu instid0(VALU_DEP_1) | instskip(NEXT) | instid1(VALU_DEP_1)
	v_min_u32_e32 v46, 32, v46
	v_subrev_nc_u32_e32 v47, 28, v46
	v_sub_nc_u32_e32 v46, 29, v46
	s_delay_alu instid0(VALU_DEP_1) | instskip(NEXT) | instid1(VALU_DEP_1)
	v_dual_cndmask_b32 v46, v56, v46 :: v_dual_lshlrev_b32 v47, v47, v39
	v_and_b32_e32 v47, 7, v47
	s_delay_alu instid0(VALU_DEP_2) | instskip(NEXT) | instid1(VALU_DEP_2)
	v_lshl_add_u32 v46, v46, 23, 0x3b800000
	v_cndmask_b32_e32 v45, v45, v47, vcc_lo
	v_and_b32_e32 v47, 0x80000000, v57
	s_delay_alu instid0(VALU_DEP_2) | instskip(NEXT) | instid1(VALU_DEP_1)
	v_lshlrev_b32_e32 v45, 20, v45
	v_or3_b32 v45, v47, v46, v45
.LBB6_11215:                            ;   in Loop: Header=BB6_10858 Depth=3
	s_or_b32 exec_lo, exec_lo, s17
	s_delay_alu instid0(VALU_DEP_1) | instskip(SKIP_1) | instid1(VALU_DEP_1)
	v_dual_max_f32 v45, v45, v45 :: v_dual_max_f32 v50, v50, v50
	s_mov_b32 s13, 0
	v_max_f32_e32 v45, v50, v45
	s_branch .LBB6_11217
.LBB6_11216:                            ;   in Loop: Header=BB6_10858 Depth=3
	s_mov_b32 s13, -1
                                        ; implicit-def: $vgpr45
.LBB6_11217:                            ;   in Loop: Header=BB6_10858 Depth=3
	s_delay_alu instid0(SALU_CYCLE_1)
	s_and_b32 vcc_lo, exec_lo, s13
	s_cbranch_vccz .LBB6_11227
; %bb.11218:                            ;   in Loop: Header=BB6_10858 Depth=3
	v_and_b32_e32 v45, 0xff, v51
	s_mov_b32 s13, 0
	s_mov_b32 s31, exec_lo
                                        ; implicit-def: $sgpr17
	s_delay_alu instid0(VALU_DEP_1)
	v_cmpx_lt_i16_e32 0x7f, v45
	s_xor_b32 s31, exec_lo, s31
	s_cbranch_execnz .LBB6_12912
; %bb.11219:                            ;   in Loop: Header=BB6_10858 Depth=3
	s_or_saveexec_b32 s31, s31
	v_mov_b32_e32 v50, s17
	s_xor_b32 exec_lo, exec_lo, s31
	s_cbranch_execnz .LBB6_12915
.LBB6_11220:                            ;   in Loop: Header=BB6_10858 Depth=3
	s_or_b32 exec_lo, exec_lo, s31
	s_and_saveexec_b32 s17, s13
	s_cbranch_execz .LBB6_11222
.LBB6_11221:                            ;   in Loop: Header=BB6_10858 Depth=3
	v_bfe_u32 v47, v51, 3, 4
	v_lshlrev_b32_e32 v56, 24, v51
	s_delay_alu instid0(VALU_DEP_2) | instskip(SKIP_1) | instid1(VALU_DEP_1)
	v_cmp_eq_u32_e32 vcc_lo, 0, v47
	v_and_b32_e32 v50, 7, v51
	v_clz_i32_u32_e32 v45, v50
	s_delay_alu instid0(VALU_DEP_1) | instskip(NEXT) | instid1(VALU_DEP_1)
	v_min_u32_e32 v45, 32, v45
	v_subrev_nc_u32_e32 v46, 28, v45
	v_sub_nc_u32_e32 v45, 29, v45
	s_delay_alu instid0(VALU_DEP_1) | instskip(NEXT) | instid1(VALU_DEP_1)
	v_dual_cndmask_b32 v45, v47, v45 :: v_dual_lshlrev_b32 v46, v46, v51
	v_and_b32_e32 v46, 7, v46
	s_delay_alu instid0(VALU_DEP_2) | instskip(NEXT) | instid1(VALU_DEP_2)
	v_lshl_add_u32 v45, v45, 23, 0x3b800000
	v_cndmask_b32_e32 v50, v50, v46, vcc_lo
	v_and_b32_e32 v46, 0x80000000, v56
	s_delay_alu instid0(VALU_DEP_2) | instskip(NEXT) | instid1(VALU_DEP_1)
	v_lshlrev_b32_e32 v50, 20, v50
	v_or3_b32 v50, v46, v45, v50
.LBB6_11222:                            ;   in Loop: Header=BB6_10858 Depth=3
	s_or_b32 exec_lo, exec_lo, s17
	v_and_b32_e32 v46, 0xff, v39
	s_mov_b32 s13, 0
	s_mov_b32 s31, exec_lo
                                        ; implicit-def: $sgpr17
	s_delay_alu instid0(VALU_DEP_1)
	v_cmpx_lt_i16_e32 0x7f, v46
	s_xor_b32 s31, exec_lo, s31
	s_cbranch_execnz .LBB6_12916
; %bb.11223:                            ;   in Loop: Header=BB6_10858 Depth=3
	s_or_saveexec_b32 s31, s31
	v_mov_b32_e32 v45, s17
	s_xor_b32 exec_lo, exec_lo, s31
	s_cbranch_execnz .LBB6_12919
.LBB6_11224:                            ;   in Loop: Header=BB6_10858 Depth=3
	s_or_b32 exec_lo, exec_lo, s31
	s_and_saveexec_b32 s17, s13
	s_cbranch_execz .LBB6_11226
.LBB6_11225:                            ;   in Loop: Header=BB6_10858 Depth=3
	v_bfe_u32 v56, v39, 3, 4
	v_lshlrev_b32_e32 v57, 24, v39
	s_delay_alu instid0(VALU_DEP_2) | instskip(SKIP_1) | instid1(VALU_DEP_1)
	v_cmp_eq_u32_e32 vcc_lo, 0, v56
	v_and_b32_e32 v45, 7, v39
	v_clz_i32_u32_e32 v46, v45
	s_delay_alu instid0(VALU_DEP_1) | instskip(NEXT) | instid1(VALU_DEP_1)
	v_min_u32_e32 v46, 32, v46
	v_subrev_nc_u32_e32 v47, 28, v46
	v_sub_nc_u32_e32 v46, 29, v46
	s_delay_alu instid0(VALU_DEP_1) | instskip(NEXT) | instid1(VALU_DEP_1)
	v_dual_cndmask_b32 v46, v56, v46 :: v_dual_lshlrev_b32 v47, v47, v39
	v_and_b32_e32 v47, 7, v47
	s_delay_alu instid0(VALU_DEP_2) | instskip(NEXT) | instid1(VALU_DEP_2)
	v_lshl_add_u32 v46, v46, 23, 0x3b800000
	v_cndmask_b32_e32 v45, v45, v47, vcc_lo
	v_and_b32_e32 v47, 0x80000000, v57
	s_delay_alu instid0(VALU_DEP_2) | instskip(NEXT) | instid1(VALU_DEP_1)
	v_lshlrev_b32_e32 v45, 20, v45
	v_or3_b32 v45, v47, v46, v45
.LBB6_11226:                            ;   in Loop: Header=BB6_10858 Depth=3
	s_or_b32 exec_lo, exec_lo, s17
	s_delay_alu instid0(VALU_DEP_1) | instskip(NEXT) | instid1(VALU_DEP_1)
	v_dual_max_f32 v45, v45, v45 :: v_dual_max_f32 v50, v50, v50
	v_min_f32_e32 v45, v50, v45
.LBB6_11227:                            ;   in Loop: Header=BB6_10858 Depth=3
	s_delay_alu instid0(VALU_DEP_1) | instskip(NEXT) | instid1(VALU_DEP_1)
	v_and_b32_e32 v50, 0x7f800000, v45
	v_cmp_ne_u32_e32 vcc_lo, 0x7f800000, v50
	v_mov_b32_e32 v50, 0x80
	s_and_saveexec_b32 s17, vcc_lo
	s_cbranch_execz .LBB6_11235
; %bb.11228:                            ;   in Loop: Header=BB6_10858 Depth=3
	v_mov_b32_e32 v50, 0
	s_mov_b32 s31, exec_lo
	v_cmpx_ne_u32_e32 0, v45
	s_cbranch_execz .LBB6_11234
; %bb.11229:                            ;   in Loop: Header=BB6_10858 Depth=3
	v_bfe_u32 v50, v45, 23, 8
	s_delay_alu instid0(VALU_DEP_1) | instskip(SKIP_1) | instid1(VALU_DEP_2)
	v_sub_nc_u32_e32 v47, 0x78, v50
	v_cmp_gt_u32_e32 vcc_lo, 0x79, v50
	v_dual_cndmask_b32 v47, 0, v47 :: v_dual_and_b32 v46, 0x7fffff, v45
	s_delay_alu instid0(VALU_DEP_1) | instskip(SKIP_2) | instid1(VALU_DEP_4)
	v_or_b32_e32 v56, 0x800000, v46
	v_cmp_eq_u32_e32 vcc_lo, 0, v50
	v_add_nc_u32_e32 v50, 0xffffff89, v50
	v_cndmask_b32_e64 v47, v47, 0x77, vcc_lo
	s_delay_alu instid0(VALU_DEP_4) | instskip(NEXT) | instid1(VALU_DEP_3)
	v_cndmask_b32_e32 v46, v56, v46, vcc_lo
	v_cndmask_b32_e64 v50, v50, 0xffffff8a, vcc_lo
	s_delay_alu instid0(VALU_DEP_3) | instskip(NEXT) | instid1(VALU_DEP_3)
	v_lshl_add_u32 v56, 0x100000, v47, -1
	v_lshrrev_b32_e32 v57, v47, v46
	v_lshlrev_b32_e64 v59, v47, 0x80000
	s_delay_alu instid0(VALU_DEP_4) | instskip(NEXT) | instid1(VALU_DEP_4)
	v_add_nc_u32_e32 v47, v47, v50
	v_and_b32_e32 v46, v56, v46
	s_delay_alu instid0(VALU_DEP_4) | instskip(NEXT) | instid1(VALU_DEP_2)
	v_bfe_u32 v58, v57, 20, 1
	v_cmp_eq_u32_e64 s13, v46, v59
	s_delay_alu instid0(VALU_DEP_2) | instskip(NEXT) | instid1(VALU_DEP_1)
	v_add_nc_u32_e32 v56, -1, v58
	v_cndmask_b32_e64 v46, 0, v56, s13
	v_lshrrev_b32_e32 v56, 23, v57
	s_mov_b32 s13, exec_lo
	s_delay_alu instid0(VALU_DEP_2) | instskip(NEXT) | instid1(VALU_DEP_2)
	v_add_nc_u32_e32 v46, v46, v57
	v_xor_b32_e32 v56, 1, v56
	s_delay_alu instid0(VALU_DEP_2) | instskip(NEXT) | instid1(VALU_DEP_1)
	v_and_b32_e32 v50, 0xfffff, v46
	v_add_nc_u32_e32 v46, v50, v57
                                        ; implicit-def: $vgpr50
	s_delay_alu instid0(VALU_DEP_3)
	v_cmpx_ne_u32_e64 v47, v56
	s_xor_b32 s13, exec_lo, s13
; %bb.11230:                            ;   in Loop: Header=BB6_10858 Depth=3
	s_delay_alu instid0(VALU_DEP_2) | instskip(SKIP_2) | instid1(VALU_DEP_2)
	v_cmp_lt_u32_e32 vcc_lo, 0xffffff, v46
	v_sub_nc_u32_e32 v50, v47, v56
	v_cndmask_b32_e64 v47, 0, 1, vcc_lo
	v_add_co_ci_u32_e32 v50, vcc_lo, 0, v50, vcc_lo
	s_delay_alu instid0(VALU_DEP_2)
	v_lshrrev_b32_e32 v46, v47, v46
; %bb.11231:                            ;   in Loop: Header=BB6_10858 Depth=3
	s_and_not1_saveexec_b32 s13, s13
; %bb.11232:                            ;   in Loop: Header=BB6_10858 Depth=3
	s_delay_alu instid0(VALU_DEP_1)
	v_bfe_u32 v50, v46, 23, 1
; %bb.11233:                            ;   in Loop: Header=BB6_10858 Depth=3
	s_or_b32 exec_lo, exec_lo, s13
	v_lshrrev_b32_e32 v46, 20, v46
	s_delay_alu instid0(VALU_DEP_2) | instskip(SKIP_2) | instid1(VALU_DEP_2)
	v_cmp_gt_i32_e32 vcc_lo, 16, v50
	v_lshrrev_b32_e32 v45, 24, v45
	v_min_i32_e32 v47, 15, v50
	v_dual_cndmask_b32 v46, 7, v46 :: v_dual_and_b32 v45, 0x80, v45
	s_delay_alu instid0(VALU_DEP_1) | instskip(SKIP_1) | instid1(VALU_DEP_2)
	v_or_b32_e32 v50, v50, v46
	v_and_b32_e32 v56, 7, v46
	v_cmp_ne_u32_e32 vcc_lo, 0, v50
	v_lshlrev_b32_e32 v47, 3, v47
	s_delay_alu instid0(VALU_DEP_1) | instskip(NEXT) | instid1(VALU_DEP_1)
	v_or3_b32 v45, v47, v45, v56
	v_cndmask_b32_e32 v50, 0, v45, vcc_lo
.LBB6_11234:                            ;   in Loop: Header=BB6_10858 Depth=3
	s_or_b32 exec_lo, exec_lo, s31
.LBB6_11235:                            ;   in Loop: Header=BB6_10858 Depth=3
	s_delay_alu instid0(SALU_CYCLE_1)
	s_or_b32 exec_lo, exec_lo, s17
	v_lshrrev_b16 v46, 8, v51
	v_lshrrev_b16 v45, 8, v39
	s_and_b32 vcc_lo, exec_lo, s16
	s_cbranch_vccz .LBB6_11245
; %bb.11236:                            ;   in Loop: Header=BB6_10858 Depth=3
	s_mov_b32 s13, 0
	s_mov_b32 s31, exec_lo
                                        ; implicit-def: $sgpr17
	v_cmpx_lt_i16_e32 0x7f, v46
	s_xor_b32 s31, exec_lo, s31
	s_cbranch_execnz .LBB6_12920
; %bb.11237:                            ;   in Loop: Header=BB6_10858 Depth=3
	s_or_saveexec_b32 s31, s31
	v_mov_b32_e32 v47, s17
	s_xor_b32 exec_lo, exec_lo, s31
	s_cbranch_execnz .LBB6_12923
.LBB6_11238:                            ;   in Loop: Header=BB6_10858 Depth=3
	s_or_b32 exec_lo, exec_lo, s31
	s_and_saveexec_b32 s17, s13
	s_cbranch_execz .LBB6_11240
.LBB6_11239:                            ;   in Loop: Header=BB6_10858 Depth=3
	v_and_b32_e32 v47, 0xffff, v46
	s_delay_alu instid0(VALU_DEP_1) | instskip(NEXT) | instid1(VALU_DEP_1)
	v_and_b32_e32 v56, 7, v47
	v_clz_i32_u32_e32 v57, v56
	s_delay_alu instid0(VALU_DEP_1) | instskip(NEXT) | instid1(VALU_DEP_1)
	v_min_u32_e32 v57, 32, v57
	v_subrev_nc_u32_e32 v58, 28, v57
	v_sub_nc_u32_e32 v57, 29, v57
	s_delay_alu instid0(VALU_DEP_2) | instskip(SKIP_1) | instid1(VALU_DEP_2)
	v_lshlrev_b32_e32 v58, v58, v47
	v_bfe_u32 v47, v47, 3, 4
	v_and_b32_e32 v58, 7, v58
	s_delay_alu instid0(VALU_DEP_2) | instskip(SKIP_1) | instid1(VALU_DEP_3)
	v_cmp_eq_u32_e32 vcc_lo, 0, v47
	v_cndmask_b32_e32 v47, v47, v57, vcc_lo
	v_dual_cndmask_b32 v56, v56, v58 :: v_dual_lshlrev_b32 v59, 16, v51
	s_delay_alu instid0(VALU_DEP_2) | instskip(NEXT) | instid1(VALU_DEP_2)
	v_lshl_add_u32 v47, v47, 23, 0x3b800000
	v_and_b32_e32 v57, 0x80000000, v59
	s_delay_alu instid0(VALU_DEP_3) | instskip(NEXT) | instid1(VALU_DEP_1)
	v_lshlrev_b32_e32 v56, 20, v56
	v_or3_b32 v47, v57, v47, v56
.LBB6_11240:                            ;   in Loop: Header=BB6_10858 Depth=3
	s_or_b32 exec_lo, exec_lo, s17
	s_mov_b32 s13, 0
	s_mov_b32 s31, exec_lo
                                        ; implicit-def: $sgpr17
	v_cmpx_lt_i16_e32 0x7f, v45
	s_xor_b32 s31, exec_lo, s31
	s_cbranch_execnz .LBB6_12924
; %bb.11241:                            ;   in Loop: Header=BB6_10858 Depth=3
	s_or_saveexec_b32 s31, s31
	v_mov_b32_e32 v56, s17
	s_xor_b32 exec_lo, exec_lo, s31
	s_cbranch_execnz .LBB6_12927
.LBB6_11242:                            ;   in Loop: Header=BB6_10858 Depth=3
	s_or_b32 exec_lo, exec_lo, s31
	s_and_saveexec_b32 s17, s13
	s_cbranch_execz .LBB6_11244
.LBB6_11243:                            ;   in Loop: Header=BB6_10858 Depth=3
	v_and_b32_e32 v56, 0xffff, v45
	v_lshlrev_b32_e32 v60, 16, v39
	s_delay_alu instid0(VALU_DEP_2) | instskip(NEXT) | instid1(VALU_DEP_1)
	v_and_b32_e32 v57, 7, v56
	v_clz_i32_u32_e32 v58, v57
	s_delay_alu instid0(VALU_DEP_1) | instskip(NEXT) | instid1(VALU_DEP_1)
	v_min_u32_e32 v58, 32, v58
	v_subrev_nc_u32_e32 v59, 28, v58
	v_sub_nc_u32_e32 v58, 29, v58
	s_delay_alu instid0(VALU_DEP_2) | instskip(SKIP_1) | instid1(VALU_DEP_2)
	v_lshlrev_b32_e32 v59, v59, v56
	v_bfe_u32 v56, v56, 3, 4
	v_and_b32_e32 v59, 7, v59
	s_delay_alu instid0(VALU_DEP_2) | instskip(NEXT) | instid1(VALU_DEP_2)
	v_cmp_eq_u32_e32 vcc_lo, 0, v56
	v_dual_cndmask_b32 v56, v56, v58 :: v_dual_cndmask_b32 v57, v57, v59
	v_and_b32_e32 v58, 0x80000000, v60
	s_delay_alu instid0(VALU_DEP_2) | instskip(NEXT) | instid1(VALU_DEP_3)
	v_lshl_add_u32 v56, v56, 23, 0x3b800000
	v_lshlrev_b32_e32 v57, 20, v57
	s_delay_alu instid0(VALU_DEP_1)
	v_or3_b32 v56, v58, v56, v57
.LBB6_11244:                            ;   in Loop: Header=BB6_10858 Depth=3
	s_or_b32 exec_lo, exec_lo, s17
	s_delay_alu instid0(VALU_DEP_1) | instskip(SKIP_1) | instid1(VALU_DEP_1)
	v_dual_max_f32 v56, v56, v56 :: v_dual_max_f32 v47, v47, v47
	s_mov_b32 s13, 0
	v_max_f32_e32 v47, v47, v56
	s_branch .LBB6_11246
.LBB6_11245:                            ;   in Loop: Header=BB6_10858 Depth=3
	s_mov_b32 s13, -1
                                        ; implicit-def: $vgpr47
.LBB6_11246:                            ;   in Loop: Header=BB6_10858 Depth=3
	s_delay_alu instid0(SALU_CYCLE_1)
	s_and_b32 vcc_lo, exec_lo, s13
	s_cbranch_vccz .LBB6_11256
; %bb.11247:                            ;   in Loop: Header=BB6_10858 Depth=3
	s_mov_b32 s13, 0
	s_mov_b32 s31, exec_lo
                                        ; implicit-def: $sgpr17
	v_cmpx_lt_i16_e32 0x7f, v46
	s_xor_b32 s31, exec_lo, s31
	s_cbranch_execnz .LBB6_12928
; %bb.11248:                            ;   in Loop: Header=BB6_10858 Depth=3
	s_or_saveexec_b32 s31, s31
	v_mov_b32_e32 v47, s17
	s_xor_b32 exec_lo, exec_lo, s31
	s_cbranch_execnz .LBB6_12931
.LBB6_11249:                            ;   in Loop: Header=BB6_10858 Depth=3
	s_or_b32 exec_lo, exec_lo, s31
	s_and_saveexec_b32 s17, s13
	s_cbranch_execz .LBB6_11251
.LBB6_11250:                            ;   in Loop: Header=BB6_10858 Depth=3
	v_and_b32_e32 v46, 0xffff, v46
	v_lshlrev_b32_e32 v58, 16, v51
	s_delay_alu instid0(VALU_DEP_2) | instskip(NEXT) | instid1(VALU_DEP_1)
	v_and_b32_e32 v47, 7, v46
	v_clz_i32_u32_e32 v56, v47
	s_delay_alu instid0(VALU_DEP_1) | instskip(NEXT) | instid1(VALU_DEP_1)
	v_min_u32_e32 v56, 32, v56
	v_subrev_nc_u32_e32 v57, 28, v56
	v_sub_nc_u32_e32 v56, 29, v56
	s_delay_alu instid0(VALU_DEP_2) | instskip(SKIP_1) | instid1(VALU_DEP_2)
	v_lshlrev_b32_e32 v57, v57, v46
	v_bfe_u32 v46, v46, 3, 4
	v_and_b32_e32 v57, 7, v57
	s_delay_alu instid0(VALU_DEP_2) | instskip(NEXT) | instid1(VALU_DEP_2)
	v_cmp_eq_u32_e32 vcc_lo, 0, v46
	v_dual_cndmask_b32 v46, v46, v56 :: v_dual_cndmask_b32 v47, v47, v57
	v_and_b32_e32 v56, 0x80000000, v58
	s_delay_alu instid0(VALU_DEP_2) | instskip(NEXT) | instid1(VALU_DEP_3)
	v_lshl_add_u32 v46, v46, 23, 0x3b800000
	v_lshlrev_b32_e32 v47, 20, v47
	s_delay_alu instid0(VALU_DEP_1)
	v_or3_b32 v47, v56, v46, v47
.LBB6_11251:                            ;   in Loop: Header=BB6_10858 Depth=3
	s_or_b32 exec_lo, exec_lo, s17
	s_mov_b32 s13, 0
	s_mov_b32 s31, exec_lo
                                        ; implicit-def: $sgpr17
	v_cmpx_lt_i16_e32 0x7f, v45
	s_xor_b32 s31, exec_lo, s31
	s_cbranch_execnz .LBB6_12932
; %bb.11252:                            ;   in Loop: Header=BB6_10858 Depth=3
	s_or_saveexec_b32 s31, s31
	v_mov_b32_e32 v46, s17
	s_xor_b32 exec_lo, exec_lo, s31
	s_cbranch_execnz .LBB6_12935
.LBB6_11253:                            ;   in Loop: Header=BB6_10858 Depth=3
	s_or_b32 exec_lo, exec_lo, s31
	s_and_saveexec_b32 s17, s13
	s_cbranch_execz .LBB6_11255
.LBB6_11254:                            ;   in Loop: Header=BB6_10858 Depth=3
	v_and_b32_e32 v45, 0xffff, v45
	v_lshlrev_b32_e32 v58, 16, v39
	s_delay_alu instid0(VALU_DEP_2) | instskip(NEXT) | instid1(VALU_DEP_1)
	v_and_b32_e32 v46, 7, v45
	v_clz_i32_u32_e32 v56, v46
	s_delay_alu instid0(VALU_DEP_1) | instskip(NEXT) | instid1(VALU_DEP_1)
	v_min_u32_e32 v56, 32, v56
	v_subrev_nc_u32_e32 v57, 28, v56
	v_sub_nc_u32_e32 v56, 29, v56
	s_delay_alu instid0(VALU_DEP_2) | instskip(SKIP_1) | instid1(VALU_DEP_2)
	v_lshlrev_b32_e32 v57, v57, v45
	v_bfe_u32 v45, v45, 3, 4
	v_and_b32_e32 v57, 7, v57
	s_delay_alu instid0(VALU_DEP_2) | instskip(NEXT) | instid1(VALU_DEP_2)
	v_cmp_eq_u32_e32 vcc_lo, 0, v45
	v_dual_cndmask_b32 v45, v45, v56 :: v_dual_cndmask_b32 v46, v46, v57
	v_and_b32_e32 v56, 0x80000000, v58
	s_delay_alu instid0(VALU_DEP_2) | instskip(NEXT) | instid1(VALU_DEP_3)
	v_lshl_add_u32 v45, v45, 23, 0x3b800000
	v_lshlrev_b32_e32 v46, 20, v46
	s_delay_alu instid0(VALU_DEP_1)
	v_or3_b32 v46, v56, v45, v46
.LBB6_11255:                            ;   in Loop: Header=BB6_10858 Depth=3
	s_or_b32 exec_lo, exec_lo, s17
	s_delay_alu instid0(VALU_DEP_1) | instskip(NEXT) | instid1(VALU_DEP_1)
	v_dual_max_f32 v45, v46, v46 :: v_dual_max_f32 v46, v47, v47
	v_min_f32_e32 v47, v46, v45
.LBB6_11256:                            ;   in Loop: Header=BB6_10858 Depth=3
	s_delay_alu instid0(VALU_DEP_1) | instskip(NEXT) | instid1(VALU_DEP_1)
	v_and_b32_e32 v45, 0x7f800000, v47
	v_cmp_ne_u32_e32 vcc_lo, 0x7f800000, v45
	v_mov_b32_e32 v45, 0x80
	s_and_saveexec_b32 s17, vcc_lo
	s_cbranch_execz .LBB6_11264
; %bb.11257:                            ;   in Loop: Header=BB6_10858 Depth=3
	v_mov_b32_e32 v45, 0
	s_mov_b32 s31, exec_lo
	v_cmpx_ne_u32_e32 0, v47
	s_cbranch_execz .LBB6_11263
; %bb.11258:                            ;   in Loop: Header=BB6_10858 Depth=3
	v_bfe_u32 v45, v47, 23, 8
	v_and_b32_e32 v46, 0x7fffff, v47
	s_delay_alu instid0(VALU_DEP_2) | instskip(SKIP_1) | instid1(VALU_DEP_3)
	v_sub_nc_u32_e32 v56, 0x78, v45
	v_cmp_gt_u32_e32 vcc_lo, 0x79, v45
	v_or_b32_e32 v57, 0x800000, v46
	s_delay_alu instid0(VALU_DEP_3) | instskip(SKIP_2) | instid1(VALU_DEP_3)
	v_cndmask_b32_e32 v56, 0, v56, vcc_lo
	v_cmp_eq_u32_e32 vcc_lo, 0, v45
	v_add_nc_u32_e32 v45, 0xffffff89, v45
	v_cndmask_b32_e64 v56, v56, 0x77, vcc_lo
	v_cndmask_b32_e32 v46, v57, v46, vcc_lo
	s_delay_alu instid0(VALU_DEP_3) | instskip(NEXT) | instid1(VALU_DEP_3)
	v_cndmask_b32_e64 v45, v45, 0xffffff8a, vcc_lo
	v_lshl_add_u32 v57, 0x100000, v56, -1
	s_delay_alu instid0(VALU_DEP_3) | instskip(SKIP_1) | instid1(VALU_DEP_4)
	v_lshrrev_b32_e32 v58, v56, v46
	v_lshlrev_b32_e64 v60, v56, 0x80000
	v_add_nc_u32_e32 v56, v56, v45
	s_delay_alu instid0(VALU_DEP_4) | instskip(NEXT) | instid1(VALU_DEP_4)
	v_and_b32_e32 v46, v57, v46
	v_bfe_u32 v59, v58, 20, 1
	s_delay_alu instid0(VALU_DEP_2) | instskip(NEXT) | instid1(VALU_DEP_2)
	v_cmp_eq_u32_e64 s13, v46, v60
	v_add_nc_u32_e32 v57, -1, v59
	s_delay_alu instid0(VALU_DEP_1) | instskip(SKIP_2) | instid1(VALU_DEP_2)
	v_cndmask_b32_e64 v46, 0, v57, s13
	v_lshrrev_b32_e32 v57, 23, v58
	s_mov_b32 s13, exec_lo
	v_add_nc_u32_e32 v46, v46, v58
	s_delay_alu instid0(VALU_DEP_2) | instskip(NEXT) | instid1(VALU_DEP_2)
	v_xor_b32_e32 v57, 1, v57
	v_and_b32_e32 v45, 0xfffff, v46
	s_delay_alu instid0(VALU_DEP_1) | instskip(NEXT) | instid1(VALU_DEP_3)
	v_add_nc_u32_e32 v46, v45, v58
                                        ; implicit-def: $vgpr45
	v_cmpx_ne_u32_e64 v56, v57
	s_xor_b32 s13, exec_lo, s13
; %bb.11259:                            ;   in Loop: Header=BB6_10858 Depth=3
	s_delay_alu instid0(VALU_DEP_2) | instskip(SKIP_2) | instid1(VALU_DEP_2)
	v_cmp_lt_u32_e32 vcc_lo, 0xffffff, v46
	v_sub_nc_u32_e32 v45, v56, v57
	v_cndmask_b32_e64 v56, 0, 1, vcc_lo
	v_add_co_ci_u32_e32 v45, vcc_lo, 0, v45, vcc_lo
	s_delay_alu instid0(VALU_DEP_2)
	v_lshrrev_b32_e32 v46, v56, v46
; %bb.11260:                            ;   in Loop: Header=BB6_10858 Depth=3
	s_and_not1_saveexec_b32 s13, s13
; %bb.11261:                            ;   in Loop: Header=BB6_10858 Depth=3
	s_delay_alu instid0(VALU_DEP_1)
	v_bfe_u32 v45, v46, 23, 1
; %bb.11262:                            ;   in Loop: Header=BB6_10858 Depth=3
	s_or_b32 exec_lo, exec_lo, s13
	v_lshrrev_b32_e32 v46, 20, v46
	s_delay_alu instid0(VALU_DEP_2) | instskip(SKIP_2) | instid1(VALU_DEP_2)
	v_cmp_gt_i32_e32 vcc_lo, 16, v45
	v_lshrrev_b32_e32 v47, 24, v47
	v_min_i32_e32 v56, 15, v45
	v_dual_cndmask_b32 v46, 7, v46 :: v_dual_and_b32 v47, 0x80, v47
	s_delay_alu instid0(VALU_DEP_1) | instskip(SKIP_1) | instid1(VALU_DEP_2)
	v_or_b32_e32 v45, v45, v46
	v_and_b32_e32 v57, 7, v46
	v_cmp_ne_u32_e32 vcc_lo, 0, v45
	v_lshlrev_b32_e32 v56, 3, v56
	s_delay_alu instid0(VALU_DEP_1) | instskip(NEXT) | instid1(VALU_DEP_1)
	v_or3_b32 v46, v56, v47, v57
	v_cndmask_b32_e32 v45, 0, v46, vcc_lo
.LBB6_11263:                            ;   in Loop: Header=BB6_10858 Depth=3
	s_or_b32 exec_lo, exec_lo, s31
.LBB6_11264:                            ;   in Loop: Header=BB6_10858 Depth=3
	s_delay_alu instid0(SALU_CYCLE_1)
	s_or_b32 exec_lo, exec_lo, s17
	v_lshrrev_b32_e32 v47, 16, v51
	v_lshrrev_b32_e32 v46, 16, v39
	s_and_b32 vcc_lo, exec_lo, s16
	s_cbranch_vccz .LBB6_11274
; %bb.11265:                            ;   in Loop: Header=BB6_10858 Depth=3
	s_delay_alu instid0(VALU_DEP_2) | instskip(SKIP_2) | instid1(VALU_DEP_1)
	v_and_b32_e32 v57, 0xff, v47
	s_mov_b32 s13, 0
	s_mov_b32 s31, exec_lo
                                        ; implicit-def: $sgpr17
	v_cmpx_lt_i16_e32 0x7f, v57
	s_xor_b32 s31, exec_lo, s31
	s_cbranch_execnz .LBB6_12936
; %bb.11266:                            ;   in Loop: Header=BB6_10858 Depth=3
	s_or_saveexec_b32 s31, s31
	v_mov_b32_e32 v56, s17
	s_xor_b32 exec_lo, exec_lo, s31
	s_cbranch_execnz .LBB6_12939
.LBB6_11267:                            ;   in Loop: Header=BB6_10858 Depth=3
	s_or_b32 exec_lo, exec_lo, s31
	s_and_saveexec_b32 s17, s13
	s_cbranch_execz .LBB6_11269
.LBB6_11268:                            ;   in Loop: Header=BB6_10858 Depth=3
	v_bfe_u32 v56, v51, 16, 3
	v_bfe_u32 v59, v51, 19, 4
	v_lshlrev_b32_e32 v60, 24, v47
	s_delay_alu instid0(VALU_DEP_3) | instskip(NEXT) | instid1(VALU_DEP_3)
	v_clz_i32_u32_e32 v57, v56
	v_cmp_eq_u32_e32 vcc_lo, 0, v59
	s_delay_alu instid0(VALU_DEP_2) | instskip(NEXT) | instid1(VALU_DEP_1)
	v_min_u32_e32 v57, 32, v57
	v_subrev_nc_u32_e32 v58, 28, v57
	v_sub_nc_u32_e32 v57, 29, v57
	s_delay_alu instid0(VALU_DEP_1) | instskip(NEXT) | instid1(VALU_DEP_1)
	v_dual_cndmask_b32 v57, v59, v57 :: v_dual_lshlrev_b32 v58, v58, v47
	v_and_b32_e32 v58, 7, v58
	s_delay_alu instid0(VALU_DEP_2) | instskip(NEXT) | instid1(VALU_DEP_2)
	v_lshl_add_u32 v57, v57, 23, 0x3b800000
	v_cndmask_b32_e32 v56, v56, v58, vcc_lo
	v_and_b32_e32 v58, 0x80000000, v60
	s_delay_alu instid0(VALU_DEP_2) | instskip(NEXT) | instid1(VALU_DEP_1)
	v_lshlrev_b32_e32 v56, 20, v56
	v_or3_b32 v56, v58, v57, v56
.LBB6_11269:                            ;   in Loop: Header=BB6_10858 Depth=3
	s_or_b32 exec_lo, exec_lo, s17
	v_and_b32_e32 v58, 0xff, v46
	s_mov_b32 s13, 0
	s_mov_b32 s31, exec_lo
                                        ; implicit-def: $sgpr17
	s_delay_alu instid0(VALU_DEP_1)
	v_cmpx_lt_i16_e32 0x7f, v58
	s_xor_b32 s31, exec_lo, s31
	s_cbranch_execnz .LBB6_12940
; %bb.11270:                            ;   in Loop: Header=BB6_10858 Depth=3
	s_or_saveexec_b32 s31, s31
	v_mov_b32_e32 v57, s17
	s_xor_b32 exec_lo, exec_lo, s31
	s_cbranch_execnz .LBB6_12943
.LBB6_11271:                            ;   in Loop: Header=BB6_10858 Depth=3
	s_or_b32 exec_lo, exec_lo, s31
	s_and_saveexec_b32 s17, s13
	s_cbranch_execz .LBB6_11273
.LBB6_11272:                            ;   in Loop: Header=BB6_10858 Depth=3
	v_bfe_u32 v57, v39, 16, 3
	v_bfe_u32 v60, v39, 19, 4
	v_lshlrev_b32_e32 v61, 24, v46
	s_delay_alu instid0(VALU_DEP_3) | instskip(NEXT) | instid1(VALU_DEP_3)
	v_clz_i32_u32_e32 v58, v57
	v_cmp_eq_u32_e32 vcc_lo, 0, v60
	s_delay_alu instid0(VALU_DEP_2) | instskip(NEXT) | instid1(VALU_DEP_1)
	v_min_u32_e32 v58, 32, v58
	v_subrev_nc_u32_e32 v59, 28, v58
	v_sub_nc_u32_e32 v58, 29, v58
	s_delay_alu instid0(VALU_DEP_2) | instskip(NEXT) | instid1(VALU_DEP_1)
	v_lshlrev_b32_e32 v59, v59, v46
	v_dual_cndmask_b32 v58, v60, v58 :: v_dual_and_b32 v59, 7, v59
	s_delay_alu instid0(VALU_DEP_1) | instskip(NEXT) | instid1(VALU_DEP_2)
	v_lshl_add_u32 v58, v58, 23, 0x3b800000
	v_cndmask_b32_e32 v57, v57, v59, vcc_lo
	v_and_b32_e32 v59, 0x80000000, v61
	s_delay_alu instid0(VALU_DEP_2) | instskip(NEXT) | instid1(VALU_DEP_1)
	v_lshlrev_b32_e32 v57, 20, v57
	v_or3_b32 v57, v59, v58, v57
.LBB6_11273:                            ;   in Loop: Header=BB6_10858 Depth=3
	s_or_b32 exec_lo, exec_lo, s17
	s_delay_alu instid0(VALU_DEP_1) | instskip(SKIP_1) | instid1(VALU_DEP_1)
	v_dual_max_f32 v57, v57, v57 :: v_dual_max_f32 v56, v56, v56
	s_mov_b32 s13, 0
	v_max_f32_e32 v56, v56, v57
	s_branch .LBB6_11275
.LBB6_11274:                            ;   in Loop: Header=BB6_10858 Depth=3
	s_mov_b32 s13, -1
                                        ; implicit-def: $vgpr56
.LBB6_11275:                            ;   in Loop: Header=BB6_10858 Depth=3
	s_delay_alu instid0(SALU_CYCLE_1)
	s_and_b32 vcc_lo, exec_lo, s13
	s_cbranch_vccz .LBB6_11285
; %bb.11276:                            ;   in Loop: Header=BB6_10858 Depth=3
	v_and_b32_e32 v57, 0xff, v47
	s_mov_b32 s13, 0
	s_mov_b32 s31, exec_lo
                                        ; implicit-def: $sgpr17
	s_delay_alu instid0(VALU_DEP_1)
	v_cmpx_lt_i16_e32 0x7f, v57
	s_xor_b32 s31, exec_lo, s31
	s_cbranch_execnz .LBB6_12944
; %bb.11277:                            ;   in Loop: Header=BB6_10858 Depth=3
	s_or_saveexec_b32 s31, s31
	v_mov_b32_e32 v56, s17
	s_xor_b32 exec_lo, exec_lo, s31
	s_cbranch_execnz .LBB6_12947
.LBB6_11278:                            ;   in Loop: Header=BB6_10858 Depth=3
	s_or_b32 exec_lo, exec_lo, s31
	s_and_saveexec_b32 s17, s13
	s_cbranch_execz .LBB6_11280
.LBB6_11279:                            ;   in Loop: Header=BB6_10858 Depth=3
	v_bfe_u32 v56, v51, 16, 3
	v_bfe_u32 v59, v51, 19, 4
	s_delay_alu instid0(VALU_DEP_2) | instskip(NEXT) | instid1(VALU_DEP_2)
	v_clz_i32_u32_e32 v57, v56
	v_cmp_eq_u32_e32 vcc_lo, 0, v59
	s_delay_alu instid0(VALU_DEP_2) | instskip(NEXT) | instid1(VALU_DEP_1)
	v_min_u32_e32 v57, 32, v57
	v_subrev_nc_u32_e32 v58, 28, v57
	v_sub_nc_u32_e32 v57, 29, v57
	s_delay_alu instid0(VALU_DEP_1) | instskip(NEXT) | instid1(VALU_DEP_1)
	v_dual_cndmask_b32 v57, v59, v57 :: v_dual_lshlrev_b32 v58, v58, v47
	v_and_b32_e32 v58, 7, v58
	v_lshlrev_b32_e32 v47, 24, v47
	s_delay_alu instid0(VALU_DEP_3) | instskip(NEXT) | instid1(VALU_DEP_2)
	v_lshl_add_u32 v57, v57, 23, 0x3b800000
	v_dual_cndmask_b32 v56, v56, v58 :: v_dual_and_b32 v47, 0x80000000, v47
	s_delay_alu instid0(VALU_DEP_1) | instskip(NEXT) | instid1(VALU_DEP_1)
	v_lshlrev_b32_e32 v56, 20, v56
	v_or3_b32 v56, v47, v57, v56
.LBB6_11280:                            ;   in Loop: Header=BB6_10858 Depth=3
	s_or_b32 exec_lo, exec_lo, s17
	v_and_b32_e32 v57, 0xff, v46
	s_mov_b32 s13, 0
	s_mov_b32 s31, exec_lo
                                        ; implicit-def: $sgpr17
	s_delay_alu instid0(VALU_DEP_1)
	v_cmpx_lt_i16_e32 0x7f, v57
	s_xor_b32 s31, exec_lo, s31
	s_cbranch_execnz .LBB6_12948
; %bb.11281:                            ;   in Loop: Header=BB6_10858 Depth=3
	s_or_saveexec_b32 s31, s31
	v_mov_b32_e32 v47, s17
	s_xor_b32 exec_lo, exec_lo, s31
	s_cbranch_execnz .LBB6_12951
.LBB6_11282:                            ;   in Loop: Header=BB6_10858 Depth=3
	s_or_b32 exec_lo, exec_lo, s31
	s_and_saveexec_b32 s17, s13
	s_cbranch_execz .LBB6_11284
.LBB6_11283:                            ;   in Loop: Header=BB6_10858 Depth=3
	v_bfe_u32 v47, v39, 16, 3
	v_bfe_u32 v59, v39, 19, 4
	s_delay_alu instid0(VALU_DEP_2) | instskip(NEXT) | instid1(VALU_DEP_2)
	v_clz_i32_u32_e32 v57, v47
	v_cmp_eq_u32_e32 vcc_lo, 0, v59
	s_delay_alu instid0(VALU_DEP_2) | instskip(NEXT) | instid1(VALU_DEP_1)
	v_min_u32_e32 v57, 32, v57
	v_subrev_nc_u32_e32 v58, 28, v57
	v_sub_nc_u32_e32 v57, 29, v57
	s_delay_alu instid0(VALU_DEP_1) | instskip(SKIP_1) | instid1(VALU_DEP_2)
	v_dual_cndmask_b32 v57, v59, v57 :: v_dual_lshlrev_b32 v58, v58, v46
	v_lshlrev_b32_e32 v46, 24, v46
	v_and_b32_e32 v58, 7, v58
	s_delay_alu instid0(VALU_DEP_3) | instskip(NEXT) | instid1(VALU_DEP_3)
	v_lshl_add_u32 v57, v57, 23, 0x3b800000
	v_and_b32_e32 v46, 0x80000000, v46
	s_delay_alu instid0(VALU_DEP_3) | instskip(NEXT) | instid1(VALU_DEP_1)
	v_cndmask_b32_e32 v47, v47, v58, vcc_lo
	v_lshlrev_b32_e32 v47, 20, v47
	s_delay_alu instid0(VALU_DEP_1)
	v_or3_b32 v47, v46, v57, v47
.LBB6_11284:                            ;   in Loop: Header=BB6_10858 Depth=3
	s_or_b32 exec_lo, exec_lo, s17
	s_delay_alu instid0(VALU_DEP_1) | instskip(NEXT) | instid1(VALU_DEP_1)
	v_dual_max_f32 v46, v47, v47 :: v_dual_max_f32 v47, v56, v56
	v_min_f32_e32 v56, v47, v46
.LBB6_11285:                            ;   in Loop: Header=BB6_10858 Depth=3
	s_delay_alu instid0(VALU_DEP_1) | instskip(NEXT) | instid1(VALU_DEP_1)
	v_and_b32_e32 v46, 0x7f800000, v56
	v_cmp_ne_u32_e32 vcc_lo, 0x7f800000, v46
	v_mov_b32_e32 v46, 0x80
	s_and_saveexec_b32 s17, vcc_lo
	s_cbranch_execz .LBB6_11293
; %bb.11286:                            ;   in Loop: Header=BB6_10858 Depth=3
	v_mov_b32_e32 v46, 0
	s_mov_b32 s31, exec_lo
	v_cmpx_ne_u32_e32 0, v56
	s_cbranch_execz .LBB6_11292
; %bb.11287:                            ;   in Loop: Header=BB6_10858 Depth=3
	v_bfe_u32 v46, v56, 23, 8
	v_and_b32_e32 v47, 0x7fffff, v56
	s_delay_alu instid0(VALU_DEP_2) | instskip(SKIP_1) | instid1(VALU_DEP_3)
	v_sub_nc_u32_e32 v57, 0x78, v46
	v_cmp_gt_u32_e32 vcc_lo, 0x79, v46
	v_or_b32_e32 v58, 0x800000, v47
	s_delay_alu instid0(VALU_DEP_3) | instskip(SKIP_2) | instid1(VALU_DEP_3)
	v_cndmask_b32_e32 v57, 0, v57, vcc_lo
	v_cmp_eq_u32_e32 vcc_lo, 0, v46
	v_add_nc_u32_e32 v46, 0xffffff89, v46
	v_cndmask_b32_e64 v57, v57, 0x77, vcc_lo
	v_cndmask_b32_e32 v47, v58, v47, vcc_lo
	s_delay_alu instid0(VALU_DEP_3) | instskip(NEXT) | instid1(VALU_DEP_3)
	v_cndmask_b32_e64 v46, v46, 0xffffff8a, vcc_lo
	v_lshl_add_u32 v58, 0x100000, v57, -1
	s_delay_alu instid0(VALU_DEP_3) | instskip(SKIP_1) | instid1(VALU_DEP_4)
	v_lshrrev_b32_e32 v59, v57, v47
	v_lshlrev_b32_e64 v61, v57, 0x80000
	v_add_nc_u32_e32 v57, v57, v46
	s_delay_alu instid0(VALU_DEP_4) | instskip(NEXT) | instid1(VALU_DEP_4)
	v_and_b32_e32 v47, v58, v47
	v_bfe_u32 v60, v59, 20, 1
	s_delay_alu instid0(VALU_DEP_2) | instskip(NEXT) | instid1(VALU_DEP_2)
	v_cmp_eq_u32_e64 s13, v47, v61
	v_add_nc_u32_e32 v58, -1, v60
	s_delay_alu instid0(VALU_DEP_1) | instskip(SKIP_2) | instid1(VALU_DEP_2)
	v_cndmask_b32_e64 v47, 0, v58, s13
	v_lshrrev_b32_e32 v58, 23, v59
	s_mov_b32 s13, exec_lo
	v_add_nc_u32_e32 v47, v47, v59
	s_delay_alu instid0(VALU_DEP_2) | instskip(NEXT) | instid1(VALU_DEP_2)
	v_xor_b32_e32 v58, 1, v58
	v_and_b32_e32 v46, 0xfffff, v47
	s_delay_alu instid0(VALU_DEP_1) | instskip(NEXT) | instid1(VALU_DEP_3)
	v_add_nc_u32_e32 v47, v46, v59
                                        ; implicit-def: $vgpr46
	v_cmpx_ne_u32_e64 v57, v58
	s_xor_b32 s13, exec_lo, s13
; %bb.11288:                            ;   in Loop: Header=BB6_10858 Depth=3
	s_delay_alu instid0(VALU_DEP_2) | instskip(SKIP_2) | instid1(VALU_DEP_2)
	v_cmp_lt_u32_e32 vcc_lo, 0xffffff, v47
	v_sub_nc_u32_e32 v46, v57, v58
	v_cndmask_b32_e64 v57, 0, 1, vcc_lo
	v_add_co_ci_u32_e32 v46, vcc_lo, 0, v46, vcc_lo
	s_delay_alu instid0(VALU_DEP_2)
	v_lshrrev_b32_e32 v47, v57, v47
; %bb.11289:                            ;   in Loop: Header=BB6_10858 Depth=3
	s_and_not1_saveexec_b32 s13, s13
; %bb.11290:                            ;   in Loop: Header=BB6_10858 Depth=3
	s_delay_alu instid0(VALU_DEP_1)
	v_bfe_u32 v46, v47, 23, 1
; %bb.11291:                            ;   in Loop: Header=BB6_10858 Depth=3
	s_or_b32 exec_lo, exec_lo, s13
	v_lshrrev_b32_e32 v47, 20, v47
	s_delay_alu instid0(VALU_DEP_2) | instskip(SKIP_2) | instid1(VALU_DEP_2)
	v_cmp_gt_i32_e32 vcc_lo, 16, v46
	v_lshrrev_b32_e32 v56, 24, v56
	v_min_i32_e32 v57, 15, v46
	v_dual_cndmask_b32 v47, 7, v47 :: v_dual_and_b32 v56, 0x80, v56
	s_delay_alu instid0(VALU_DEP_1) | instskip(SKIP_1) | instid1(VALU_DEP_2)
	v_or_b32_e32 v46, v46, v47
	v_and_b32_e32 v58, 7, v47
	v_cmp_ne_u32_e32 vcc_lo, 0, v46
	v_lshlrev_b32_e32 v57, 3, v57
	s_delay_alu instid0(VALU_DEP_1) | instskip(NEXT) | instid1(VALU_DEP_1)
	v_and_b32_e32 v57, 0xf8, v57
	v_or3_b32 v47, v57, v56, v58
	s_delay_alu instid0(VALU_DEP_1)
	v_cndmask_b32_e32 v46, 0, v47, vcc_lo
.LBB6_11292:                            ;   in Loop: Header=BB6_10858 Depth=3
	s_or_b32 exec_lo, exec_lo, s31
.LBB6_11293:                            ;   in Loop: Header=BB6_10858 Depth=3
	s_delay_alu instid0(SALU_CYCLE_1)
	s_or_b32 exec_lo, exec_lo, s17
	v_lshrrev_b32_e32 v56, 24, v51
	v_lshrrev_b32_e32 v47, 24, v39
	s_and_b32 vcc_lo, exec_lo, s16
	s_cbranch_vccz .LBB6_11303
; %bb.11294:                            ;   in Loop: Header=BB6_10858 Depth=3
	s_mov_b32 s13, 0
	s_mov_b32 s31, exec_lo
                                        ; implicit-def: $sgpr17
	v_cmpx_lt_i16_e32 0x7f, v56
	s_xor_b32 s31, exec_lo, s31
	s_cbranch_execnz .LBB6_12952
; %bb.11295:                            ;   in Loop: Header=BB6_10858 Depth=3
	s_or_saveexec_b32 s31, s31
	v_mov_b32_e32 v57, s17
	s_xor_b32 exec_lo, exec_lo, s31
	s_cbranch_execnz .LBB6_12955
.LBB6_11296:                            ;   in Loop: Header=BB6_10858 Depth=3
	s_or_b32 exec_lo, exec_lo, s31
	s_and_saveexec_b32 s17, s13
	s_cbranch_execz .LBB6_11298
.LBB6_11297:                            ;   in Loop: Header=BB6_10858 Depth=3
	v_bfe_u32 v57, v51, 24, 3
	v_bfe_u32 v60, v51, 27, 4
	s_delay_alu instid0(VALU_DEP_2) | instskip(NEXT) | instid1(VALU_DEP_2)
	v_clz_i32_u32_e32 v58, v57
	v_cmp_eq_u32_e32 vcc_lo, 0, v60
	s_delay_alu instid0(VALU_DEP_2) | instskip(NEXT) | instid1(VALU_DEP_1)
	v_min_u32_e32 v58, 32, v58
	v_subrev_nc_u32_e32 v59, 28, v58
	v_sub_nc_u32_e32 v58, 29, v58
	s_delay_alu instid0(VALU_DEP_1) | instskip(NEXT) | instid1(VALU_DEP_1)
	v_dual_cndmask_b32 v58, v60, v58 :: v_dual_lshlrev_b32 v59, v59, v56
	v_and_b32_e32 v59, 7, v59
	s_delay_alu instid0(VALU_DEP_2) | instskip(NEXT) | instid1(VALU_DEP_2)
	v_lshl_add_u32 v58, v58, 23, 0x3b800000
	v_cndmask_b32_e32 v57, v57, v59, vcc_lo
	v_and_b32_e32 v59, 0x80000000, v51
	s_delay_alu instid0(VALU_DEP_2) | instskip(NEXT) | instid1(VALU_DEP_1)
	v_lshlrev_b32_e32 v57, 20, v57
	v_or3_b32 v57, v59, v58, v57
.LBB6_11298:                            ;   in Loop: Header=BB6_10858 Depth=3
	s_or_b32 exec_lo, exec_lo, s17
	s_mov_b32 s13, 0
	s_mov_b32 s31, exec_lo
                                        ; implicit-def: $sgpr17
	v_cmpx_lt_i16_e32 0x7f, v47
	s_xor_b32 s31, exec_lo, s31
	s_cbranch_execnz .LBB6_12956
; %bb.11299:                            ;   in Loop: Header=BB6_10858 Depth=3
	s_or_saveexec_b32 s31, s31
	v_mov_b32_e32 v58, s17
	s_xor_b32 exec_lo, exec_lo, s31
	s_cbranch_execnz .LBB6_12959
.LBB6_11300:                            ;   in Loop: Header=BB6_10858 Depth=3
	s_or_b32 exec_lo, exec_lo, s31
	s_and_saveexec_b32 s17, s13
	s_cbranch_execz .LBB6_11302
.LBB6_11301:                            ;   in Loop: Header=BB6_10858 Depth=3
	v_bfe_u32 v58, v39, 24, 3
	v_bfe_u32 v61, v39, 27, 4
	s_delay_alu instid0(VALU_DEP_2) | instskip(NEXT) | instid1(VALU_DEP_2)
	v_clz_i32_u32_e32 v59, v58
	v_cmp_eq_u32_e32 vcc_lo, 0, v61
	s_delay_alu instid0(VALU_DEP_2) | instskip(NEXT) | instid1(VALU_DEP_1)
	v_min_u32_e32 v59, 32, v59
	v_subrev_nc_u32_e32 v60, 28, v59
	v_sub_nc_u32_e32 v59, 29, v59
	s_delay_alu instid0(VALU_DEP_2) | instskip(NEXT) | instid1(VALU_DEP_1)
	v_lshlrev_b32_e32 v60, v60, v47
	v_dual_cndmask_b32 v59, v61, v59 :: v_dual_and_b32 v60, 7, v60
	s_delay_alu instid0(VALU_DEP_1) | instskip(NEXT) | instid1(VALU_DEP_2)
	v_lshl_add_u32 v59, v59, 23, 0x3b800000
	v_cndmask_b32_e32 v58, v58, v60, vcc_lo
	v_and_b32_e32 v60, 0x80000000, v39
	s_delay_alu instid0(VALU_DEP_2) | instskip(NEXT) | instid1(VALU_DEP_1)
	v_lshlrev_b32_e32 v58, 20, v58
	v_or3_b32 v58, v60, v59, v58
.LBB6_11302:                            ;   in Loop: Header=BB6_10858 Depth=3
	s_or_b32 exec_lo, exec_lo, s17
	s_delay_alu instid0(VALU_DEP_1) | instskip(SKIP_1) | instid1(VALU_DEP_1)
	v_dual_max_f32 v58, v58, v58 :: v_dual_max_f32 v57, v57, v57
	s_mov_b32 s13, 0
	v_max_f32_e32 v57, v57, v58
	s_branch .LBB6_11304
.LBB6_11303:                            ;   in Loop: Header=BB6_10858 Depth=3
	s_mov_b32 s13, -1
                                        ; implicit-def: $vgpr57
.LBB6_11304:                            ;   in Loop: Header=BB6_10858 Depth=3
	s_delay_alu instid0(SALU_CYCLE_1)
	s_and_b32 vcc_lo, exec_lo, s13
	s_cbranch_vccz .LBB6_11314
; %bb.11305:                            ;   in Loop: Header=BB6_10858 Depth=3
	s_mov_b32 s13, 0
	s_mov_b32 s31, exec_lo
                                        ; implicit-def: $sgpr17
	v_cmpx_lt_i16_e32 0x7f, v56
	s_xor_b32 s31, exec_lo, s31
	s_cbranch_execnz .LBB6_12960
; %bb.11306:                            ;   in Loop: Header=BB6_10858 Depth=3
	s_or_saveexec_b32 s31, s31
	v_mov_b32_e32 v57, s17
	s_xor_b32 exec_lo, exec_lo, s31
	s_cbranch_execnz .LBB6_12963
.LBB6_11307:                            ;   in Loop: Header=BB6_10858 Depth=3
	s_or_b32 exec_lo, exec_lo, s31
	s_and_saveexec_b32 s17, s13
	s_cbranch_execz .LBB6_11309
.LBB6_11308:                            ;   in Loop: Header=BB6_10858 Depth=3
	v_bfe_u32 v57, v51, 24, 3
	s_delay_alu instid0(VALU_DEP_1) | instskip(NEXT) | instid1(VALU_DEP_1)
	v_clz_i32_u32_e32 v58, v57
	v_min_u32_e32 v58, 32, v58
	s_delay_alu instid0(VALU_DEP_1) | instskip(SKIP_1) | instid1(VALU_DEP_2)
	v_subrev_nc_u32_e32 v59, 28, v58
	v_sub_nc_u32_e32 v58, 29, v58
	v_lshlrev_b32_e32 v56, v59, v56
	v_bfe_u32 v59, v51, 27, 4
	v_and_b32_e32 v51, 0x80000000, v51
	s_delay_alu instid0(VALU_DEP_3) | instskip(NEXT) | instid1(VALU_DEP_3)
	v_and_b32_e32 v56, 7, v56
	v_cmp_eq_u32_e32 vcc_lo, 0, v59
	v_cndmask_b32_e32 v58, v59, v58, vcc_lo
	s_delay_alu instid0(VALU_DEP_3) | instskip(NEXT) | instid1(VALU_DEP_2)
	v_cndmask_b32_e32 v56, v57, v56, vcc_lo
	v_lshl_add_u32 v57, v58, 23, 0x3b800000
	s_delay_alu instid0(VALU_DEP_2) | instskip(NEXT) | instid1(VALU_DEP_1)
	v_lshlrev_b32_e32 v56, 20, v56
	v_or3_b32 v57, v51, v57, v56
.LBB6_11309:                            ;   in Loop: Header=BB6_10858 Depth=3
	s_or_b32 exec_lo, exec_lo, s17
	s_mov_b32 s13, 0
	s_mov_b32 s31, exec_lo
                                        ; implicit-def: $sgpr17
	v_cmpx_lt_i16_e32 0x7f, v47
	s_xor_b32 s31, exec_lo, s31
	s_cbranch_execnz .LBB6_12964
; %bb.11310:                            ;   in Loop: Header=BB6_10858 Depth=3
	s_or_saveexec_b32 s31, s31
	v_mov_b32_e32 v51, s17
	s_xor_b32 exec_lo, exec_lo, s31
	s_cbranch_execnz .LBB6_12967
.LBB6_11311:                            ;   in Loop: Header=BB6_10858 Depth=3
	s_or_b32 exec_lo, exec_lo, s31
	s_and_saveexec_b32 s17, s13
	s_cbranch_execz .LBB6_11313
.LBB6_11312:                            ;   in Loop: Header=BB6_10858 Depth=3
	v_bfe_u32 v51, v39, 24, 3
	s_delay_alu instid0(VALU_DEP_1) | instskip(NEXT) | instid1(VALU_DEP_1)
	v_clz_i32_u32_e32 v56, v51
	v_min_u32_e32 v56, 32, v56
	s_delay_alu instid0(VALU_DEP_1) | instskip(SKIP_1) | instid1(VALU_DEP_2)
	v_subrev_nc_u32_e32 v58, 28, v56
	v_sub_nc_u32_e32 v56, 29, v56
	v_lshlrev_b32_e32 v47, v58, v47
	v_bfe_u32 v58, v39, 27, 4
	v_and_b32_e32 v39, 0x80000000, v39
	s_delay_alu instid0(VALU_DEP_2) | instskip(NEXT) | instid1(VALU_DEP_4)
	v_cmp_eq_u32_e32 vcc_lo, 0, v58
	v_dual_cndmask_b32 v56, v58, v56 :: v_dual_and_b32 v47, 7, v47
	s_delay_alu instid0(VALU_DEP_1) | instskip(NEXT) | instid1(VALU_DEP_2)
	v_cndmask_b32_e32 v51, v51, v47, vcc_lo
	v_lshl_add_u32 v47, v56, 23, 0x3b800000
	s_delay_alu instid0(VALU_DEP_2) | instskip(NEXT) | instid1(VALU_DEP_1)
	v_lshlrev_b32_e32 v51, 20, v51
	v_or3_b32 v51, v39, v47, v51
.LBB6_11313:                            ;   in Loop: Header=BB6_10858 Depth=3
	s_or_b32 exec_lo, exec_lo, s17
	s_delay_alu instid0(VALU_DEP_1) | instskip(SKIP_1) | instid1(VALU_DEP_1)
	v_max_f32_e32 v39, v51, v51
	v_max_f32_e32 v51, v57, v57
	v_min_f32_e32 v57, v51, v39
.LBB6_11314:                            ;   in Loop: Header=BB6_10858 Depth=3
	s_delay_alu instid0(VALU_DEP_1) | instskip(NEXT) | instid1(VALU_DEP_1)
	v_and_b32_e32 v39, 0x7f800000, v57
	v_cmp_ne_u32_e32 vcc_lo, 0x7f800000, v39
	v_mov_b32_e32 v39, 0x8000
	s_and_saveexec_b32 s17, vcc_lo
	s_cbranch_execz .LBB6_11322
; %bb.11315:                            ;   in Loop: Header=BB6_10858 Depth=3
	v_mov_b32_e32 v39, 0
	s_mov_b32 s31, exec_lo
	v_cmpx_ne_u32_e32 0, v57
	s_cbranch_execz .LBB6_11321
; %bb.11316:                            ;   in Loop: Header=BB6_10858 Depth=3
	v_bfe_u32 v39, v57, 23, 8
	v_and_b32_e32 v51, 0x7fffff, v57
	s_delay_alu instid0(VALU_DEP_2) | instskip(SKIP_1) | instid1(VALU_DEP_3)
	v_sub_nc_u32_e32 v47, 0x78, v39
	v_cmp_gt_u32_e32 vcc_lo, 0x79, v39
	v_or_b32_e32 v56, 0x800000, v51
	s_delay_alu instid0(VALU_DEP_3) | instskip(SKIP_2) | instid1(VALU_DEP_3)
	v_cndmask_b32_e32 v47, 0, v47, vcc_lo
	v_cmp_eq_u32_e32 vcc_lo, 0, v39
	v_add_nc_u32_e32 v39, 0xffffff89, v39
	v_cndmask_b32_e64 v47, v47, 0x77, vcc_lo
	v_cndmask_b32_e32 v51, v56, v51, vcc_lo
	s_delay_alu instid0(VALU_DEP_3) | instskip(NEXT) | instid1(VALU_DEP_3)
	v_cndmask_b32_e64 v39, v39, 0xffffff8a, vcc_lo
	v_lshl_add_u32 v56, 0x100000, v47, -1
	s_delay_alu instid0(VALU_DEP_3) | instskip(SKIP_1) | instid1(VALU_DEP_4)
	v_lshrrev_b32_e32 v58, v47, v51
	v_lshlrev_b32_e64 v60, v47, 0x80000
	v_add_nc_u32_e32 v47, v47, v39
	s_delay_alu instid0(VALU_DEP_4) | instskip(NEXT) | instid1(VALU_DEP_4)
	v_and_b32_e32 v51, v56, v51
	v_bfe_u32 v59, v58, 20, 1
	s_delay_alu instid0(VALU_DEP_2) | instskip(NEXT) | instid1(VALU_DEP_2)
	v_cmp_eq_u32_e64 s13, v51, v60
	v_add_nc_u32_e32 v56, -1, v59
	s_delay_alu instid0(VALU_DEP_1) | instskip(SKIP_2) | instid1(VALU_DEP_2)
	v_cndmask_b32_e64 v51, 0, v56, s13
	v_lshrrev_b32_e32 v56, 23, v58
	s_mov_b32 s13, exec_lo
	v_add_nc_u32_e32 v51, v51, v58
	s_delay_alu instid0(VALU_DEP_2) | instskip(NEXT) | instid1(VALU_DEP_2)
	v_xor_b32_e32 v56, 1, v56
	v_and_b32_e32 v39, 0xfffff, v51
	s_delay_alu instid0(VALU_DEP_1) | instskip(NEXT) | instid1(VALU_DEP_3)
	v_add_nc_u32_e32 v51, v39, v58
                                        ; implicit-def: $vgpr39
	v_cmpx_ne_u32_e64 v47, v56
	s_xor_b32 s13, exec_lo, s13
; %bb.11317:                            ;   in Loop: Header=BB6_10858 Depth=3
	s_delay_alu instid0(VALU_DEP_2) | instskip(SKIP_2) | instid1(VALU_DEP_2)
	v_cmp_lt_u32_e32 vcc_lo, 0xffffff, v51
	v_sub_nc_u32_e32 v39, v47, v56
	v_cndmask_b32_e64 v47, 0, 1, vcc_lo
	v_add_co_ci_u32_e32 v39, vcc_lo, 0, v39, vcc_lo
	s_delay_alu instid0(VALU_DEP_2)
	v_lshrrev_b32_e32 v51, v47, v51
; %bb.11318:                            ;   in Loop: Header=BB6_10858 Depth=3
	s_and_not1_saveexec_b32 s13, s13
; %bb.11319:                            ;   in Loop: Header=BB6_10858 Depth=3
	s_delay_alu instid0(VALU_DEP_1)
	v_bfe_u32 v39, v51, 23, 1
; %bb.11320:                            ;   in Loop: Header=BB6_10858 Depth=3
	s_or_b32 exec_lo, exec_lo, s13
	v_lshrrev_b32_e32 v51, 20, v51
	s_delay_alu instid0(VALU_DEP_2) | instskip(SKIP_2) | instid1(VALU_DEP_3)
	v_min_i32_e32 v47, 15, v39
	v_cmp_gt_i32_e32 vcc_lo, 16, v39
	v_lshrrev_b32_e32 v56, 24, v57
	v_lshlrev_b32_e32 v47, 3, v47
	s_delay_alu instid0(VALU_DEP_2) | instskip(NEXT) | instid1(VALU_DEP_2)
	v_dual_cndmask_b32 v51, 7, v51 :: v_dual_and_b32 v56, 0x80, v56
	v_and_b32_e32 v47, 0xf8, v47
	s_delay_alu instid0(VALU_DEP_2) | instskip(SKIP_1) | instid1(VALU_DEP_2)
	v_and_b32_e32 v57, 7, v51
	v_or_b32_e32 v39, v39, v51
	v_or3_b32 v47, v56, v47, v57
	s_delay_alu instid0(VALU_DEP_2) | instskip(NEXT) | instid1(VALU_DEP_2)
	v_cmp_ne_u32_e32 vcc_lo, 0, v39
	v_lshlrev_b32_e32 v51, 8, v47
	s_delay_alu instid0(VALU_DEP_1)
	v_cndmask_b32_e32 v39, 0, v51, vcc_lo
.LBB6_11321:                            ;   in Loop: Header=BB6_10858 Depth=3
	s_or_b32 exec_lo, exec_lo, s31
.LBB6_11322:                            ;   in Loop: Header=BB6_10858 Depth=3
	s_delay_alu instid0(SALU_CYCLE_1) | instskip(NEXT) | instid1(SALU_CYCLE_1)
	s_or_b32 exec_lo, exec_lo, s17
	s_and_not1_b32 vcc_lo, exec_lo, s16
	s_cbranch_vccnz .LBB6_11332
; %bb.11323:                            ;   in Loop: Header=BB6_10858 Depth=3
	v_and_b32_e32 v47, 0xff, v32
	s_mov_b32 s13, 0
	s_mov_b32 s31, exec_lo
                                        ; implicit-def: $sgpr17
	s_delay_alu instid0(VALU_DEP_1)
	v_cmpx_lt_i16_e32 0x7f, v47
	s_xor_b32 s31, exec_lo, s31
	s_cbranch_execnz .LBB6_12968
; %bb.11324:                            ;   in Loop: Header=BB6_10858 Depth=3
	s_or_saveexec_b32 s31, s31
	v_mov_b32_e32 v51, s17
	s_xor_b32 exec_lo, exec_lo, s31
	s_cbranch_execnz .LBB6_12971
.LBB6_11325:                            ;   in Loop: Header=BB6_10858 Depth=3
	s_or_b32 exec_lo, exec_lo, s31
	s_and_saveexec_b32 s17, s13
	s_cbranch_execz .LBB6_11327
.LBB6_11326:                            ;   in Loop: Header=BB6_10858 Depth=3
	v_and_b32_e32 v51, 7, v32
	v_bfe_u32 v57, v32, 3, 4
	v_lshlrev_b32_e32 v58, 24, v32
	s_delay_alu instid0(VALU_DEP_3) | instskip(NEXT) | instid1(VALU_DEP_3)
	v_clz_i32_u32_e32 v47, v51
	v_cmp_eq_u32_e32 vcc_lo, 0, v57
	s_delay_alu instid0(VALU_DEP_2) | instskip(NEXT) | instid1(VALU_DEP_1)
	v_min_u32_e32 v47, 32, v47
	v_subrev_nc_u32_e32 v56, 28, v47
	v_sub_nc_u32_e32 v47, 29, v47
	s_delay_alu instid0(VALU_DEP_1) | instskip(NEXT) | instid1(VALU_DEP_1)
	v_dual_cndmask_b32 v47, v57, v47 :: v_dual_lshlrev_b32 v56, v56, v32
	v_and_b32_e32 v56, 7, v56
	s_delay_alu instid0(VALU_DEP_2) | instskip(NEXT) | instid1(VALU_DEP_2)
	v_lshl_add_u32 v47, v47, 23, 0x3b800000
	v_dual_cndmask_b32 v51, v51, v56 :: v_dual_and_b32 v56, 0x80000000, v58
	s_delay_alu instid0(VALU_DEP_1) | instskip(NEXT) | instid1(VALU_DEP_1)
	v_lshlrev_b32_e32 v51, 20, v51
	v_or3_b32 v51, v56, v47, v51
.LBB6_11327:                            ;   in Loop: Header=BB6_10858 Depth=3
	s_or_b32 exec_lo, exec_lo, s17
	s_waitcnt vmcnt(2)
	v_and_b32_e32 v56, 0xff, v24
	s_mov_b32 s13, 0
	s_mov_b32 s31, exec_lo
                                        ; implicit-def: $sgpr17
	s_delay_alu instid0(VALU_DEP_1)
	v_cmpx_lt_i16_e32 0x7f, v56
	s_xor_b32 s31, exec_lo, s31
	s_cbranch_execnz .LBB6_12972
; %bb.11328:                            ;   in Loop: Header=BB6_10858 Depth=3
	s_or_saveexec_b32 s31, s31
	v_mov_b32_e32 v47, s17
	s_xor_b32 exec_lo, exec_lo, s31
	s_cbranch_execnz .LBB6_12975
.LBB6_11329:                            ;   in Loop: Header=BB6_10858 Depth=3
	s_or_b32 exec_lo, exec_lo, s31
	s_and_saveexec_b32 s17, s13
	s_cbranch_execz .LBB6_11331
.LBB6_11330:                            ;   in Loop: Header=BB6_10858 Depth=3
	v_and_b32_e32 v47, 7, v24
	v_bfe_u32 v58, v24, 3, 4
	v_lshlrev_b32_e32 v59, 24, v24
	s_delay_alu instid0(VALU_DEP_3) | instskip(NEXT) | instid1(VALU_DEP_3)
	v_clz_i32_u32_e32 v56, v47
	v_cmp_eq_u32_e32 vcc_lo, 0, v58
	s_delay_alu instid0(VALU_DEP_2) | instskip(NEXT) | instid1(VALU_DEP_1)
	v_min_u32_e32 v56, 32, v56
	v_subrev_nc_u32_e32 v57, 28, v56
	v_sub_nc_u32_e32 v56, 29, v56
	s_delay_alu instid0(VALU_DEP_2) | instskip(NEXT) | instid1(VALU_DEP_1)
	v_lshlrev_b32_e32 v57, v57, v24
	v_dual_cndmask_b32 v56, v58, v56 :: v_dual_and_b32 v57, 7, v57
	s_delay_alu instid0(VALU_DEP_1) | instskip(NEXT) | instid1(VALU_DEP_2)
	v_lshl_add_u32 v56, v56, 23, 0x3b800000
	v_cndmask_b32_e32 v47, v47, v57, vcc_lo
	v_and_b32_e32 v57, 0x80000000, v59
	s_delay_alu instid0(VALU_DEP_2) | instskip(NEXT) | instid1(VALU_DEP_1)
	v_lshlrev_b32_e32 v47, 20, v47
	v_or3_b32 v47, v57, v56, v47
.LBB6_11331:                            ;   in Loop: Header=BB6_10858 Depth=3
	s_or_b32 exec_lo, exec_lo, s17
	s_delay_alu instid0(VALU_DEP_1) | instskip(SKIP_2) | instid1(VALU_DEP_1)
	v_max_f32_e32 v47, v47, v47
	v_max_f32_e32 v51, v51, v51
	s_mov_b32 s13, 0
	v_max_f32_e32 v47, v51, v47
	s_branch .LBB6_11333
.LBB6_11332:                            ;   in Loop: Header=BB6_10858 Depth=3
	s_mov_b32 s13, -1
                                        ; implicit-def: $vgpr47
.LBB6_11333:                            ;   in Loop: Header=BB6_10858 Depth=3
	s_delay_alu instid0(SALU_CYCLE_1)
	s_and_b32 vcc_lo, exec_lo, s13
	s_cbranch_vccz .LBB6_11343
; %bb.11334:                            ;   in Loop: Header=BB6_10858 Depth=3
	v_and_b32_e32 v47, 0xff, v32
	s_mov_b32 s13, 0
	s_mov_b32 s31, exec_lo
                                        ; implicit-def: $sgpr17
	s_delay_alu instid0(VALU_DEP_1)
	v_cmpx_lt_i16_e32 0x7f, v47
	s_xor_b32 s31, exec_lo, s31
	s_cbranch_execnz .LBB6_12976
; %bb.11335:                            ;   in Loop: Header=BB6_10858 Depth=3
	s_or_saveexec_b32 s31, s31
	v_mov_b32_e32 v51, s17
	s_xor_b32 exec_lo, exec_lo, s31
	s_cbranch_execnz .LBB6_12979
.LBB6_11336:                            ;   in Loop: Header=BB6_10858 Depth=3
	s_or_b32 exec_lo, exec_lo, s31
	s_and_saveexec_b32 s17, s13
	s_cbranch_execz .LBB6_11338
.LBB6_11337:                            ;   in Loop: Header=BB6_10858 Depth=3
	v_and_b32_e32 v51, 7, v32
	v_bfe_u32 v57, v32, 3, 4
	v_lshlrev_b32_e32 v58, 24, v32
	s_delay_alu instid0(VALU_DEP_3) | instskip(NEXT) | instid1(VALU_DEP_3)
	v_clz_i32_u32_e32 v47, v51
	v_cmp_eq_u32_e32 vcc_lo, 0, v57
	s_delay_alu instid0(VALU_DEP_2) | instskip(NEXT) | instid1(VALU_DEP_1)
	v_min_u32_e32 v47, 32, v47
	v_subrev_nc_u32_e32 v56, 28, v47
	v_sub_nc_u32_e32 v47, 29, v47
	s_delay_alu instid0(VALU_DEP_1) | instskip(NEXT) | instid1(VALU_DEP_1)
	v_dual_cndmask_b32 v47, v57, v47 :: v_dual_lshlrev_b32 v56, v56, v32
	v_and_b32_e32 v56, 7, v56
	s_delay_alu instid0(VALU_DEP_2) | instskip(NEXT) | instid1(VALU_DEP_2)
	v_lshl_add_u32 v47, v47, 23, 0x3b800000
	v_dual_cndmask_b32 v51, v51, v56 :: v_dual_and_b32 v56, 0x80000000, v58
	s_delay_alu instid0(VALU_DEP_1) | instskip(NEXT) | instid1(VALU_DEP_1)
	v_lshlrev_b32_e32 v51, 20, v51
	v_or3_b32 v51, v56, v47, v51
.LBB6_11338:                            ;   in Loop: Header=BB6_10858 Depth=3
	s_or_b32 exec_lo, exec_lo, s17
	s_waitcnt vmcnt(2)
	v_and_b32_e32 v56, 0xff, v24
	s_mov_b32 s13, 0
	s_mov_b32 s31, exec_lo
                                        ; implicit-def: $sgpr17
	s_delay_alu instid0(VALU_DEP_1)
	v_cmpx_lt_i16_e32 0x7f, v56
	s_xor_b32 s31, exec_lo, s31
	s_cbranch_execnz .LBB6_12980
; %bb.11339:                            ;   in Loop: Header=BB6_10858 Depth=3
	s_or_saveexec_b32 s31, s31
	v_mov_b32_e32 v47, s17
	s_xor_b32 exec_lo, exec_lo, s31
	s_cbranch_execnz .LBB6_12983
.LBB6_11340:                            ;   in Loop: Header=BB6_10858 Depth=3
	s_or_b32 exec_lo, exec_lo, s31
	s_and_saveexec_b32 s17, s13
	s_cbranch_execz .LBB6_11342
.LBB6_11341:                            ;   in Loop: Header=BB6_10858 Depth=3
	v_and_b32_e32 v47, 7, v24
	v_bfe_u32 v58, v24, 3, 4
	v_lshlrev_b32_e32 v59, 24, v24
	s_delay_alu instid0(VALU_DEP_3) | instskip(NEXT) | instid1(VALU_DEP_3)
	v_clz_i32_u32_e32 v56, v47
	v_cmp_eq_u32_e32 vcc_lo, 0, v58
	s_delay_alu instid0(VALU_DEP_2) | instskip(NEXT) | instid1(VALU_DEP_1)
	v_min_u32_e32 v56, 32, v56
	v_subrev_nc_u32_e32 v57, 28, v56
	v_sub_nc_u32_e32 v56, 29, v56
	s_delay_alu instid0(VALU_DEP_2) | instskip(NEXT) | instid1(VALU_DEP_1)
	v_lshlrev_b32_e32 v57, v57, v24
	v_dual_cndmask_b32 v56, v58, v56 :: v_dual_and_b32 v57, 7, v57
	s_delay_alu instid0(VALU_DEP_1) | instskip(NEXT) | instid1(VALU_DEP_2)
	v_lshl_add_u32 v56, v56, 23, 0x3b800000
	v_cndmask_b32_e32 v47, v47, v57, vcc_lo
	v_and_b32_e32 v57, 0x80000000, v59
	s_delay_alu instid0(VALU_DEP_2) | instskip(NEXT) | instid1(VALU_DEP_1)
	v_lshlrev_b32_e32 v47, 20, v47
	v_or3_b32 v47, v57, v56, v47
.LBB6_11342:                            ;   in Loop: Header=BB6_10858 Depth=3
	s_or_b32 exec_lo, exec_lo, s17
	s_delay_alu instid0(VALU_DEP_1) | instskip(SKIP_1) | instid1(VALU_DEP_1)
	v_max_f32_e32 v47, v47, v47
	v_max_f32_e32 v51, v51, v51
	v_min_f32_e32 v47, v51, v47
.LBB6_11343:                            ;   in Loop: Header=BB6_10858 Depth=3
	s_delay_alu instid0(VALU_DEP_1) | instskip(NEXT) | instid1(VALU_DEP_1)
	v_and_b32_e32 v51, 0x7f800000, v47
	v_cmp_ne_u32_e32 vcc_lo, 0x7f800000, v51
	v_mov_b32_e32 v51, 0x80
	s_and_saveexec_b32 s17, vcc_lo
	s_cbranch_execz .LBB6_11351
; %bb.11344:                            ;   in Loop: Header=BB6_10858 Depth=3
	v_mov_b32_e32 v51, 0
	s_mov_b32 s31, exec_lo
	v_cmpx_ne_u32_e32 0, v47
	s_cbranch_execz .LBB6_11350
; %bb.11345:                            ;   in Loop: Header=BB6_10858 Depth=3
	v_bfe_u32 v51, v47, 23, 8
	s_delay_alu instid0(VALU_DEP_1) | instskip(SKIP_1) | instid1(VALU_DEP_2)
	v_sub_nc_u32_e32 v57, 0x78, v51
	v_cmp_gt_u32_e32 vcc_lo, 0x79, v51
	v_dual_cndmask_b32 v57, 0, v57 :: v_dual_and_b32 v56, 0x7fffff, v47
	s_delay_alu instid0(VALU_DEP_1) | instskip(SKIP_2) | instid1(VALU_DEP_4)
	v_or_b32_e32 v58, 0x800000, v56
	v_cmp_eq_u32_e32 vcc_lo, 0, v51
	v_add_nc_u32_e32 v51, 0xffffff89, v51
	v_cndmask_b32_e64 v57, v57, 0x77, vcc_lo
	s_delay_alu instid0(VALU_DEP_4) | instskip(NEXT) | instid1(VALU_DEP_3)
	v_cndmask_b32_e32 v56, v58, v56, vcc_lo
	v_cndmask_b32_e64 v51, v51, 0xffffff8a, vcc_lo
	s_delay_alu instid0(VALU_DEP_3) | instskip(NEXT) | instid1(VALU_DEP_3)
	v_lshl_add_u32 v58, 0x100000, v57, -1
	v_lshrrev_b32_e32 v59, v57, v56
	v_lshlrev_b32_e64 v61, v57, 0x80000
	s_delay_alu instid0(VALU_DEP_4) | instskip(NEXT) | instid1(VALU_DEP_4)
	v_add_nc_u32_e32 v57, v57, v51
	v_and_b32_e32 v56, v58, v56
	s_delay_alu instid0(VALU_DEP_4) | instskip(NEXT) | instid1(VALU_DEP_2)
	v_bfe_u32 v60, v59, 20, 1
	v_cmp_eq_u32_e64 s13, v56, v61
	s_delay_alu instid0(VALU_DEP_2) | instskip(NEXT) | instid1(VALU_DEP_1)
	v_add_nc_u32_e32 v58, -1, v60
	v_cndmask_b32_e64 v56, 0, v58, s13
	v_lshrrev_b32_e32 v58, 23, v59
	s_mov_b32 s13, exec_lo
	s_delay_alu instid0(VALU_DEP_2) | instskip(NEXT) | instid1(VALU_DEP_2)
	v_add_nc_u32_e32 v56, v56, v59
	v_xor_b32_e32 v58, 1, v58
	s_delay_alu instid0(VALU_DEP_2) | instskip(NEXT) | instid1(VALU_DEP_1)
	v_and_b32_e32 v51, 0xfffff, v56
	v_add_nc_u32_e32 v56, v51, v59
                                        ; implicit-def: $vgpr51
	s_delay_alu instid0(VALU_DEP_3)
	v_cmpx_ne_u32_e64 v57, v58
	s_xor_b32 s13, exec_lo, s13
; %bb.11346:                            ;   in Loop: Header=BB6_10858 Depth=3
	s_delay_alu instid0(VALU_DEP_2) | instskip(SKIP_2) | instid1(VALU_DEP_2)
	v_cmp_lt_u32_e32 vcc_lo, 0xffffff, v56
	v_sub_nc_u32_e32 v51, v57, v58
	v_cndmask_b32_e64 v57, 0, 1, vcc_lo
	v_add_co_ci_u32_e32 v51, vcc_lo, 0, v51, vcc_lo
	s_delay_alu instid0(VALU_DEP_2)
	v_lshrrev_b32_e32 v56, v57, v56
; %bb.11347:                            ;   in Loop: Header=BB6_10858 Depth=3
	s_and_not1_saveexec_b32 s13, s13
; %bb.11348:                            ;   in Loop: Header=BB6_10858 Depth=3
	s_delay_alu instid0(VALU_DEP_1)
	v_bfe_u32 v51, v56, 23, 1
; %bb.11349:                            ;   in Loop: Header=BB6_10858 Depth=3
	s_or_b32 exec_lo, exec_lo, s13
	v_lshrrev_b32_e32 v56, 20, v56
	s_delay_alu instid0(VALU_DEP_2) | instskip(SKIP_2) | instid1(VALU_DEP_2)
	v_cmp_gt_i32_e32 vcc_lo, 16, v51
	v_lshrrev_b32_e32 v47, 24, v47
	v_min_i32_e32 v57, 15, v51
	v_dual_cndmask_b32 v56, 7, v56 :: v_dual_and_b32 v47, 0x80, v47
	s_delay_alu instid0(VALU_DEP_2) | instskip(NEXT) | instid1(VALU_DEP_2)
	v_lshlrev_b32_e32 v57, 3, v57
	v_or_b32_e32 v51, v51, v56
	s_delay_alu instid0(VALU_DEP_1) | instskip(SKIP_1) | instid1(VALU_DEP_1)
	v_cmp_ne_u32_e32 vcc_lo, 0, v51
	v_and_b32_e32 v58, 7, v56
	v_or3_b32 v47, v57, v47, v58
	s_delay_alu instid0(VALU_DEP_1)
	v_cndmask_b32_e32 v51, 0, v47, vcc_lo
.LBB6_11350:                            ;   in Loop: Header=BB6_10858 Depth=3
	s_or_b32 exec_lo, exec_lo, s31
.LBB6_11351:                            ;   in Loop: Header=BB6_10858 Depth=3
	s_delay_alu instid0(SALU_CYCLE_1)
	s_or_b32 exec_lo, exec_lo, s17
	v_lshrrev_b16 v56, 8, v32
	s_waitcnt vmcnt(2)
	v_lshrrev_b16 v47, 8, v24
	s_and_not1_b32 vcc_lo, exec_lo, s16
	s_cbranch_vccnz .LBB6_11361
; %bb.11352:                            ;   in Loop: Header=BB6_10858 Depth=3
	s_mov_b32 s13, 0
	s_mov_b32 s31, exec_lo
                                        ; implicit-def: $sgpr17
	v_cmpx_lt_i16_e32 0x7f, v56
	s_xor_b32 s31, exec_lo, s31
	s_cbranch_execnz .LBB6_12984
; %bb.11353:                            ;   in Loop: Header=BB6_10858 Depth=3
	s_or_saveexec_b32 s31, s31
	v_mov_b32_e32 v57, s17
	s_xor_b32 exec_lo, exec_lo, s31
	s_cbranch_execnz .LBB6_12987
.LBB6_11354:                            ;   in Loop: Header=BB6_10858 Depth=3
	s_or_b32 exec_lo, exec_lo, s31
	s_and_saveexec_b32 s17, s13
	s_cbranch_execz .LBB6_11356
.LBB6_11355:                            ;   in Loop: Header=BB6_10858 Depth=3
	v_and_b32_e32 v57, 0xffff, v56
	v_lshlrev_b32_e32 v61, 16, v32
	s_delay_alu instid0(VALU_DEP_2) | instskip(NEXT) | instid1(VALU_DEP_1)
	v_and_b32_e32 v58, 7, v57
	v_clz_i32_u32_e32 v59, v58
	s_delay_alu instid0(VALU_DEP_1) | instskip(NEXT) | instid1(VALU_DEP_1)
	v_min_u32_e32 v59, 32, v59
	v_subrev_nc_u32_e32 v60, 28, v59
	v_sub_nc_u32_e32 v59, 29, v59
	s_delay_alu instid0(VALU_DEP_2) | instskip(SKIP_1) | instid1(VALU_DEP_2)
	v_lshlrev_b32_e32 v60, v60, v57
	v_bfe_u32 v57, v57, 3, 4
	v_and_b32_e32 v60, 7, v60
	s_delay_alu instid0(VALU_DEP_2) | instskip(NEXT) | instid1(VALU_DEP_2)
	v_cmp_eq_u32_e32 vcc_lo, 0, v57
	v_dual_cndmask_b32 v57, v57, v59 :: v_dual_cndmask_b32 v58, v58, v60
	v_and_b32_e32 v59, 0x80000000, v61
	s_delay_alu instid0(VALU_DEP_2) | instskip(NEXT) | instid1(VALU_DEP_3)
	v_lshl_add_u32 v57, v57, 23, 0x3b800000
	v_lshlrev_b32_e32 v58, 20, v58
	s_delay_alu instid0(VALU_DEP_1)
	v_or3_b32 v57, v59, v57, v58
.LBB6_11356:                            ;   in Loop: Header=BB6_10858 Depth=3
	s_or_b32 exec_lo, exec_lo, s17
	s_mov_b32 s13, 0
	s_mov_b32 s31, exec_lo
                                        ; implicit-def: $sgpr17
	v_cmpx_lt_i16_e32 0x7f, v47
	s_xor_b32 s31, exec_lo, s31
	s_cbranch_execnz .LBB6_12988
; %bb.11357:                            ;   in Loop: Header=BB6_10858 Depth=3
	s_or_saveexec_b32 s31, s31
	v_mov_b32_e32 v58, s17
	s_xor_b32 exec_lo, exec_lo, s31
	s_cbranch_execnz .LBB6_12991
.LBB6_11358:                            ;   in Loop: Header=BB6_10858 Depth=3
	s_or_b32 exec_lo, exec_lo, s31
	s_and_saveexec_b32 s17, s13
	s_cbranch_execz .LBB6_11360
.LBB6_11359:                            ;   in Loop: Header=BB6_10858 Depth=3
	v_and_b32_e32 v58, 0xffff, v47
	v_lshlrev_b32_e32 v62, 16, v24
	s_delay_alu instid0(VALU_DEP_2) | instskip(NEXT) | instid1(VALU_DEP_1)
	v_and_b32_e32 v59, 7, v58
	v_clz_i32_u32_e32 v60, v59
	s_delay_alu instid0(VALU_DEP_1) | instskip(NEXT) | instid1(VALU_DEP_1)
	v_min_u32_e32 v60, 32, v60
	v_subrev_nc_u32_e32 v61, 28, v60
	v_sub_nc_u32_e32 v60, 29, v60
	s_delay_alu instid0(VALU_DEP_2) | instskip(SKIP_1) | instid1(VALU_DEP_2)
	v_lshlrev_b32_e32 v61, v61, v58
	v_bfe_u32 v58, v58, 3, 4
	v_and_b32_e32 v61, 7, v61
	s_delay_alu instid0(VALU_DEP_2) | instskip(NEXT) | instid1(VALU_DEP_2)
	v_cmp_eq_u32_e32 vcc_lo, 0, v58
	v_dual_cndmask_b32 v58, v58, v60 :: v_dual_cndmask_b32 v59, v59, v61
	v_and_b32_e32 v60, 0x80000000, v62
	s_delay_alu instid0(VALU_DEP_2) | instskip(NEXT) | instid1(VALU_DEP_3)
	v_lshl_add_u32 v58, v58, 23, 0x3b800000
	v_lshlrev_b32_e32 v59, 20, v59
	s_delay_alu instid0(VALU_DEP_1)
	v_or3_b32 v58, v60, v58, v59
.LBB6_11360:                            ;   in Loop: Header=BB6_10858 Depth=3
	s_or_b32 exec_lo, exec_lo, s17
	s_delay_alu instid0(VALU_DEP_1) | instskip(SKIP_1) | instid1(VALU_DEP_1)
	v_dual_max_f32 v58, v58, v58 :: v_dual_max_f32 v57, v57, v57
	s_mov_b32 s13, 0
	v_max_f32_e32 v57, v57, v58
	s_branch .LBB6_11362
.LBB6_11361:                            ;   in Loop: Header=BB6_10858 Depth=3
	s_mov_b32 s13, -1
                                        ; implicit-def: $vgpr57
.LBB6_11362:                            ;   in Loop: Header=BB6_10858 Depth=3
	s_delay_alu instid0(SALU_CYCLE_1)
	s_and_b32 vcc_lo, exec_lo, s13
	s_cbranch_vccz .LBB6_11372
; %bb.11363:                            ;   in Loop: Header=BB6_10858 Depth=3
	s_mov_b32 s13, 0
	s_mov_b32 s31, exec_lo
                                        ; implicit-def: $sgpr17
	v_cmpx_lt_i16_e32 0x7f, v56
	s_xor_b32 s31, exec_lo, s31
	s_cbranch_execnz .LBB6_12992
; %bb.11364:                            ;   in Loop: Header=BB6_10858 Depth=3
	s_or_saveexec_b32 s31, s31
	v_mov_b32_e32 v57, s17
	s_xor_b32 exec_lo, exec_lo, s31
	s_cbranch_execnz .LBB6_12995
.LBB6_11365:                            ;   in Loop: Header=BB6_10858 Depth=3
	s_or_b32 exec_lo, exec_lo, s31
	s_and_saveexec_b32 s17, s13
	s_cbranch_execz .LBB6_11367
.LBB6_11366:                            ;   in Loop: Header=BB6_10858 Depth=3
	v_and_b32_e32 v56, 0xffff, v56
	v_lshlrev_b32_e32 v60, 16, v32
	s_delay_alu instid0(VALU_DEP_2) | instskip(NEXT) | instid1(VALU_DEP_1)
	v_and_b32_e32 v57, 7, v56
	v_clz_i32_u32_e32 v58, v57
	s_delay_alu instid0(VALU_DEP_1) | instskip(NEXT) | instid1(VALU_DEP_1)
	v_min_u32_e32 v58, 32, v58
	v_subrev_nc_u32_e32 v59, 28, v58
	v_sub_nc_u32_e32 v58, 29, v58
	s_delay_alu instid0(VALU_DEP_2) | instskip(SKIP_1) | instid1(VALU_DEP_2)
	v_lshlrev_b32_e32 v59, v59, v56
	v_bfe_u32 v56, v56, 3, 4
	v_and_b32_e32 v59, 7, v59
	s_delay_alu instid0(VALU_DEP_2) | instskip(NEXT) | instid1(VALU_DEP_2)
	v_cmp_eq_u32_e32 vcc_lo, 0, v56
	v_dual_cndmask_b32 v56, v56, v58 :: v_dual_cndmask_b32 v57, v57, v59
	v_and_b32_e32 v58, 0x80000000, v60
	s_delay_alu instid0(VALU_DEP_2) | instskip(NEXT) | instid1(VALU_DEP_3)
	v_lshl_add_u32 v56, v56, 23, 0x3b800000
	v_lshlrev_b32_e32 v57, 20, v57
	s_delay_alu instid0(VALU_DEP_1)
	v_or3_b32 v57, v58, v56, v57
.LBB6_11367:                            ;   in Loop: Header=BB6_10858 Depth=3
	s_or_b32 exec_lo, exec_lo, s17
	s_mov_b32 s13, 0
	s_mov_b32 s31, exec_lo
                                        ; implicit-def: $sgpr17
	v_cmpx_lt_i16_e32 0x7f, v47
	s_xor_b32 s31, exec_lo, s31
	s_cbranch_execnz .LBB6_12996
; %bb.11368:                            ;   in Loop: Header=BB6_10858 Depth=3
	s_or_saveexec_b32 s31, s31
	v_mov_b32_e32 v56, s17
	s_xor_b32 exec_lo, exec_lo, s31
	s_cbranch_execnz .LBB6_12999
.LBB6_11369:                            ;   in Loop: Header=BB6_10858 Depth=3
	s_or_b32 exec_lo, exec_lo, s31
	s_and_saveexec_b32 s17, s13
	s_cbranch_execz .LBB6_11371
.LBB6_11370:                            ;   in Loop: Header=BB6_10858 Depth=3
	v_and_b32_e32 v47, 0xffff, v47
	v_lshlrev_b32_e32 v60, 16, v24
	s_delay_alu instid0(VALU_DEP_2) | instskip(NEXT) | instid1(VALU_DEP_1)
	v_and_b32_e32 v56, 7, v47
	v_clz_i32_u32_e32 v58, v56
	s_delay_alu instid0(VALU_DEP_1) | instskip(NEXT) | instid1(VALU_DEP_1)
	v_min_u32_e32 v58, 32, v58
	v_subrev_nc_u32_e32 v59, 28, v58
	v_sub_nc_u32_e32 v58, 29, v58
	s_delay_alu instid0(VALU_DEP_2) | instskip(SKIP_1) | instid1(VALU_DEP_2)
	v_lshlrev_b32_e32 v59, v59, v47
	v_bfe_u32 v47, v47, 3, 4
	v_and_b32_e32 v59, 7, v59
	s_delay_alu instid0(VALU_DEP_2) | instskip(NEXT) | instid1(VALU_DEP_2)
	v_cmp_eq_u32_e32 vcc_lo, 0, v47
	v_dual_cndmask_b32 v47, v47, v58 :: v_dual_cndmask_b32 v56, v56, v59
	v_and_b32_e32 v58, 0x80000000, v60
	s_delay_alu instid0(VALU_DEP_2) | instskip(NEXT) | instid1(VALU_DEP_3)
	v_lshl_add_u32 v47, v47, 23, 0x3b800000
	v_lshlrev_b32_e32 v56, 20, v56
	s_delay_alu instid0(VALU_DEP_1)
	v_or3_b32 v56, v58, v47, v56
.LBB6_11371:                            ;   in Loop: Header=BB6_10858 Depth=3
	s_or_b32 exec_lo, exec_lo, s17
	s_delay_alu instid0(VALU_DEP_1) | instskip(NEXT) | instid1(VALU_DEP_1)
	v_dual_max_f32 v47, v56, v56 :: v_dual_max_f32 v56, v57, v57
	v_min_f32_e32 v57, v56, v47
.LBB6_11372:                            ;   in Loop: Header=BB6_10858 Depth=3
	s_delay_alu instid0(VALU_DEP_1) | instskip(NEXT) | instid1(VALU_DEP_1)
	v_and_b32_e32 v47, 0x7f800000, v57
	v_cmp_ne_u32_e32 vcc_lo, 0x7f800000, v47
	v_mov_b32_e32 v47, 0x80
	s_and_saveexec_b32 s17, vcc_lo
	s_cbranch_execz .LBB6_11380
; %bb.11373:                            ;   in Loop: Header=BB6_10858 Depth=3
	v_mov_b32_e32 v47, 0
	s_mov_b32 s31, exec_lo
	v_cmpx_ne_u32_e32 0, v57
	s_cbranch_execz .LBB6_11379
; %bb.11374:                            ;   in Loop: Header=BB6_10858 Depth=3
	v_bfe_u32 v47, v57, 23, 8
	v_and_b32_e32 v56, 0x7fffff, v57
	s_delay_alu instid0(VALU_DEP_2) | instskip(SKIP_1) | instid1(VALU_DEP_3)
	v_sub_nc_u32_e32 v58, 0x78, v47
	v_cmp_gt_u32_e32 vcc_lo, 0x79, v47
	v_or_b32_e32 v59, 0x800000, v56
	s_delay_alu instid0(VALU_DEP_3) | instskip(SKIP_2) | instid1(VALU_DEP_3)
	v_cndmask_b32_e32 v58, 0, v58, vcc_lo
	v_cmp_eq_u32_e32 vcc_lo, 0, v47
	v_add_nc_u32_e32 v47, 0xffffff89, v47
	v_cndmask_b32_e64 v58, v58, 0x77, vcc_lo
	v_cndmask_b32_e32 v56, v59, v56, vcc_lo
	s_delay_alu instid0(VALU_DEP_3) | instskip(NEXT) | instid1(VALU_DEP_3)
	v_cndmask_b32_e64 v47, v47, 0xffffff8a, vcc_lo
	v_lshl_add_u32 v59, 0x100000, v58, -1
	s_delay_alu instid0(VALU_DEP_3) | instskip(SKIP_1) | instid1(VALU_DEP_4)
	v_lshrrev_b32_e32 v60, v58, v56
	v_lshlrev_b32_e64 v62, v58, 0x80000
	v_add_nc_u32_e32 v58, v58, v47
	s_delay_alu instid0(VALU_DEP_4) | instskip(NEXT) | instid1(VALU_DEP_4)
	v_and_b32_e32 v56, v59, v56
	v_bfe_u32 v61, v60, 20, 1
	s_delay_alu instid0(VALU_DEP_2) | instskip(NEXT) | instid1(VALU_DEP_2)
	v_cmp_eq_u32_e64 s13, v56, v62
	v_add_nc_u32_e32 v59, -1, v61
	s_delay_alu instid0(VALU_DEP_1) | instskip(SKIP_2) | instid1(VALU_DEP_2)
	v_cndmask_b32_e64 v56, 0, v59, s13
	v_lshrrev_b32_e32 v59, 23, v60
	s_mov_b32 s13, exec_lo
	v_add_nc_u32_e32 v56, v56, v60
	s_delay_alu instid0(VALU_DEP_2) | instskip(NEXT) | instid1(VALU_DEP_2)
	v_xor_b32_e32 v59, 1, v59
	v_and_b32_e32 v47, 0xfffff, v56
	s_delay_alu instid0(VALU_DEP_1) | instskip(NEXT) | instid1(VALU_DEP_3)
	v_add_nc_u32_e32 v56, v47, v60
                                        ; implicit-def: $vgpr47
	v_cmpx_ne_u32_e64 v58, v59
	s_xor_b32 s13, exec_lo, s13
; %bb.11375:                            ;   in Loop: Header=BB6_10858 Depth=3
	s_delay_alu instid0(VALU_DEP_2) | instskip(SKIP_2) | instid1(VALU_DEP_2)
	v_cmp_lt_u32_e32 vcc_lo, 0xffffff, v56
	v_sub_nc_u32_e32 v47, v58, v59
	v_cndmask_b32_e64 v58, 0, 1, vcc_lo
	v_add_co_ci_u32_e32 v47, vcc_lo, 0, v47, vcc_lo
	s_delay_alu instid0(VALU_DEP_2)
	v_lshrrev_b32_e32 v56, v58, v56
; %bb.11376:                            ;   in Loop: Header=BB6_10858 Depth=3
	s_and_not1_saveexec_b32 s13, s13
; %bb.11377:                            ;   in Loop: Header=BB6_10858 Depth=3
	s_delay_alu instid0(VALU_DEP_1)
	v_bfe_u32 v47, v56, 23, 1
; %bb.11378:                            ;   in Loop: Header=BB6_10858 Depth=3
	s_or_b32 exec_lo, exec_lo, s13
	v_lshrrev_b32_e32 v56, 20, v56
	s_delay_alu instid0(VALU_DEP_2) | instskip(SKIP_2) | instid1(VALU_DEP_2)
	v_cmp_gt_i32_e32 vcc_lo, 16, v47
	v_lshrrev_b32_e32 v57, 24, v57
	v_min_i32_e32 v58, 15, v47
	v_dual_cndmask_b32 v56, 7, v56 :: v_dual_and_b32 v57, 0x80, v57
	s_delay_alu instid0(VALU_DEP_1) | instskip(SKIP_1) | instid1(VALU_DEP_2)
	v_or_b32_e32 v47, v47, v56
	v_and_b32_e32 v59, 7, v56
	v_cmp_ne_u32_e32 vcc_lo, 0, v47
	v_lshlrev_b32_e32 v58, 3, v58
	s_delay_alu instid0(VALU_DEP_1) | instskip(NEXT) | instid1(VALU_DEP_1)
	v_or3_b32 v56, v58, v57, v59
	v_cndmask_b32_e32 v47, 0, v56, vcc_lo
.LBB6_11379:                            ;   in Loop: Header=BB6_10858 Depth=3
	s_or_b32 exec_lo, exec_lo, s31
.LBB6_11380:                            ;   in Loop: Header=BB6_10858 Depth=3
	s_delay_alu instid0(SALU_CYCLE_1)
	s_or_b32 exec_lo, exec_lo, s17
	v_lshrrev_b32_e32 v57, 16, v32
	v_lshrrev_b32_e32 v56, 16, v24
	s_and_not1_b32 vcc_lo, exec_lo, s16
	s_cbranch_vccnz .LBB6_11390
; %bb.11381:                            ;   in Loop: Header=BB6_10858 Depth=3
	s_delay_alu instid0(VALU_DEP_2) | instskip(SKIP_2) | instid1(VALU_DEP_1)
	v_and_b32_e32 v59, 0xff, v57
	s_mov_b32 s13, 0
	s_mov_b32 s31, exec_lo
                                        ; implicit-def: $sgpr17
	v_cmpx_lt_i16_e32 0x7f, v59
	s_xor_b32 s31, exec_lo, s31
	s_cbranch_execnz .LBB6_13000
; %bb.11382:                            ;   in Loop: Header=BB6_10858 Depth=3
	s_or_saveexec_b32 s31, s31
	v_mov_b32_e32 v58, s17
	s_xor_b32 exec_lo, exec_lo, s31
	s_cbranch_execnz .LBB6_13003
.LBB6_11383:                            ;   in Loop: Header=BB6_10858 Depth=3
	s_or_b32 exec_lo, exec_lo, s31
	s_and_saveexec_b32 s17, s13
	s_cbranch_execz .LBB6_11385
.LBB6_11384:                            ;   in Loop: Header=BB6_10858 Depth=3
	v_bfe_u32 v58, v32, 16, 3
	v_bfe_u32 v61, v32, 19, 4
	v_lshlrev_b32_e32 v62, 24, v57
	s_delay_alu instid0(VALU_DEP_3) | instskip(NEXT) | instid1(VALU_DEP_3)
	v_clz_i32_u32_e32 v59, v58
	v_cmp_eq_u32_e32 vcc_lo, 0, v61
	s_delay_alu instid0(VALU_DEP_2) | instskip(NEXT) | instid1(VALU_DEP_1)
	v_min_u32_e32 v59, 32, v59
	v_subrev_nc_u32_e32 v60, 28, v59
	v_sub_nc_u32_e32 v59, 29, v59
	s_delay_alu instid0(VALU_DEP_1) | instskip(NEXT) | instid1(VALU_DEP_1)
	v_dual_cndmask_b32 v59, v61, v59 :: v_dual_lshlrev_b32 v60, v60, v57
	v_and_b32_e32 v60, 7, v60
	s_delay_alu instid0(VALU_DEP_2) | instskip(NEXT) | instid1(VALU_DEP_2)
	v_lshl_add_u32 v59, v59, 23, 0x3b800000
	v_cndmask_b32_e32 v58, v58, v60, vcc_lo
	v_and_b32_e32 v60, 0x80000000, v62
	s_delay_alu instid0(VALU_DEP_2) | instskip(NEXT) | instid1(VALU_DEP_1)
	v_lshlrev_b32_e32 v58, 20, v58
	v_or3_b32 v58, v60, v59, v58
.LBB6_11385:                            ;   in Loop: Header=BB6_10858 Depth=3
	s_or_b32 exec_lo, exec_lo, s17
	v_and_b32_e32 v60, 0xff, v56
	s_mov_b32 s13, 0
	s_mov_b32 s31, exec_lo
                                        ; implicit-def: $sgpr17
	s_delay_alu instid0(VALU_DEP_1)
	v_cmpx_lt_i16_e32 0x7f, v60
	s_xor_b32 s31, exec_lo, s31
	s_cbranch_execnz .LBB6_13004
; %bb.11386:                            ;   in Loop: Header=BB6_10858 Depth=3
	s_or_saveexec_b32 s31, s31
	v_mov_b32_e32 v59, s17
	s_xor_b32 exec_lo, exec_lo, s31
	s_cbranch_execnz .LBB6_13007
.LBB6_11387:                            ;   in Loop: Header=BB6_10858 Depth=3
	s_or_b32 exec_lo, exec_lo, s31
	s_and_saveexec_b32 s17, s13
	s_cbranch_execz .LBB6_11389
.LBB6_11388:                            ;   in Loop: Header=BB6_10858 Depth=3
	v_bfe_u32 v59, v24, 16, 3
	v_bfe_u32 v62, v24, 19, 4
	v_lshlrev_b32_e32 v63, 24, v56
	s_delay_alu instid0(VALU_DEP_3) | instskip(NEXT) | instid1(VALU_DEP_3)
	v_clz_i32_u32_e32 v60, v59
	v_cmp_eq_u32_e32 vcc_lo, 0, v62
	s_delay_alu instid0(VALU_DEP_2) | instskip(NEXT) | instid1(VALU_DEP_1)
	v_min_u32_e32 v60, 32, v60
	v_subrev_nc_u32_e32 v61, 28, v60
	v_sub_nc_u32_e32 v60, 29, v60
	s_delay_alu instid0(VALU_DEP_2) | instskip(NEXT) | instid1(VALU_DEP_1)
	v_lshlrev_b32_e32 v61, v61, v56
	v_dual_cndmask_b32 v60, v62, v60 :: v_dual_and_b32 v61, 7, v61
	s_delay_alu instid0(VALU_DEP_1) | instskip(NEXT) | instid1(VALU_DEP_2)
	v_lshl_add_u32 v60, v60, 23, 0x3b800000
	v_cndmask_b32_e32 v59, v59, v61, vcc_lo
	v_and_b32_e32 v61, 0x80000000, v63
	s_delay_alu instid0(VALU_DEP_2) | instskip(NEXT) | instid1(VALU_DEP_1)
	v_lshlrev_b32_e32 v59, 20, v59
	v_or3_b32 v59, v61, v60, v59
.LBB6_11389:                            ;   in Loop: Header=BB6_10858 Depth=3
	s_or_b32 exec_lo, exec_lo, s17
	s_delay_alu instid0(VALU_DEP_1) | instskip(SKIP_1) | instid1(VALU_DEP_1)
	v_dual_max_f32 v59, v59, v59 :: v_dual_max_f32 v58, v58, v58
	s_mov_b32 s13, 0
	v_max_f32_e32 v58, v58, v59
	s_branch .LBB6_11391
.LBB6_11390:                            ;   in Loop: Header=BB6_10858 Depth=3
	s_mov_b32 s13, -1
                                        ; implicit-def: $vgpr58
.LBB6_11391:                            ;   in Loop: Header=BB6_10858 Depth=3
	s_delay_alu instid0(SALU_CYCLE_1)
	s_and_b32 vcc_lo, exec_lo, s13
	s_cbranch_vccz .LBB6_11401
; %bb.11392:                            ;   in Loop: Header=BB6_10858 Depth=3
	v_and_b32_e32 v59, 0xff, v57
	s_mov_b32 s13, 0
	s_mov_b32 s31, exec_lo
                                        ; implicit-def: $sgpr17
	s_delay_alu instid0(VALU_DEP_1)
	v_cmpx_lt_i16_e32 0x7f, v59
	s_xor_b32 s31, exec_lo, s31
	s_cbranch_execnz .LBB6_13008
; %bb.11393:                            ;   in Loop: Header=BB6_10858 Depth=3
	s_or_saveexec_b32 s31, s31
	v_mov_b32_e32 v58, s17
	s_xor_b32 exec_lo, exec_lo, s31
	s_cbranch_execnz .LBB6_13011
.LBB6_11394:                            ;   in Loop: Header=BB6_10858 Depth=3
	s_or_b32 exec_lo, exec_lo, s31
	s_and_saveexec_b32 s17, s13
	s_cbranch_execz .LBB6_11396
.LBB6_11395:                            ;   in Loop: Header=BB6_10858 Depth=3
	v_bfe_u32 v58, v32, 16, 3
	v_bfe_u32 v61, v32, 19, 4
	s_delay_alu instid0(VALU_DEP_2) | instskip(NEXT) | instid1(VALU_DEP_2)
	v_clz_i32_u32_e32 v59, v58
	v_cmp_eq_u32_e32 vcc_lo, 0, v61
	s_delay_alu instid0(VALU_DEP_2) | instskip(NEXT) | instid1(VALU_DEP_1)
	v_min_u32_e32 v59, 32, v59
	v_subrev_nc_u32_e32 v60, 28, v59
	v_sub_nc_u32_e32 v59, 29, v59
	s_delay_alu instid0(VALU_DEP_1) | instskip(NEXT) | instid1(VALU_DEP_1)
	v_dual_cndmask_b32 v59, v61, v59 :: v_dual_lshlrev_b32 v60, v60, v57
	v_and_b32_e32 v60, 7, v60
	v_lshlrev_b32_e32 v57, 24, v57
	s_delay_alu instid0(VALU_DEP_3) | instskip(NEXT) | instid1(VALU_DEP_2)
	v_lshl_add_u32 v59, v59, 23, 0x3b800000
	v_dual_cndmask_b32 v58, v58, v60 :: v_dual_and_b32 v57, 0x80000000, v57
	s_delay_alu instid0(VALU_DEP_1) | instskip(NEXT) | instid1(VALU_DEP_1)
	v_lshlrev_b32_e32 v58, 20, v58
	v_or3_b32 v58, v57, v59, v58
.LBB6_11396:                            ;   in Loop: Header=BB6_10858 Depth=3
	s_or_b32 exec_lo, exec_lo, s17
	v_and_b32_e32 v59, 0xff, v56
	s_mov_b32 s13, 0
	s_mov_b32 s31, exec_lo
                                        ; implicit-def: $sgpr17
	s_delay_alu instid0(VALU_DEP_1)
	v_cmpx_lt_i16_e32 0x7f, v59
	s_xor_b32 s31, exec_lo, s31
	s_cbranch_execnz .LBB6_13012
; %bb.11397:                            ;   in Loop: Header=BB6_10858 Depth=3
	s_or_saveexec_b32 s31, s31
	v_mov_b32_e32 v57, s17
	s_xor_b32 exec_lo, exec_lo, s31
	s_cbranch_execnz .LBB6_13015
.LBB6_11398:                            ;   in Loop: Header=BB6_10858 Depth=3
	s_or_b32 exec_lo, exec_lo, s31
	s_and_saveexec_b32 s17, s13
	s_cbranch_execz .LBB6_11400
.LBB6_11399:                            ;   in Loop: Header=BB6_10858 Depth=3
	v_bfe_u32 v57, v24, 16, 3
	v_bfe_u32 v61, v24, 19, 4
	s_delay_alu instid0(VALU_DEP_2) | instskip(NEXT) | instid1(VALU_DEP_2)
	v_clz_i32_u32_e32 v59, v57
	v_cmp_eq_u32_e32 vcc_lo, 0, v61
	s_delay_alu instid0(VALU_DEP_2) | instskip(NEXT) | instid1(VALU_DEP_1)
	v_min_u32_e32 v59, 32, v59
	v_subrev_nc_u32_e32 v60, 28, v59
	v_sub_nc_u32_e32 v59, 29, v59
	s_delay_alu instid0(VALU_DEP_1) | instskip(SKIP_1) | instid1(VALU_DEP_2)
	v_dual_cndmask_b32 v59, v61, v59 :: v_dual_lshlrev_b32 v60, v60, v56
	v_lshlrev_b32_e32 v56, 24, v56
	v_and_b32_e32 v60, 7, v60
	s_delay_alu instid0(VALU_DEP_3) | instskip(NEXT) | instid1(VALU_DEP_3)
	v_lshl_add_u32 v59, v59, 23, 0x3b800000
	v_and_b32_e32 v56, 0x80000000, v56
	s_delay_alu instid0(VALU_DEP_3) | instskip(NEXT) | instid1(VALU_DEP_1)
	v_cndmask_b32_e32 v57, v57, v60, vcc_lo
	v_lshlrev_b32_e32 v57, 20, v57
	s_delay_alu instid0(VALU_DEP_1)
	v_or3_b32 v57, v56, v59, v57
.LBB6_11400:                            ;   in Loop: Header=BB6_10858 Depth=3
	s_or_b32 exec_lo, exec_lo, s17
	s_delay_alu instid0(VALU_DEP_1) | instskip(NEXT) | instid1(VALU_DEP_1)
	v_dual_max_f32 v56, v57, v57 :: v_dual_max_f32 v57, v58, v58
	v_min_f32_e32 v58, v57, v56
.LBB6_11401:                            ;   in Loop: Header=BB6_10858 Depth=3
	s_delay_alu instid0(VALU_DEP_1) | instskip(NEXT) | instid1(VALU_DEP_1)
	v_and_b32_e32 v56, 0x7f800000, v58
	v_cmp_ne_u32_e32 vcc_lo, 0x7f800000, v56
	v_mov_b32_e32 v56, 0x80
	s_and_saveexec_b32 s17, vcc_lo
	s_cbranch_execz .LBB6_11409
; %bb.11402:                            ;   in Loop: Header=BB6_10858 Depth=3
	v_mov_b32_e32 v56, 0
	s_mov_b32 s31, exec_lo
	v_cmpx_ne_u32_e32 0, v58
	s_cbranch_execz .LBB6_11408
; %bb.11403:                            ;   in Loop: Header=BB6_10858 Depth=3
	v_bfe_u32 v56, v58, 23, 8
	v_and_b32_e32 v57, 0x7fffff, v58
	s_delay_alu instid0(VALU_DEP_2) | instskip(SKIP_1) | instid1(VALU_DEP_3)
	v_sub_nc_u32_e32 v59, 0x78, v56
	v_cmp_gt_u32_e32 vcc_lo, 0x79, v56
	v_or_b32_e32 v60, 0x800000, v57
	s_delay_alu instid0(VALU_DEP_3) | instskip(SKIP_2) | instid1(VALU_DEP_3)
	v_cndmask_b32_e32 v59, 0, v59, vcc_lo
	v_cmp_eq_u32_e32 vcc_lo, 0, v56
	v_add_nc_u32_e32 v56, 0xffffff89, v56
	v_cndmask_b32_e64 v59, v59, 0x77, vcc_lo
	v_cndmask_b32_e32 v57, v60, v57, vcc_lo
	s_delay_alu instid0(VALU_DEP_3) | instskip(NEXT) | instid1(VALU_DEP_3)
	v_cndmask_b32_e64 v56, v56, 0xffffff8a, vcc_lo
	v_lshl_add_u32 v60, 0x100000, v59, -1
	s_delay_alu instid0(VALU_DEP_3) | instskip(SKIP_1) | instid1(VALU_DEP_4)
	v_lshrrev_b32_e32 v61, v59, v57
	v_lshlrev_b32_e64 v63, v59, 0x80000
	v_add_nc_u32_e32 v59, v59, v56
	s_delay_alu instid0(VALU_DEP_4) | instskip(NEXT) | instid1(VALU_DEP_4)
	v_and_b32_e32 v57, v60, v57
	v_bfe_u32 v62, v61, 20, 1
	s_delay_alu instid0(VALU_DEP_2) | instskip(NEXT) | instid1(VALU_DEP_2)
	v_cmp_eq_u32_e64 s13, v57, v63
	v_add_nc_u32_e32 v60, -1, v62
	s_delay_alu instid0(VALU_DEP_1) | instskip(SKIP_2) | instid1(VALU_DEP_2)
	v_cndmask_b32_e64 v57, 0, v60, s13
	v_lshrrev_b32_e32 v60, 23, v61
	s_mov_b32 s13, exec_lo
	v_add_nc_u32_e32 v57, v57, v61
	s_delay_alu instid0(VALU_DEP_2) | instskip(NEXT) | instid1(VALU_DEP_2)
	v_xor_b32_e32 v60, 1, v60
	v_and_b32_e32 v56, 0xfffff, v57
	s_delay_alu instid0(VALU_DEP_1) | instskip(NEXT) | instid1(VALU_DEP_3)
	v_add_nc_u32_e32 v57, v56, v61
                                        ; implicit-def: $vgpr56
	v_cmpx_ne_u32_e64 v59, v60
	s_xor_b32 s13, exec_lo, s13
; %bb.11404:                            ;   in Loop: Header=BB6_10858 Depth=3
	s_delay_alu instid0(VALU_DEP_2) | instskip(SKIP_2) | instid1(VALU_DEP_2)
	v_cmp_lt_u32_e32 vcc_lo, 0xffffff, v57
	v_sub_nc_u32_e32 v56, v59, v60
	v_cndmask_b32_e64 v59, 0, 1, vcc_lo
	v_add_co_ci_u32_e32 v56, vcc_lo, 0, v56, vcc_lo
	s_delay_alu instid0(VALU_DEP_2)
	v_lshrrev_b32_e32 v57, v59, v57
; %bb.11405:                            ;   in Loop: Header=BB6_10858 Depth=3
	s_and_not1_saveexec_b32 s13, s13
; %bb.11406:                            ;   in Loop: Header=BB6_10858 Depth=3
	s_delay_alu instid0(VALU_DEP_1)
	v_bfe_u32 v56, v57, 23, 1
; %bb.11407:                            ;   in Loop: Header=BB6_10858 Depth=3
	s_or_b32 exec_lo, exec_lo, s13
	v_lshrrev_b32_e32 v57, 20, v57
	s_delay_alu instid0(VALU_DEP_2) | instskip(SKIP_2) | instid1(VALU_DEP_2)
	v_cmp_gt_i32_e32 vcc_lo, 16, v56
	v_lshrrev_b32_e32 v58, 24, v58
	v_min_i32_e32 v59, 15, v56
	v_dual_cndmask_b32 v57, 7, v57 :: v_dual_and_b32 v58, 0x80, v58
	s_delay_alu instid0(VALU_DEP_1) | instskip(SKIP_1) | instid1(VALU_DEP_2)
	v_or_b32_e32 v56, v56, v57
	v_and_b32_e32 v60, 7, v57
	v_cmp_ne_u32_e32 vcc_lo, 0, v56
	v_lshlrev_b32_e32 v59, 3, v59
	s_delay_alu instid0(VALU_DEP_1) | instskip(NEXT) | instid1(VALU_DEP_1)
	v_or3_b32 v57, v59, v58, v60
	v_cndmask_b32_e32 v56, 0, v57, vcc_lo
.LBB6_11408:                            ;   in Loop: Header=BB6_10858 Depth=3
	s_or_b32 exec_lo, exec_lo, s31
.LBB6_11409:                            ;   in Loop: Header=BB6_10858 Depth=3
	s_delay_alu instid0(SALU_CYCLE_1)
	s_or_b32 exec_lo, exec_lo, s17
	v_lshrrev_b32_e32 v58, 24, v32
	v_lshrrev_b32_e32 v57, 24, v24
	s_and_not1_b32 vcc_lo, exec_lo, s16
	s_cbranch_vccnz .LBB6_11419
; %bb.11410:                            ;   in Loop: Header=BB6_10858 Depth=3
	s_mov_b32 s13, 0
	s_mov_b32 s31, exec_lo
                                        ; implicit-def: $sgpr17
	v_cmpx_lt_i16_e32 0x7f, v58
	s_xor_b32 s31, exec_lo, s31
	s_cbranch_execnz .LBB6_13016
; %bb.11411:                            ;   in Loop: Header=BB6_10858 Depth=3
	s_or_saveexec_b32 s31, s31
	v_mov_b32_e32 v59, s17
	s_xor_b32 exec_lo, exec_lo, s31
	s_cbranch_execnz .LBB6_13019
.LBB6_11412:                            ;   in Loop: Header=BB6_10858 Depth=3
	s_or_b32 exec_lo, exec_lo, s31
	s_and_saveexec_b32 s17, s13
	s_cbranch_execz .LBB6_11414
.LBB6_11413:                            ;   in Loop: Header=BB6_10858 Depth=3
	v_bfe_u32 v59, v32, 24, 3
	v_bfe_u32 v62, v32, 27, 4
	s_delay_alu instid0(VALU_DEP_2) | instskip(NEXT) | instid1(VALU_DEP_2)
	v_clz_i32_u32_e32 v60, v59
	v_cmp_eq_u32_e32 vcc_lo, 0, v62
	s_delay_alu instid0(VALU_DEP_2) | instskip(NEXT) | instid1(VALU_DEP_1)
	v_min_u32_e32 v60, 32, v60
	v_subrev_nc_u32_e32 v61, 28, v60
	v_sub_nc_u32_e32 v60, 29, v60
	s_delay_alu instid0(VALU_DEP_1) | instskip(NEXT) | instid1(VALU_DEP_1)
	v_dual_cndmask_b32 v60, v62, v60 :: v_dual_lshlrev_b32 v61, v61, v58
	v_and_b32_e32 v61, 7, v61
	s_delay_alu instid0(VALU_DEP_2) | instskip(NEXT) | instid1(VALU_DEP_2)
	v_lshl_add_u32 v60, v60, 23, 0x3b800000
	v_cndmask_b32_e32 v59, v59, v61, vcc_lo
	v_and_b32_e32 v61, 0x80000000, v32
	s_delay_alu instid0(VALU_DEP_2) | instskip(NEXT) | instid1(VALU_DEP_1)
	v_lshlrev_b32_e32 v59, 20, v59
	v_or3_b32 v59, v61, v60, v59
.LBB6_11414:                            ;   in Loop: Header=BB6_10858 Depth=3
	s_or_b32 exec_lo, exec_lo, s17
	s_mov_b32 s13, 0
	s_mov_b32 s31, exec_lo
                                        ; implicit-def: $sgpr17
	v_cmpx_lt_i16_e32 0x7f, v57
	s_xor_b32 s31, exec_lo, s31
	s_cbranch_execnz .LBB6_13020
; %bb.11415:                            ;   in Loop: Header=BB6_10858 Depth=3
	s_or_saveexec_b32 s31, s31
	v_mov_b32_e32 v60, s17
	s_xor_b32 exec_lo, exec_lo, s31
	s_cbranch_execnz .LBB6_13023
.LBB6_11416:                            ;   in Loop: Header=BB6_10858 Depth=3
	s_or_b32 exec_lo, exec_lo, s31
	s_and_saveexec_b32 s17, s13
	s_cbranch_execz .LBB6_11418
.LBB6_11417:                            ;   in Loop: Header=BB6_10858 Depth=3
	v_bfe_u32 v60, v24, 24, 3
	v_bfe_u32 v63, v24, 27, 4
	s_delay_alu instid0(VALU_DEP_2) | instskip(NEXT) | instid1(VALU_DEP_2)
	v_clz_i32_u32_e32 v61, v60
	v_cmp_eq_u32_e32 vcc_lo, 0, v63
	s_delay_alu instid0(VALU_DEP_2) | instskip(NEXT) | instid1(VALU_DEP_1)
	v_min_u32_e32 v61, 32, v61
	v_subrev_nc_u32_e32 v62, 28, v61
	v_sub_nc_u32_e32 v61, 29, v61
	s_delay_alu instid0(VALU_DEP_2) | instskip(NEXT) | instid1(VALU_DEP_1)
	v_lshlrev_b32_e32 v62, v62, v57
	v_dual_cndmask_b32 v61, v63, v61 :: v_dual_and_b32 v62, 7, v62
	s_delay_alu instid0(VALU_DEP_1) | instskip(NEXT) | instid1(VALU_DEP_2)
	v_lshl_add_u32 v61, v61, 23, 0x3b800000
	v_cndmask_b32_e32 v60, v60, v62, vcc_lo
	v_and_b32_e32 v62, 0x80000000, v24
	s_delay_alu instid0(VALU_DEP_2) | instskip(NEXT) | instid1(VALU_DEP_1)
	v_lshlrev_b32_e32 v60, 20, v60
	v_or3_b32 v60, v62, v61, v60
.LBB6_11418:                            ;   in Loop: Header=BB6_10858 Depth=3
	s_or_b32 exec_lo, exec_lo, s17
	s_delay_alu instid0(VALU_DEP_1) | instskip(SKIP_1) | instid1(VALU_DEP_1)
	v_dual_max_f32 v60, v60, v60 :: v_dual_max_f32 v59, v59, v59
	s_mov_b32 s13, 0
	v_max_f32_e32 v59, v59, v60
	s_branch .LBB6_11420
.LBB6_11419:                            ;   in Loop: Header=BB6_10858 Depth=3
	s_mov_b32 s13, -1
                                        ; implicit-def: $vgpr59
.LBB6_11420:                            ;   in Loop: Header=BB6_10858 Depth=3
	s_delay_alu instid0(SALU_CYCLE_1)
	s_and_b32 vcc_lo, exec_lo, s13
	s_cbranch_vccz .LBB6_11430
; %bb.11421:                            ;   in Loop: Header=BB6_10858 Depth=3
	s_mov_b32 s13, 0
	s_mov_b32 s31, exec_lo
                                        ; implicit-def: $sgpr17
	v_cmpx_lt_i16_e32 0x7f, v58
	s_xor_b32 s31, exec_lo, s31
	s_cbranch_execnz .LBB6_13024
; %bb.11422:                            ;   in Loop: Header=BB6_10858 Depth=3
	s_or_saveexec_b32 s31, s31
	v_mov_b32_e32 v59, s17
	s_xor_b32 exec_lo, exec_lo, s31
	s_cbranch_execnz .LBB6_13027
.LBB6_11423:                            ;   in Loop: Header=BB6_10858 Depth=3
	s_or_b32 exec_lo, exec_lo, s31
	s_and_saveexec_b32 s17, s13
	s_cbranch_execz .LBB6_11425
.LBB6_11424:                            ;   in Loop: Header=BB6_10858 Depth=3
	v_bfe_u32 v59, v32, 24, 3
	s_delay_alu instid0(VALU_DEP_1) | instskip(NEXT) | instid1(VALU_DEP_1)
	v_clz_i32_u32_e32 v60, v59
	v_min_u32_e32 v60, 32, v60
	s_delay_alu instid0(VALU_DEP_1) | instskip(SKIP_1) | instid1(VALU_DEP_2)
	v_subrev_nc_u32_e32 v61, 28, v60
	v_sub_nc_u32_e32 v60, 29, v60
	v_lshlrev_b32_e32 v58, v61, v58
	v_bfe_u32 v61, v32, 27, 4
	v_and_b32_e32 v32, 0x80000000, v32
	s_delay_alu instid0(VALU_DEP_3) | instskip(NEXT) | instid1(VALU_DEP_3)
	v_and_b32_e32 v58, 7, v58
	v_cmp_eq_u32_e32 vcc_lo, 0, v61
	v_cndmask_b32_e32 v60, v61, v60, vcc_lo
	s_delay_alu instid0(VALU_DEP_3) | instskip(NEXT) | instid1(VALU_DEP_2)
	v_cndmask_b32_e32 v58, v59, v58, vcc_lo
	v_lshl_add_u32 v59, v60, 23, 0x3b800000
	s_delay_alu instid0(VALU_DEP_2) | instskip(NEXT) | instid1(VALU_DEP_1)
	v_lshlrev_b32_e32 v58, 20, v58
	v_or3_b32 v59, v32, v59, v58
.LBB6_11425:                            ;   in Loop: Header=BB6_10858 Depth=3
	s_or_b32 exec_lo, exec_lo, s17
	s_mov_b32 s13, 0
	s_mov_b32 s31, exec_lo
                                        ; implicit-def: $sgpr17
	v_cmpx_lt_i16_e32 0x7f, v57
	s_xor_b32 s31, exec_lo, s31
	s_cbranch_execnz .LBB6_13028
; %bb.11426:                            ;   in Loop: Header=BB6_10858 Depth=3
	s_or_saveexec_b32 s31, s31
	v_mov_b32_e32 v32, s17
	s_xor_b32 exec_lo, exec_lo, s31
	s_cbranch_execnz .LBB6_13031
.LBB6_11427:                            ;   in Loop: Header=BB6_10858 Depth=3
	s_or_b32 exec_lo, exec_lo, s31
	s_and_saveexec_b32 s17, s13
	s_cbranch_execz .LBB6_11429
.LBB6_11428:                            ;   in Loop: Header=BB6_10858 Depth=3
	v_bfe_u32 v32, v24, 24, 3
	s_delay_alu instid0(VALU_DEP_1) | instskip(NEXT) | instid1(VALU_DEP_1)
	v_clz_i32_u32_e32 v58, v32
	v_min_u32_e32 v58, 32, v58
	s_delay_alu instid0(VALU_DEP_1) | instskip(SKIP_1) | instid1(VALU_DEP_2)
	v_subrev_nc_u32_e32 v60, 28, v58
	v_sub_nc_u32_e32 v58, 29, v58
	v_lshlrev_b32_e32 v57, v60, v57
	v_bfe_u32 v60, v24, 27, 4
	v_and_b32_e32 v24, 0x80000000, v24
	s_delay_alu instid0(VALU_DEP_2) | instskip(NEXT) | instid1(VALU_DEP_4)
	v_cmp_eq_u32_e32 vcc_lo, 0, v60
	v_dual_cndmask_b32 v58, v60, v58 :: v_dual_and_b32 v57, 7, v57
	s_delay_alu instid0(VALU_DEP_1) | instskip(NEXT) | instid1(VALU_DEP_2)
	v_cndmask_b32_e32 v32, v32, v57, vcc_lo
	v_lshl_add_u32 v57, v58, 23, 0x3b800000
	s_delay_alu instid0(VALU_DEP_2) | instskip(NEXT) | instid1(VALU_DEP_1)
	v_lshlrev_b32_e32 v32, 20, v32
	v_or3_b32 v32, v24, v57, v32
.LBB6_11429:                            ;   in Loop: Header=BB6_10858 Depth=3
	s_or_b32 exec_lo, exec_lo, s17
	s_delay_alu instid0(VALU_DEP_1) | instskip(SKIP_1) | instid1(VALU_DEP_1)
	v_max_f32_e32 v24, v32, v32
	v_max_f32_e32 v32, v59, v59
	v_min_f32_e32 v59, v32, v24
.LBB6_11430:                            ;   in Loop: Header=BB6_10858 Depth=3
	s_delay_alu instid0(VALU_DEP_1) | instskip(NEXT) | instid1(VALU_DEP_1)
	v_and_b32_e32 v24, 0x7f800000, v59
	v_cmp_ne_u32_e32 vcc_lo, 0x7f800000, v24
	v_mov_b32_e32 v24, 0x80
	s_and_saveexec_b32 s17, vcc_lo
	s_cbranch_execz .LBB6_11438
; %bb.11431:                            ;   in Loop: Header=BB6_10858 Depth=3
	v_mov_b32_e32 v24, 0
	s_mov_b32 s31, exec_lo
	v_cmpx_ne_u32_e32 0, v59
	s_cbranch_execz .LBB6_11437
; %bb.11432:                            ;   in Loop: Header=BB6_10858 Depth=3
	v_bfe_u32 v24, v59, 23, 8
	s_delay_alu instid0(VALU_DEP_1) | instskip(SKIP_1) | instid1(VALU_DEP_2)
	v_sub_nc_u32_e32 v57, 0x78, v24
	v_cmp_gt_u32_e32 vcc_lo, 0x79, v24
	v_dual_cndmask_b32 v57, 0, v57 :: v_dual_and_b32 v32, 0x7fffff, v59
	s_delay_alu instid0(VALU_DEP_1) | instskip(SKIP_2) | instid1(VALU_DEP_4)
	v_or_b32_e32 v58, 0x800000, v32
	v_cmp_eq_u32_e32 vcc_lo, 0, v24
	v_add_nc_u32_e32 v24, 0xffffff89, v24
	v_cndmask_b32_e64 v57, v57, 0x77, vcc_lo
	s_delay_alu instid0(VALU_DEP_4) | instskip(NEXT) | instid1(VALU_DEP_3)
	v_cndmask_b32_e32 v32, v58, v32, vcc_lo
	v_cndmask_b32_e64 v24, v24, 0xffffff8a, vcc_lo
	s_delay_alu instid0(VALU_DEP_3) | instskip(NEXT) | instid1(VALU_DEP_3)
	v_lshl_add_u32 v58, 0x100000, v57, -1
	v_lshrrev_b32_e32 v60, v57, v32
	v_lshlrev_b32_e64 v62, v57, 0x80000
	s_delay_alu instid0(VALU_DEP_4) | instskip(NEXT) | instid1(VALU_DEP_4)
	v_add_nc_u32_e32 v57, v57, v24
	v_and_b32_e32 v32, v58, v32
	s_delay_alu instid0(VALU_DEP_4) | instskip(NEXT) | instid1(VALU_DEP_2)
	v_bfe_u32 v61, v60, 20, 1
	v_cmp_eq_u32_e64 s13, v32, v62
	s_delay_alu instid0(VALU_DEP_2) | instskip(NEXT) | instid1(VALU_DEP_1)
	v_add_nc_u32_e32 v58, -1, v61
	v_cndmask_b32_e64 v32, 0, v58, s13
	v_lshrrev_b32_e32 v58, 23, v60
	s_mov_b32 s13, exec_lo
	s_delay_alu instid0(VALU_DEP_2) | instskip(NEXT) | instid1(VALU_DEP_2)
	v_add_nc_u32_e32 v32, v32, v60
	v_xor_b32_e32 v58, 1, v58
	s_delay_alu instid0(VALU_DEP_2) | instskip(NEXT) | instid1(VALU_DEP_1)
	v_and_b32_e32 v24, 0xfffff, v32
	v_add_nc_u32_e32 v32, v24, v60
                                        ; implicit-def: $vgpr24
	s_delay_alu instid0(VALU_DEP_3)
	v_cmpx_ne_u32_e64 v57, v58
	s_xor_b32 s13, exec_lo, s13
; %bb.11433:                            ;   in Loop: Header=BB6_10858 Depth=3
	s_delay_alu instid0(VALU_DEP_2) | instskip(SKIP_2) | instid1(VALU_DEP_2)
	v_cmp_lt_u32_e32 vcc_lo, 0xffffff, v32
	v_sub_nc_u32_e32 v24, v57, v58
	v_cndmask_b32_e64 v57, 0, 1, vcc_lo
	v_add_co_ci_u32_e32 v24, vcc_lo, 0, v24, vcc_lo
	s_delay_alu instid0(VALU_DEP_2)
	v_lshrrev_b32_e32 v32, v57, v32
; %bb.11434:                            ;   in Loop: Header=BB6_10858 Depth=3
	s_and_not1_saveexec_b32 s13, s13
; %bb.11435:                            ;   in Loop: Header=BB6_10858 Depth=3
	s_delay_alu instid0(VALU_DEP_1)
	v_bfe_u32 v24, v32, 23, 1
; %bb.11436:                            ;   in Loop: Header=BB6_10858 Depth=3
	s_or_b32 exec_lo, exec_lo, s13
	v_lshrrev_b32_e32 v32, 20, v32
	s_delay_alu instid0(VALU_DEP_2) | instskip(SKIP_2) | instid1(VALU_DEP_2)
	v_cmp_gt_i32_e32 vcc_lo, 16, v24
	v_lshrrev_b32_e32 v57, 24, v59
	v_min_i32_e32 v58, 15, v24
	v_dual_cndmask_b32 v32, 7, v32 :: v_dual_and_b32 v57, 0x80, v57
	s_delay_alu instid0(VALU_DEP_2) | instskip(NEXT) | instid1(VALU_DEP_2)
	v_lshlrev_b32_e32 v58, 3, v58
	v_and_b32_e32 v59, 7, v32
	v_or_b32_e32 v24, v24, v32
	s_delay_alu instid0(VALU_DEP_2) | instskip(NEXT) | instid1(VALU_DEP_2)
	v_or3_b32 v32, v58, v57, v59
	v_cmp_ne_u32_e32 vcc_lo, 0, v24
	s_delay_alu instid0(VALU_DEP_2)
	v_cndmask_b32_e32 v24, 0, v32, vcc_lo
.LBB6_11437:                            ;   in Loop: Header=BB6_10858 Depth=3
	s_or_b32 exec_lo, exec_lo, s31
.LBB6_11438:                            ;   in Loop: Header=BB6_10858 Depth=3
	s_delay_alu instid0(SALU_CYCLE_1) | instskip(NEXT) | instid1(SALU_CYCLE_1)
	s_or_b32 exec_lo, exec_lo, s17
	s_and_not1_b32 vcc_lo, exec_lo, s16
	s_cbranch_vccnz .LBB6_11448
; %bb.11439:                            ;   in Loop: Header=BB6_10858 Depth=3
	v_and_b32_e32 v57, 0xff, v33
	s_mov_b32 s13, 0
	s_mov_b32 s31, exec_lo
                                        ; implicit-def: $sgpr17
	s_delay_alu instid0(VALU_DEP_1)
	v_cmpx_lt_i16_e32 0x7f, v57
	s_xor_b32 s31, exec_lo, s31
	s_cbranch_execnz .LBB6_13032
; %bb.11440:                            ;   in Loop: Header=BB6_10858 Depth=3
	s_or_saveexec_b32 s31, s31
	v_mov_b32_e32 v32, s17
	s_xor_b32 exec_lo, exec_lo, s31
	s_cbranch_execnz .LBB6_13035
.LBB6_11441:                            ;   in Loop: Header=BB6_10858 Depth=3
	s_or_b32 exec_lo, exec_lo, s31
	s_and_saveexec_b32 s17, s13
	s_cbranch_execz .LBB6_11443
.LBB6_11442:                            ;   in Loop: Header=BB6_10858 Depth=3
	v_and_b32_e32 v32, 7, v33
	v_bfe_u32 v59, v33, 3, 4
	v_lshlrev_b32_e32 v60, 24, v33
	s_delay_alu instid0(VALU_DEP_3) | instskip(NEXT) | instid1(VALU_DEP_3)
	v_clz_i32_u32_e32 v57, v32
	v_cmp_eq_u32_e32 vcc_lo, 0, v59
	s_delay_alu instid0(VALU_DEP_2) | instskip(NEXT) | instid1(VALU_DEP_1)
	v_min_u32_e32 v57, 32, v57
	v_subrev_nc_u32_e32 v58, 28, v57
	v_sub_nc_u32_e32 v57, 29, v57
	s_delay_alu instid0(VALU_DEP_2) | instskip(NEXT) | instid1(VALU_DEP_1)
	v_lshlrev_b32_e32 v58, v58, v33
	v_dual_cndmask_b32 v57, v59, v57 :: v_dual_and_b32 v58, 7, v58
	s_delay_alu instid0(VALU_DEP_1) | instskip(NEXT) | instid1(VALU_DEP_2)
	v_lshl_add_u32 v57, v57, 23, 0x3b800000
	v_cndmask_b32_e32 v32, v32, v58, vcc_lo
	v_and_b32_e32 v58, 0x80000000, v60
	s_delay_alu instid0(VALU_DEP_2) | instskip(NEXT) | instid1(VALU_DEP_1)
	v_lshlrev_b32_e32 v32, 20, v32
	v_or3_b32 v32, v58, v57, v32
.LBB6_11443:                            ;   in Loop: Header=BB6_10858 Depth=3
	s_or_b32 exec_lo, exec_lo, s17
	v_and_b32_e32 v58, 0xff, v25
	s_mov_b32 s13, 0
	s_mov_b32 s31, exec_lo
                                        ; implicit-def: $sgpr17
	s_delay_alu instid0(VALU_DEP_1)
	v_cmpx_lt_i16_e32 0x7f, v58
	s_xor_b32 s31, exec_lo, s31
	s_cbranch_execnz .LBB6_13036
; %bb.11444:                            ;   in Loop: Header=BB6_10858 Depth=3
	s_or_saveexec_b32 s31, s31
	v_mov_b32_e32 v57, s17
	s_xor_b32 exec_lo, exec_lo, s31
	s_cbranch_execnz .LBB6_13039
.LBB6_11445:                            ;   in Loop: Header=BB6_10858 Depth=3
	s_or_b32 exec_lo, exec_lo, s31
	s_and_saveexec_b32 s17, s13
	s_cbranch_execz .LBB6_11447
.LBB6_11446:                            ;   in Loop: Header=BB6_10858 Depth=3
	v_bfe_u32 v60, v25, 3, 4
	v_lshlrev_b32_e32 v61, 24, v25
	s_delay_alu instid0(VALU_DEP_2) | instskip(SKIP_1) | instid1(VALU_DEP_1)
	v_cmp_eq_u32_e32 vcc_lo, 0, v60
	v_and_b32_e32 v57, 7, v25
	v_clz_i32_u32_e32 v58, v57
	s_delay_alu instid0(VALU_DEP_1) | instskip(NEXT) | instid1(VALU_DEP_1)
	v_min_u32_e32 v58, 32, v58
	v_subrev_nc_u32_e32 v59, 28, v58
	v_sub_nc_u32_e32 v58, 29, v58
	s_delay_alu instid0(VALU_DEP_1) | instskip(NEXT) | instid1(VALU_DEP_1)
	v_dual_cndmask_b32 v58, v60, v58 :: v_dual_lshlrev_b32 v59, v59, v25
	v_and_b32_e32 v59, 7, v59
	s_delay_alu instid0(VALU_DEP_2) | instskip(NEXT) | instid1(VALU_DEP_2)
	v_lshl_add_u32 v58, v58, 23, 0x3b800000
	v_cndmask_b32_e32 v57, v57, v59, vcc_lo
	v_and_b32_e32 v59, 0x80000000, v61
	s_delay_alu instid0(VALU_DEP_2) | instskip(NEXT) | instid1(VALU_DEP_1)
	v_lshlrev_b32_e32 v57, 20, v57
	v_or3_b32 v57, v59, v58, v57
.LBB6_11447:                            ;   in Loop: Header=BB6_10858 Depth=3
	s_or_b32 exec_lo, exec_lo, s17
	s_delay_alu instid0(VALU_DEP_1) | instskip(SKIP_1) | instid1(VALU_DEP_1)
	v_dual_max_f32 v57, v57, v57 :: v_dual_max_f32 v32, v32, v32
	s_mov_b32 s13, 0
	v_max_f32_e32 v57, v32, v57
	s_branch .LBB6_11449
.LBB6_11448:                            ;   in Loop: Header=BB6_10858 Depth=3
	s_mov_b32 s13, -1
                                        ; implicit-def: $vgpr57
.LBB6_11449:                            ;   in Loop: Header=BB6_10858 Depth=3
	s_delay_alu instid0(SALU_CYCLE_1)
	s_and_b32 vcc_lo, exec_lo, s13
	s_cbranch_vccz .LBB6_11459
; %bb.11450:                            ;   in Loop: Header=BB6_10858 Depth=3
	v_and_b32_e32 v57, 0xff, v33
	s_mov_b32 s13, 0
	s_mov_b32 s31, exec_lo
                                        ; implicit-def: $sgpr17
	s_delay_alu instid0(VALU_DEP_1)
	v_cmpx_lt_i16_e32 0x7f, v57
	s_xor_b32 s31, exec_lo, s31
	s_cbranch_execnz .LBB6_13040
; %bb.11451:                            ;   in Loop: Header=BB6_10858 Depth=3
	s_or_saveexec_b32 s31, s31
	v_mov_b32_e32 v32, s17
	s_xor_b32 exec_lo, exec_lo, s31
	s_cbranch_execnz .LBB6_13043
.LBB6_11452:                            ;   in Loop: Header=BB6_10858 Depth=3
	s_or_b32 exec_lo, exec_lo, s31
	s_and_saveexec_b32 s17, s13
	s_cbranch_execz .LBB6_11454
.LBB6_11453:                            ;   in Loop: Header=BB6_10858 Depth=3
	v_and_b32_e32 v32, 7, v33
	v_bfe_u32 v59, v33, 3, 4
	v_lshlrev_b32_e32 v60, 24, v33
	s_delay_alu instid0(VALU_DEP_3) | instskip(NEXT) | instid1(VALU_DEP_3)
	v_clz_i32_u32_e32 v57, v32
	v_cmp_eq_u32_e32 vcc_lo, 0, v59
	s_delay_alu instid0(VALU_DEP_2) | instskip(NEXT) | instid1(VALU_DEP_1)
	v_min_u32_e32 v57, 32, v57
	v_subrev_nc_u32_e32 v58, 28, v57
	v_sub_nc_u32_e32 v57, 29, v57
	s_delay_alu instid0(VALU_DEP_2) | instskip(NEXT) | instid1(VALU_DEP_1)
	v_lshlrev_b32_e32 v58, v58, v33
	v_dual_cndmask_b32 v57, v59, v57 :: v_dual_and_b32 v58, 7, v58
	s_delay_alu instid0(VALU_DEP_1) | instskip(NEXT) | instid1(VALU_DEP_2)
	v_lshl_add_u32 v57, v57, 23, 0x3b800000
	v_cndmask_b32_e32 v32, v32, v58, vcc_lo
	v_and_b32_e32 v58, 0x80000000, v60
	s_delay_alu instid0(VALU_DEP_2) | instskip(NEXT) | instid1(VALU_DEP_1)
	v_lshlrev_b32_e32 v32, 20, v32
	v_or3_b32 v32, v58, v57, v32
.LBB6_11454:                            ;   in Loop: Header=BB6_10858 Depth=3
	s_or_b32 exec_lo, exec_lo, s17
	v_and_b32_e32 v58, 0xff, v25
	s_mov_b32 s13, 0
	s_mov_b32 s31, exec_lo
                                        ; implicit-def: $sgpr17
	s_delay_alu instid0(VALU_DEP_1)
	v_cmpx_lt_i16_e32 0x7f, v58
	s_xor_b32 s31, exec_lo, s31
	s_cbranch_execnz .LBB6_13044
; %bb.11455:                            ;   in Loop: Header=BB6_10858 Depth=3
	s_or_saveexec_b32 s31, s31
	v_mov_b32_e32 v57, s17
	s_xor_b32 exec_lo, exec_lo, s31
	s_cbranch_execnz .LBB6_13047
.LBB6_11456:                            ;   in Loop: Header=BB6_10858 Depth=3
	s_or_b32 exec_lo, exec_lo, s31
	s_and_saveexec_b32 s17, s13
	s_cbranch_execz .LBB6_11458
.LBB6_11457:                            ;   in Loop: Header=BB6_10858 Depth=3
	v_bfe_u32 v60, v25, 3, 4
	v_lshlrev_b32_e32 v61, 24, v25
	s_delay_alu instid0(VALU_DEP_2) | instskip(SKIP_1) | instid1(VALU_DEP_1)
	v_cmp_eq_u32_e32 vcc_lo, 0, v60
	v_and_b32_e32 v57, 7, v25
	v_clz_i32_u32_e32 v58, v57
	s_delay_alu instid0(VALU_DEP_1) | instskip(NEXT) | instid1(VALU_DEP_1)
	v_min_u32_e32 v58, 32, v58
	v_subrev_nc_u32_e32 v59, 28, v58
	v_sub_nc_u32_e32 v58, 29, v58
	s_delay_alu instid0(VALU_DEP_1) | instskip(NEXT) | instid1(VALU_DEP_1)
	v_dual_cndmask_b32 v58, v60, v58 :: v_dual_lshlrev_b32 v59, v59, v25
	v_and_b32_e32 v59, 7, v59
	s_delay_alu instid0(VALU_DEP_2) | instskip(NEXT) | instid1(VALU_DEP_2)
	v_lshl_add_u32 v58, v58, 23, 0x3b800000
	v_cndmask_b32_e32 v57, v57, v59, vcc_lo
	v_and_b32_e32 v59, 0x80000000, v61
	s_delay_alu instid0(VALU_DEP_2) | instskip(NEXT) | instid1(VALU_DEP_1)
	v_lshlrev_b32_e32 v57, 20, v57
	v_or3_b32 v57, v59, v58, v57
.LBB6_11458:                            ;   in Loop: Header=BB6_10858 Depth=3
	s_or_b32 exec_lo, exec_lo, s17
	s_delay_alu instid0(VALU_DEP_1) | instskip(NEXT) | instid1(VALU_DEP_1)
	v_dual_max_f32 v57, v57, v57 :: v_dual_max_f32 v32, v32, v32
	v_min_f32_e32 v57, v32, v57
.LBB6_11459:                            ;   in Loop: Header=BB6_10858 Depth=3
	s_delay_alu instid0(VALU_DEP_1) | instskip(NEXT) | instid1(VALU_DEP_1)
	v_and_b32_e32 v32, 0x7f800000, v57
	v_cmp_ne_u32_e32 vcc_lo, 0x7f800000, v32
	v_mov_b32_e32 v32, 0x80
	s_and_saveexec_b32 s17, vcc_lo
	s_cbranch_execz .LBB6_11467
; %bb.11460:                            ;   in Loop: Header=BB6_10858 Depth=3
	v_mov_b32_e32 v32, 0
	s_mov_b32 s31, exec_lo
	v_cmpx_ne_u32_e32 0, v57
	s_cbranch_execz .LBB6_11466
; %bb.11461:                            ;   in Loop: Header=BB6_10858 Depth=3
	v_bfe_u32 v32, v57, 23, 8
	s_delay_alu instid0(VALU_DEP_1) | instskip(SKIP_1) | instid1(VALU_DEP_2)
	v_sub_nc_u32_e32 v59, 0x78, v32
	v_cmp_gt_u32_e32 vcc_lo, 0x79, v32
	v_dual_cndmask_b32 v59, 0, v59 :: v_dual_and_b32 v58, 0x7fffff, v57
	s_delay_alu instid0(VALU_DEP_1) | instskip(SKIP_2) | instid1(VALU_DEP_4)
	v_or_b32_e32 v60, 0x800000, v58
	v_cmp_eq_u32_e32 vcc_lo, 0, v32
	v_add_nc_u32_e32 v32, 0xffffff89, v32
	v_cndmask_b32_e64 v59, v59, 0x77, vcc_lo
	s_delay_alu instid0(VALU_DEP_2) | instskip(SKIP_1) | instid1(VALU_DEP_3)
	v_cndmask_b32_e64 v32, v32, 0xffffff8a, vcc_lo
	v_cndmask_b32_e32 v58, v60, v58, vcc_lo
	v_lshl_add_u32 v60, 0x100000, v59, -1
	v_lshlrev_b32_e64 v63, v59, 0x80000
	s_delay_alu instid0(VALU_DEP_3) | instskip(SKIP_1) | instid1(VALU_DEP_4)
	v_lshrrev_b32_e32 v61, v59, v58
	v_add_nc_u32_e32 v59, v59, v32
	v_and_b32_e32 v58, v60, v58
	s_delay_alu instid0(VALU_DEP_3) | instskip(NEXT) | instid1(VALU_DEP_2)
	v_bfe_u32 v62, v61, 20, 1
	v_cmp_eq_u32_e64 s13, v58, v63
	s_delay_alu instid0(VALU_DEP_2) | instskip(NEXT) | instid1(VALU_DEP_1)
	v_add_nc_u32_e32 v60, -1, v62
	v_cndmask_b32_e64 v58, 0, v60, s13
	v_lshrrev_b32_e32 v60, 23, v61
	s_mov_b32 s13, exec_lo
	s_delay_alu instid0(VALU_DEP_2) | instskip(NEXT) | instid1(VALU_DEP_2)
	v_add_nc_u32_e32 v58, v58, v61
	v_xor_b32_e32 v60, 1, v60
	s_delay_alu instid0(VALU_DEP_2) | instskip(NEXT) | instid1(VALU_DEP_1)
	v_and_b32_e32 v32, 0xfffff, v58
	v_add_nc_u32_e32 v58, v32, v61
                                        ; implicit-def: $vgpr32
	s_delay_alu instid0(VALU_DEP_3)
	v_cmpx_ne_u32_e64 v59, v60
	s_xor_b32 s13, exec_lo, s13
; %bb.11462:                            ;   in Loop: Header=BB6_10858 Depth=3
	s_delay_alu instid0(VALU_DEP_2) | instskip(SKIP_2) | instid1(VALU_DEP_2)
	v_cmp_lt_u32_e32 vcc_lo, 0xffffff, v58
	v_sub_nc_u32_e32 v32, v59, v60
	v_cndmask_b32_e64 v59, 0, 1, vcc_lo
	v_add_co_ci_u32_e32 v32, vcc_lo, 0, v32, vcc_lo
	s_delay_alu instid0(VALU_DEP_2)
	v_lshrrev_b32_e32 v58, v59, v58
; %bb.11463:                            ;   in Loop: Header=BB6_10858 Depth=3
	s_and_not1_saveexec_b32 s13, s13
; %bb.11464:                            ;   in Loop: Header=BB6_10858 Depth=3
	s_delay_alu instid0(VALU_DEP_1)
	v_bfe_u32 v32, v58, 23, 1
; %bb.11465:                            ;   in Loop: Header=BB6_10858 Depth=3
	s_or_b32 exec_lo, exec_lo, s13
	v_lshrrev_b32_e32 v58, 20, v58
	s_delay_alu instid0(VALU_DEP_2) | instskip(SKIP_2) | instid1(VALU_DEP_2)
	v_cmp_gt_i32_e32 vcc_lo, 16, v32
	v_lshrrev_b32_e32 v57, 24, v57
	v_min_i32_e32 v59, 15, v32
	v_dual_cndmask_b32 v58, 7, v58 :: v_dual_and_b32 v57, 0x80, v57
	s_delay_alu instid0(VALU_DEP_1) | instskip(SKIP_1) | instid1(VALU_DEP_2)
	v_or_b32_e32 v32, v32, v58
	v_and_b32_e32 v60, 7, v58
	v_cmp_ne_u32_e32 vcc_lo, 0, v32
	v_lshlrev_b32_e32 v59, 3, v59
	s_delay_alu instid0(VALU_DEP_1) | instskip(NEXT) | instid1(VALU_DEP_1)
	v_or3_b32 v57, v59, v57, v60
	v_cndmask_b32_e32 v32, 0, v57, vcc_lo
.LBB6_11466:                            ;   in Loop: Header=BB6_10858 Depth=3
	s_or_b32 exec_lo, exec_lo, s31
.LBB6_11467:                            ;   in Loop: Header=BB6_10858 Depth=3
	s_delay_alu instid0(SALU_CYCLE_1)
	s_or_b32 exec_lo, exec_lo, s17
	v_lshrrev_b16 v58, 8, v33
	v_lshrrev_b16 v57, 8, v25
	s_and_not1_b32 vcc_lo, exec_lo, s16
	s_cbranch_vccnz .LBB6_11477
; %bb.11468:                            ;   in Loop: Header=BB6_10858 Depth=3
	s_mov_b32 s13, 0
	s_mov_b32 s31, exec_lo
                                        ; implicit-def: $sgpr17
	v_cmpx_lt_i16_e32 0x7f, v58
	s_xor_b32 s31, exec_lo, s31
	s_cbranch_execnz .LBB6_13048
; %bb.11469:                            ;   in Loop: Header=BB6_10858 Depth=3
	s_or_saveexec_b32 s31, s31
	v_mov_b32_e32 v59, s17
	s_xor_b32 exec_lo, exec_lo, s31
	s_cbranch_execnz .LBB6_13051
.LBB6_11470:                            ;   in Loop: Header=BB6_10858 Depth=3
	s_or_b32 exec_lo, exec_lo, s31
	s_and_saveexec_b32 s17, s13
	s_cbranch_execz .LBB6_11472
.LBB6_11471:                            ;   in Loop: Header=BB6_10858 Depth=3
	v_and_b32_e32 v59, 0xffff, v58
	s_delay_alu instid0(VALU_DEP_1) | instskip(NEXT) | instid1(VALU_DEP_1)
	v_and_b32_e32 v60, 7, v59
	v_clz_i32_u32_e32 v61, v60
	s_delay_alu instid0(VALU_DEP_1) | instskip(NEXT) | instid1(VALU_DEP_1)
	v_min_u32_e32 v61, 32, v61
	v_subrev_nc_u32_e32 v62, 28, v61
	v_sub_nc_u32_e32 v61, 29, v61
	s_delay_alu instid0(VALU_DEP_2) | instskip(SKIP_1) | instid1(VALU_DEP_2)
	v_lshlrev_b32_e32 v62, v62, v59
	v_bfe_u32 v59, v59, 3, 4
	v_and_b32_e32 v62, 7, v62
	s_delay_alu instid0(VALU_DEP_2) | instskip(SKIP_1) | instid1(VALU_DEP_3)
	v_cmp_eq_u32_e32 vcc_lo, 0, v59
	v_cndmask_b32_e32 v59, v59, v61, vcc_lo
	v_dual_cndmask_b32 v60, v60, v62 :: v_dual_lshlrev_b32 v63, 16, v33
	s_delay_alu instid0(VALU_DEP_2) | instskip(NEXT) | instid1(VALU_DEP_2)
	v_lshl_add_u32 v59, v59, 23, 0x3b800000
	v_and_b32_e32 v61, 0x80000000, v63
	s_delay_alu instid0(VALU_DEP_3) | instskip(NEXT) | instid1(VALU_DEP_1)
	v_lshlrev_b32_e32 v60, 20, v60
	v_or3_b32 v59, v61, v59, v60
.LBB6_11472:                            ;   in Loop: Header=BB6_10858 Depth=3
	s_or_b32 exec_lo, exec_lo, s17
	s_mov_b32 s13, 0
	s_mov_b32 s31, exec_lo
                                        ; implicit-def: $sgpr17
	v_cmpx_lt_i16_e32 0x7f, v57
	s_xor_b32 s31, exec_lo, s31
	s_cbranch_execnz .LBB6_13052
; %bb.11473:                            ;   in Loop: Header=BB6_10858 Depth=3
	s_or_saveexec_b32 s31, s31
	v_mov_b32_e32 v60, s17
	s_xor_b32 exec_lo, exec_lo, s31
	s_cbranch_execnz .LBB6_13055
.LBB6_11474:                            ;   in Loop: Header=BB6_10858 Depth=3
	s_or_b32 exec_lo, exec_lo, s31
	s_and_saveexec_b32 s17, s13
	s_cbranch_execz .LBB6_11476
.LBB6_11475:                            ;   in Loop: Header=BB6_10858 Depth=3
	v_and_b32_e32 v60, 0xffff, v57
	v_lshlrev_b32_e32 v72, 16, v25
	s_delay_alu instid0(VALU_DEP_2) | instskip(NEXT) | instid1(VALU_DEP_1)
	v_and_b32_e32 v61, 7, v60
	v_clz_i32_u32_e32 v62, v61
	s_delay_alu instid0(VALU_DEP_1) | instskip(NEXT) | instid1(VALU_DEP_1)
	v_min_u32_e32 v62, 32, v62
	v_subrev_nc_u32_e32 v63, 28, v62
	v_sub_nc_u32_e32 v62, 29, v62
	s_delay_alu instid0(VALU_DEP_2) | instskip(SKIP_1) | instid1(VALU_DEP_2)
	v_lshlrev_b32_e32 v63, v63, v60
	v_bfe_u32 v60, v60, 3, 4
	v_and_b32_e32 v63, 7, v63
	s_delay_alu instid0(VALU_DEP_2) | instskip(NEXT) | instid1(VALU_DEP_2)
	v_cmp_eq_u32_e32 vcc_lo, 0, v60
	v_dual_cndmask_b32 v60, v60, v62 :: v_dual_cndmask_b32 v61, v61, v63
	v_and_b32_e32 v62, 0x80000000, v72
	s_delay_alu instid0(VALU_DEP_2) | instskip(NEXT) | instid1(VALU_DEP_3)
	v_lshl_add_u32 v60, v60, 23, 0x3b800000
	v_lshlrev_b32_e32 v61, 20, v61
	s_delay_alu instid0(VALU_DEP_1)
	v_or3_b32 v60, v62, v60, v61
.LBB6_11476:                            ;   in Loop: Header=BB6_10858 Depth=3
	s_or_b32 exec_lo, exec_lo, s17
	s_delay_alu instid0(VALU_DEP_1) | instskip(SKIP_1) | instid1(VALU_DEP_1)
	v_dual_max_f32 v60, v60, v60 :: v_dual_max_f32 v59, v59, v59
	s_mov_b32 s13, 0
	v_max_f32_e32 v59, v59, v60
	s_branch .LBB6_11478
.LBB6_11477:                            ;   in Loop: Header=BB6_10858 Depth=3
	s_mov_b32 s13, -1
                                        ; implicit-def: $vgpr59
.LBB6_11478:                            ;   in Loop: Header=BB6_10858 Depth=3
	s_delay_alu instid0(SALU_CYCLE_1)
	s_and_b32 vcc_lo, exec_lo, s13
	s_cbranch_vccz .LBB6_11488
; %bb.11479:                            ;   in Loop: Header=BB6_10858 Depth=3
	s_mov_b32 s13, 0
	s_mov_b32 s31, exec_lo
                                        ; implicit-def: $sgpr17
	v_cmpx_lt_i16_e32 0x7f, v58
	s_xor_b32 s31, exec_lo, s31
	s_cbranch_execnz .LBB6_13056
; %bb.11480:                            ;   in Loop: Header=BB6_10858 Depth=3
	s_or_saveexec_b32 s31, s31
	v_mov_b32_e32 v59, s17
	s_xor_b32 exec_lo, exec_lo, s31
	s_cbranch_execnz .LBB6_13059
.LBB6_11481:                            ;   in Loop: Header=BB6_10858 Depth=3
	s_or_b32 exec_lo, exec_lo, s31
	s_and_saveexec_b32 s17, s13
	s_cbranch_execz .LBB6_11483
.LBB6_11482:                            ;   in Loop: Header=BB6_10858 Depth=3
	v_and_b32_e32 v58, 0xffff, v58
	v_lshlrev_b32_e32 v62, 16, v33
	s_delay_alu instid0(VALU_DEP_2) | instskip(NEXT) | instid1(VALU_DEP_1)
	v_and_b32_e32 v59, 7, v58
	v_clz_i32_u32_e32 v60, v59
	s_delay_alu instid0(VALU_DEP_1) | instskip(NEXT) | instid1(VALU_DEP_1)
	v_min_u32_e32 v60, 32, v60
	v_subrev_nc_u32_e32 v61, 28, v60
	v_sub_nc_u32_e32 v60, 29, v60
	s_delay_alu instid0(VALU_DEP_2) | instskip(SKIP_1) | instid1(VALU_DEP_2)
	v_lshlrev_b32_e32 v61, v61, v58
	v_bfe_u32 v58, v58, 3, 4
	v_and_b32_e32 v61, 7, v61
	s_delay_alu instid0(VALU_DEP_2) | instskip(NEXT) | instid1(VALU_DEP_2)
	v_cmp_eq_u32_e32 vcc_lo, 0, v58
	v_dual_cndmask_b32 v58, v58, v60 :: v_dual_cndmask_b32 v59, v59, v61
	v_and_b32_e32 v60, 0x80000000, v62
	s_delay_alu instid0(VALU_DEP_2) | instskip(NEXT) | instid1(VALU_DEP_3)
	v_lshl_add_u32 v58, v58, 23, 0x3b800000
	v_lshlrev_b32_e32 v59, 20, v59
	s_delay_alu instid0(VALU_DEP_1)
	v_or3_b32 v59, v60, v58, v59
.LBB6_11483:                            ;   in Loop: Header=BB6_10858 Depth=3
	s_or_b32 exec_lo, exec_lo, s17
	s_mov_b32 s13, 0
	s_mov_b32 s31, exec_lo
                                        ; implicit-def: $sgpr17
	v_cmpx_lt_i16_e32 0x7f, v57
	s_xor_b32 s31, exec_lo, s31
	s_cbranch_execnz .LBB6_13060
; %bb.11484:                            ;   in Loop: Header=BB6_10858 Depth=3
	s_or_saveexec_b32 s31, s31
	v_mov_b32_e32 v58, s17
	s_xor_b32 exec_lo, exec_lo, s31
	s_cbranch_execnz .LBB6_13063
.LBB6_11485:                            ;   in Loop: Header=BB6_10858 Depth=3
	s_or_b32 exec_lo, exec_lo, s31
	s_and_saveexec_b32 s17, s13
	s_cbranch_execz .LBB6_11487
.LBB6_11486:                            ;   in Loop: Header=BB6_10858 Depth=3
	v_and_b32_e32 v57, 0xffff, v57
	v_lshlrev_b32_e32 v62, 16, v25
	s_delay_alu instid0(VALU_DEP_2) | instskip(NEXT) | instid1(VALU_DEP_1)
	v_and_b32_e32 v58, 7, v57
	v_clz_i32_u32_e32 v60, v58
	s_delay_alu instid0(VALU_DEP_1) | instskip(NEXT) | instid1(VALU_DEP_1)
	v_min_u32_e32 v60, 32, v60
	v_subrev_nc_u32_e32 v61, 28, v60
	v_sub_nc_u32_e32 v60, 29, v60
	s_delay_alu instid0(VALU_DEP_2) | instskip(SKIP_1) | instid1(VALU_DEP_2)
	v_lshlrev_b32_e32 v61, v61, v57
	v_bfe_u32 v57, v57, 3, 4
	v_and_b32_e32 v61, 7, v61
	s_delay_alu instid0(VALU_DEP_2) | instskip(NEXT) | instid1(VALU_DEP_2)
	v_cmp_eq_u32_e32 vcc_lo, 0, v57
	v_dual_cndmask_b32 v57, v57, v60 :: v_dual_cndmask_b32 v58, v58, v61
	v_and_b32_e32 v60, 0x80000000, v62
	s_delay_alu instid0(VALU_DEP_2) | instskip(NEXT) | instid1(VALU_DEP_3)
	v_lshl_add_u32 v57, v57, 23, 0x3b800000
	v_lshlrev_b32_e32 v58, 20, v58
	s_delay_alu instid0(VALU_DEP_1)
	v_or3_b32 v58, v60, v57, v58
.LBB6_11487:                            ;   in Loop: Header=BB6_10858 Depth=3
	s_or_b32 exec_lo, exec_lo, s17
	s_delay_alu instid0(VALU_DEP_1) | instskip(NEXT) | instid1(VALU_DEP_1)
	v_dual_max_f32 v57, v58, v58 :: v_dual_max_f32 v58, v59, v59
	v_min_f32_e32 v59, v58, v57
.LBB6_11488:                            ;   in Loop: Header=BB6_10858 Depth=3
	s_delay_alu instid0(VALU_DEP_1) | instskip(NEXT) | instid1(VALU_DEP_1)
	v_and_b32_e32 v57, 0x7f800000, v59
	v_cmp_ne_u32_e32 vcc_lo, 0x7f800000, v57
	v_mov_b32_e32 v57, 0x80
	s_and_saveexec_b32 s17, vcc_lo
	s_cbranch_execz .LBB6_11496
; %bb.11489:                            ;   in Loop: Header=BB6_10858 Depth=3
	v_mov_b32_e32 v57, 0
	s_mov_b32 s31, exec_lo
	v_cmpx_ne_u32_e32 0, v59
	s_cbranch_execz .LBB6_11495
; %bb.11490:                            ;   in Loop: Header=BB6_10858 Depth=3
	v_bfe_u32 v57, v59, 23, 8
	v_and_b32_e32 v58, 0x7fffff, v59
	s_delay_alu instid0(VALU_DEP_2) | instskip(SKIP_1) | instid1(VALU_DEP_3)
	v_sub_nc_u32_e32 v60, 0x78, v57
	v_cmp_gt_u32_e32 vcc_lo, 0x79, v57
	v_or_b32_e32 v61, 0x800000, v58
	s_delay_alu instid0(VALU_DEP_3) | instskip(SKIP_2) | instid1(VALU_DEP_3)
	v_cndmask_b32_e32 v60, 0, v60, vcc_lo
	v_cmp_eq_u32_e32 vcc_lo, 0, v57
	v_add_nc_u32_e32 v57, 0xffffff89, v57
	v_cndmask_b32_e64 v60, v60, 0x77, vcc_lo
	v_cndmask_b32_e32 v58, v61, v58, vcc_lo
	s_delay_alu instid0(VALU_DEP_3) | instskip(NEXT) | instid1(VALU_DEP_3)
	v_cndmask_b32_e64 v57, v57, 0xffffff8a, vcc_lo
	v_lshl_add_u32 v61, 0x100000, v60, -1
	s_delay_alu instid0(VALU_DEP_3) | instskip(SKIP_1) | instid1(VALU_DEP_4)
	v_lshrrev_b32_e32 v62, v60, v58
	v_lshlrev_b32_e64 v72, v60, 0x80000
	v_add_nc_u32_e32 v60, v60, v57
	s_delay_alu instid0(VALU_DEP_4) | instskip(NEXT) | instid1(VALU_DEP_4)
	v_and_b32_e32 v58, v61, v58
	v_bfe_u32 v63, v62, 20, 1
	s_delay_alu instid0(VALU_DEP_2) | instskip(NEXT) | instid1(VALU_DEP_2)
	v_cmp_eq_u32_e64 s13, v58, v72
	v_add_nc_u32_e32 v61, -1, v63
	s_delay_alu instid0(VALU_DEP_1) | instskip(SKIP_2) | instid1(VALU_DEP_2)
	v_cndmask_b32_e64 v58, 0, v61, s13
	v_lshrrev_b32_e32 v61, 23, v62
	s_mov_b32 s13, exec_lo
	v_add_nc_u32_e32 v58, v58, v62
	s_delay_alu instid0(VALU_DEP_2) | instskip(NEXT) | instid1(VALU_DEP_2)
	v_xor_b32_e32 v61, 1, v61
	v_and_b32_e32 v57, 0xfffff, v58
	s_delay_alu instid0(VALU_DEP_1) | instskip(NEXT) | instid1(VALU_DEP_3)
	v_add_nc_u32_e32 v58, v57, v62
                                        ; implicit-def: $vgpr57
	v_cmpx_ne_u32_e64 v60, v61
	s_xor_b32 s13, exec_lo, s13
; %bb.11491:                            ;   in Loop: Header=BB6_10858 Depth=3
	s_delay_alu instid0(VALU_DEP_2) | instskip(SKIP_2) | instid1(VALU_DEP_2)
	v_cmp_lt_u32_e32 vcc_lo, 0xffffff, v58
	v_sub_nc_u32_e32 v57, v60, v61
	v_cndmask_b32_e64 v60, 0, 1, vcc_lo
	v_add_co_ci_u32_e32 v57, vcc_lo, 0, v57, vcc_lo
	s_delay_alu instid0(VALU_DEP_2)
	v_lshrrev_b32_e32 v58, v60, v58
; %bb.11492:                            ;   in Loop: Header=BB6_10858 Depth=3
	s_and_not1_saveexec_b32 s13, s13
; %bb.11493:                            ;   in Loop: Header=BB6_10858 Depth=3
	s_delay_alu instid0(VALU_DEP_1)
	v_bfe_u32 v57, v58, 23, 1
; %bb.11494:                            ;   in Loop: Header=BB6_10858 Depth=3
	s_or_b32 exec_lo, exec_lo, s13
	v_lshrrev_b32_e32 v58, 20, v58
	s_delay_alu instid0(VALU_DEP_2) | instskip(SKIP_2) | instid1(VALU_DEP_2)
	v_cmp_gt_i32_e32 vcc_lo, 16, v57
	v_lshrrev_b32_e32 v59, 24, v59
	v_min_i32_e32 v60, 15, v57
	v_dual_cndmask_b32 v58, 7, v58 :: v_dual_and_b32 v59, 0x80, v59
	s_delay_alu instid0(VALU_DEP_1) | instskip(SKIP_1) | instid1(VALU_DEP_2)
	v_or_b32_e32 v57, v57, v58
	v_and_b32_e32 v61, 7, v58
	v_cmp_ne_u32_e32 vcc_lo, 0, v57
	v_lshlrev_b32_e32 v60, 3, v60
	s_delay_alu instid0(VALU_DEP_1) | instskip(NEXT) | instid1(VALU_DEP_1)
	v_or3_b32 v58, v60, v59, v61
	v_cndmask_b32_e32 v57, 0, v58, vcc_lo
.LBB6_11495:                            ;   in Loop: Header=BB6_10858 Depth=3
	s_or_b32 exec_lo, exec_lo, s31
.LBB6_11496:                            ;   in Loop: Header=BB6_10858 Depth=3
	s_delay_alu instid0(SALU_CYCLE_1)
	s_or_b32 exec_lo, exec_lo, s17
	v_lshrrev_b32_e32 v59, 16, v33
	v_lshrrev_b32_e32 v58, 16, v25
	s_and_not1_b32 vcc_lo, exec_lo, s16
	s_cbranch_vccnz .LBB6_11506
; %bb.11497:                            ;   in Loop: Header=BB6_10858 Depth=3
	s_delay_alu instid0(VALU_DEP_2) | instskip(SKIP_2) | instid1(VALU_DEP_1)
	v_and_b32_e32 v61, 0xff, v59
	s_mov_b32 s13, 0
	s_mov_b32 s31, exec_lo
                                        ; implicit-def: $sgpr17
	v_cmpx_lt_i16_e32 0x7f, v61
	s_xor_b32 s31, exec_lo, s31
	s_cbranch_execnz .LBB6_13064
; %bb.11498:                            ;   in Loop: Header=BB6_10858 Depth=3
	s_or_saveexec_b32 s31, s31
	v_mov_b32_e32 v60, s17
	s_xor_b32 exec_lo, exec_lo, s31
	s_cbranch_execnz .LBB6_13067
.LBB6_11499:                            ;   in Loop: Header=BB6_10858 Depth=3
	s_or_b32 exec_lo, exec_lo, s31
	s_and_saveexec_b32 s17, s13
	s_cbranch_execz .LBB6_11501
.LBB6_11500:                            ;   in Loop: Header=BB6_10858 Depth=3
	v_bfe_u32 v60, v33, 16, 3
	v_bfe_u32 v63, v33, 19, 4
	v_lshlrev_b32_e32 v72, 24, v59
	s_delay_alu instid0(VALU_DEP_3) | instskip(NEXT) | instid1(VALU_DEP_3)
	v_clz_i32_u32_e32 v61, v60
	v_cmp_eq_u32_e32 vcc_lo, 0, v63
	s_delay_alu instid0(VALU_DEP_2) | instskip(NEXT) | instid1(VALU_DEP_1)
	v_min_u32_e32 v61, 32, v61
	v_subrev_nc_u32_e32 v62, 28, v61
	v_sub_nc_u32_e32 v61, 29, v61
	s_delay_alu instid0(VALU_DEP_1) | instskip(NEXT) | instid1(VALU_DEP_1)
	v_dual_cndmask_b32 v61, v63, v61 :: v_dual_lshlrev_b32 v62, v62, v59
	v_and_b32_e32 v62, 7, v62
	s_delay_alu instid0(VALU_DEP_2) | instskip(NEXT) | instid1(VALU_DEP_2)
	v_lshl_add_u32 v61, v61, 23, 0x3b800000
	v_cndmask_b32_e32 v60, v60, v62, vcc_lo
	v_and_b32_e32 v62, 0x80000000, v72
	s_delay_alu instid0(VALU_DEP_2) | instskip(NEXT) | instid1(VALU_DEP_1)
	v_lshlrev_b32_e32 v60, 20, v60
	v_or3_b32 v60, v62, v61, v60
.LBB6_11501:                            ;   in Loop: Header=BB6_10858 Depth=3
	s_or_b32 exec_lo, exec_lo, s17
	v_and_b32_e32 v62, 0xff, v58
	s_mov_b32 s13, 0
	s_mov_b32 s31, exec_lo
                                        ; implicit-def: $sgpr17
	s_delay_alu instid0(VALU_DEP_1)
	v_cmpx_lt_i16_e32 0x7f, v62
	s_xor_b32 s31, exec_lo, s31
	s_cbranch_execnz .LBB6_13068
; %bb.11502:                            ;   in Loop: Header=BB6_10858 Depth=3
	s_or_saveexec_b32 s31, s31
	v_mov_b32_e32 v61, s17
	s_xor_b32 exec_lo, exec_lo, s31
	s_cbranch_execnz .LBB6_13071
.LBB6_11503:                            ;   in Loop: Header=BB6_10858 Depth=3
	s_or_b32 exec_lo, exec_lo, s31
	s_and_saveexec_b32 s17, s13
	s_cbranch_execz .LBB6_11505
.LBB6_11504:                            ;   in Loop: Header=BB6_10858 Depth=3
	v_bfe_u32 v61, v25, 16, 3
	v_bfe_u32 v72, v25, 19, 4
	v_lshlrev_b32_e32 v73, 24, v58
	s_delay_alu instid0(VALU_DEP_3) | instskip(NEXT) | instid1(VALU_DEP_3)
	v_clz_i32_u32_e32 v62, v61
	v_cmp_eq_u32_e32 vcc_lo, 0, v72
	s_delay_alu instid0(VALU_DEP_2) | instskip(NEXT) | instid1(VALU_DEP_1)
	v_min_u32_e32 v62, 32, v62
	v_subrev_nc_u32_e32 v63, 28, v62
	v_sub_nc_u32_e32 v62, 29, v62
	s_delay_alu instid0(VALU_DEP_2) | instskip(NEXT) | instid1(VALU_DEP_1)
	v_lshlrev_b32_e32 v63, v63, v58
	v_dual_cndmask_b32 v62, v72, v62 :: v_dual_and_b32 v63, 7, v63
	s_delay_alu instid0(VALU_DEP_1) | instskip(NEXT) | instid1(VALU_DEP_2)
	v_lshl_add_u32 v62, v62, 23, 0x3b800000
	v_cndmask_b32_e32 v61, v61, v63, vcc_lo
	v_and_b32_e32 v63, 0x80000000, v73
	s_delay_alu instid0(VALU_DEP_2) | instskip(NEXT) | instid1(VALU_DEP_1)
	v_lshlrev_b32_e32 v61, 20, v61
	v_or3_b32 v61, v63, v62, v61
.LBB6_11505:                            ;   in Loop: Header=BB6_10858 Depth=3
	s_or_b32 exec_lo, exec_lo, s17
	s_delay_alu instid0(VALU_DEP_1) | instskip(SKIP_1) | instid1(VALU_DEP_1)
	v_dual_max_f32 v61, v61, v61 :: v_dual_max_f32 v60, v60, v60
	s_mov_b32 s13, 0
	v_max_f32_e32 v60, v60, v61
	s_branch .LBB6_11507
.LBB6_11506:                            ;   in Loop: Header=BB6_10858 Depth=3
	s_mov_b32 s13, -1
                                        ; implicit-def: $vgpr60
.LBB6_11507:                            ;   in Loop: Header=BB6_10858 Depth=3
	s_delay_alu instid0(SALU_CYCLE_1)
	s_and_b32 vcc_lo, exec_lo, s13
	s_cbranch_vccz .LBB6_11517
; %bb.11508:                            ;   in Loop: Header=BB6_10858 Depth=3
	v_and_b32_e32 v61, 0xff, v59
	s_mov_b32 s13, 0
	s_mov_b32 s31, exec_lo
                                        ; implicit-def: $sgpr17
	s_delay_alu instid0(VALU_DEP_1)
	v_cmpx_lt_i16_e32 0x7f, v61
	s_xor_b32 s31, exec_lo, s31
	s_cbranch_execnz .LBB6_13072
; %bb.11509:                            ;   in Loop: Header=BB6_10858 Depth=3
	s_or_saveexec_b32 s31, s31
	v_mov_b32_e32 v60, s17
	s_xor_b32 exec_lo, exec_lo, s31
	s_cbranch_execnz .LBB6_13075
.LBB6_11510:                            ;   in Loop: Header=BB6_10858 Depth=3
	s_or_b32 exec_lo, exec_lo, s31
	s_and_saveexec_b32 s17, s13
	s_cbranch_execz .LBB6_11512
.LBB6_11511:                            ;   in Loop: Header=BB6_10858 Depth=3
	v_bfe_u32 v60, v33, 16, 3
	v_bfe_u32 v63, v33, 19, 4
	s_delay_alu instid0(VALU_DEP_2) | instskip(NEXT) | instid1(VALU_DEP_2)
	v_clz_i32_u32_e32 v61, v60
	v_cmp_eq_u32_e32 vcc_lo, 0, v63
	s_delay_alu instid0(VALU_DEP_2) | instskip(NEXT) | instid1(VALU_DEP_1)
	v_min_u32_e32 v61, 32, v61
	v_subrev_nc_u32_e32 v62, 28, v61
	v_sub_nc_u32_e32 v61, 29, v61
	s_delay_alu instid0(VALU_DEP_1) | instskip(NEXT) | instid1(VALU_DEP_1)
	v_dual_cndmask_b32 v61, v63, v61 :: v_dual_lshlrev_b32 v62, v62, v59
	v_and_b32_e32 v62, 7, v62
	v_lshlrev_b32_e32 v59, 24, v59
	s_delay_alu instid0(VALU_DEP_3) | instskip(NEXT) | instid1(VALU_DEP_2)
	v_lshl_add_u32 v61, v61, 23, 0x3b800000
	v_dual_cndmask_b32 v60, v60, v62 :: v_dual_and_b32 v59, 0x80000000, v59
	s_delay_alu instid0(VALU_DEP_1) | instskip(NEXT) | instid1(VALU_DEP_1)
	v_lshlrev_b32_e32 v60, 20, v60
	v_or3_b32 v60, v59, v61, v60
.LBB6_11512:                            ;   in Loop: Header=BB6_10858 Depth=3
	s_or_b32 exec_lo, exec_lo, s17
	v_and_b32_e32 v61, 0xff, v58
	s_mov_b32 s13, 0
	s_mov_b32 s31, exec_lo
                                        ; implicit-def: $sgpr17
	s_delay_alu instid0(VALU_DEP_1)
	v_cmpx_lt_i16_e32 0x7f, v61
	s_xor_b32 s31, exec_lo, s31
	s_cbranch_execnz .LBB6_13076
; %bb.11513:                            ;   in Loop: Header=BB6_10858 Depth=3
	s_or_saveexec_b32 s31, s31
	v_mov_b32_e32 v59, s17
	s_xor_b32 exec_lo, exec_lo, s31
	s_cbranch_execnz .LBB6_13079
.LBB6_11514:                            ;   in Loop: Header=BB6_10858 Depth=3
	s_or_b32 exec_lo, exec_lo, s31
	s_and_saveexec_b32 s17, s13
	s_cbranch_execz .LBB6_11516
.LBB6_11515:                            ;   in Loop: Header=BB6_10858 Depth=3
	v_bfe_u32 v59, v25, 16, 3
	v_bfe_u32 v63, v25, 19, 4
	s_delay_alu instid0(VALU_DEP_2) | instskip(NEXT) | instid1(VALU_DEP_2)
	v_clz_i32_u32_e32 v61, v59
	v_cmp_eq_u32_e32 vcc_lo, 0, v63
	s_delay_alu instid0(VALU_DEP_2) | instskip(NEXT) | instid1(VALU_DEP_1)
	v_min_u32_e32 v61, 32, v61
	v_subrev_nc_u32_e32 v62, 28, v61
	v_sub_nc_u32_e32 v61, 29, v61
	s_delay_alu instid0(VALU_DEP_1) | instskip(SKIP_1) | instid1(VALU_DEP_2)
	v_dual_cndmask_b32 v61, v63, v61 :: v_dual_lshlrev_b32 v62, v62, v58
	v_lshlrev_b32_e32 v58, 24, v58
	v_and_b32_e32 v62, 7, v62
	s_delay_alu instid0(VALU_DEP_3) | instskip(NEXT) | instid1(VALU_DEP_3)
	v_lshl_add_u32 v61, v61, 23, 0x3b800000
	v_and_b32_e32 v58, 0x80000000, v58
	s_delay_alu instid0(VALU_DEP_3) | instskip(NEXT) | instid1(VALU_DEP_1)
	v_cndmask_b32_e32 v59, v59, v62, vcc_lo
	v_lshlrev_b32_e32 v59, 20, v59
	s_delay_alu instid0(VALU_DEP_1)
	v_or3_b32 v59, v58, v61, v59
.LBB6_11516:                            ;   in Loop: Header=BB6_10858 Depth=3
	s_or_b32 exec_lo, exec_lo, s17
	s_delay_alu instid0(VALU_DEP_1) | instskip(NEXT) | instid1(VALU_DEP_1)
	v_dual_max_f32 v58, v59, v59 :: v_dual_max_f32 v59, v60, v60
	v_min_f32_e32 v60, v59, v58
.LBB6_11517:                            ;   in Loop: Header=BB6_10858 Depth=3
	s_delay_alu instid0(VALU_DEP_1) | instskip(NEXT) | instid1(VALU_DEP_1)
	v_and_b32_e32 v58, 0x7f800000, v60
	v_cmp_ne_u32_e32 vcc_lo, 0x7f800000, v58
	v_mov_b32_e32 v58, 0x80
	s_and_saveexec_b32 s17, vcc_lo
	s_cbranch_execz .LBB6_11525
; %bb.11518:                            ;   in Loop: Header=BB6_10858 Depth=3
	v_mov_b32_e32 v58, 0
	s_mov_b32 s31, exec_lo
	v_cmpx_ne_u32_e32 0, v60
	s_cbranch_execz .LBB6_11524
; %bb.11519:                            ;   in Loop: Header=BB6_10858 Depth=3
	v_bfe_u32 v58, v60, 23, 8
	v_and_b32_e32 v59, 0x7fffff, v60
	s_delay_alu instid0(VALU_DEP_2) | instskip(SKIP_1) | instid1(VALU_DEP_3)
	v_sub_nc_u32_e32 v61, 0x78, v58
	v_cmp_gt_u32_e32 vcc_lo, 0x79, v58
	v_or_b32_e32 v62, 0x800000, v59
	s_delay_alu instid0(VALU_DEP_3) | instskip(SKIP_2) | instid1(VALU_DEP_3)
	v_cndmask_b32_e32 v61, 0, v61, vcc_lo
	v_cmp_eq_u32_e32 vcc_lo, 0, v58
	v_add_nc_u32_e32 v58, 0xffffff89, v58
	v_cndmask_b32_e64 v61, v61, 0x77, vcc_lo
	v_cndmask_b32_e32 v59, v62, v59, vcc_lo
	s_delay_alu instid0(VALU_DEP_3) | instskip(NEXT) | instid1(VALU_DEP_3)
	v_cndmask_b32_e64 v58, v58, 0xffffff8a, vcc_lo
	v_lshl_add_u32 v62, 0x100000, v61, -1
	s_delay_alu instid0(VALU_DEP_3) | instskip(SKIP_1) | instid1(VALU_DEP_4)
	v_lshrrev_b32_e32 v63, v61, v59
	v_lshlrev_b32_e64 v73, v61, 0x80000
	v_add_nc_u32_e32 v61, v61, v58
	s_delay_alu instid0(VALU_DEP_4) | instskip(NEXT) | instid1(VALU_DEP_4)
	v_and_b32_e32 v59, v62, v59
	v_bfe_u32 v72, v63, 20, 1
	s_delay_alu instid0(VALU_DEP_2) | instskip(NEXT) | instid1(VALU_DEP_2)
	v_cmp_eq_u32_e64 s13, v59, v73
	v_add_nc_u32_e32 v62, -1, v72
	s_delay_alu instid0(VALU_DEP_1) | instskip(SKIP_2) | instid1(VALU_DEP_2)
	v_cndmask_b32_e64 v59, 0, v62, s13
	v_lshrrev_b32_e32 v62, 23, v63
	s_mov_b32 s13, exec_lo
	v_add_nc_u32_e32 v59, v59, v63
	s_delay_alu instid0(VALU_DEP_2) | instskip(NEXT) | instid1(VALU_DEP_2)
	v_xor_b32_e32 v62, 1, v62
	v_and_b32_e32 v58, 0xfffff, v59
	s_delay_alu instid0(VALU_DEP_1) | instskip(NEXT) | instid1(VALU_DEP_3)
	v_add_nc_u32_e32 v59, v58, v63
                                        ; implicit-def: $vgpr58
	v_cmpx_ne_u32_e64 v61, v62
	s_xor_b32 s13, exec_lo, s13
; %bb.11520:                            ;   in Loop: Header=BB6_10858 Depth=3
	s_delay_alu instid0(VALU_DEP_2) | instskip(SKIP_2) | instid1(VALU_DEP_2)
	v_cmp_lt_u32_e32 vcc_lo, 0xffffff, v59
	v_sub_nc_u32_e32 v58, v61, v62
	v_cndmask_b32_e64 v61, 0, 1, vcc_lo
	v_add_co_ci_u32_e32 v58, vcc_lo, 0, v58, vcc_lo
	s_delay_alu instid0(VALU_DEP_2)
	v_lshrrev_b32_e32 v59, v61, v59
; %bb.11521:                            ;   in Loop: Header=BB6_10858 Depth=3
	s_and_not1_saveexec_b32 s13, s13
; %bb.11522:                            ;   in Loop: Header=BB6_10858 Depth=3
	s_delay_alu instid0(VALU_DEP_1)
	v_bfe_u32 v58, v59, 23, 1
; %bb.11523:                            ;   in Loop: Header=BB6_10858 Depth=3
	s_or_b32 exec_lo, exec_lo, s13
	v_lshrrev_b32_e32 v59, 20, v59
	s_delay_alu instid0(VALU_DEP_2) | instskip(SKIP_2) | instid1(VALU_DEP_2)
	v_cmp_gt_i32_e32 vcc_lo, 16, v58
	v_lshrrev_b32_e32 v60, 24, v60
	v_min_i32_e32 v61, 15, v58
	v_dual_cndmask_b32 v59, 7, v59 :: v_dual_and_b32 v60, 0x80, v60
	s_delay_alu instid0(VALU_DEP_1) | instskip(SKIP_1) | instid1(VALU_DEP_2)
	v_or_b32_e32 v58, v58, v59
	v_and_b32_e32 v62, 7, v59
	v_cmp_ne_u32_e32 vcc_lo, 0, v58
	v_lshlrev_b32_e32 v61, 3, v61
	s_delay_alu instid0(VALU_DEP_1) | instskip(NEXT) | instid1(VALU_DEP_1)
	v_and_b32_e32 v61, 0xf8, v61
	v_or3_b32 v59, v61, v60, v62
	s_delay_alu instid0(VALU_DEP_1)
	v_cndmask_b32_e32 v58, 0, v59, vcc_lo
.LBB6_11524:                            ;   in Loop: Header=BB6_10858 Depth=3
	s_or_b32 exec_lo, exec_lo, s31
.LBB6_11525:                            ;   in Loop: Header=BB6_10858 Depth=3
	s_delay_alu instid0(SALU_CYCLE_1)
	s_or_b32 exec_lo, exec_lo, s17
	v_lshrrev_b32_e32 v60, 24, v33
	v_lshrrev_b32_e32 v59, 24, v25
	s_and_not1_b32 vcc_lo, exec_lo, s16
	s_cbranch_vccnz .LBB6_11535
; %bb.11526:                            ;   in Loop: Header=BB6_10858 Depth=3
	s_mov_b32 s13, 0
	s_mov_b32 s31, exec_lo
                                        ; implicit-def: $sgpr17
	v_cmpx_lt_i16_e32 0x7f, v60
	s_xor_b32 s31, exec_lo, s31
	s_cbranch_execnz .LBB6_13080
; %bb.11527:                            ;   in Loop: Header=BB6_10858 Depth=3
	s_or_saveexec_b32 s31, s31
	v_mov_b32_e32 v61, s17
	s_xor_b32 exec_lo, exec_lo, s31
	s_cbranch_execnz .LBB6_13083
.LBB6_11528:                            ;   in Loop: Header=BB6_10858 Depth=3
	s_or_b32 exec_lo, exec_lo, s31
	s_and_saveexec_b32 s17, s13
	s_cbranch_execz .LBB6_11530
.LBB6_11529:                            ;   in Loop: Header=BB6_10858 Depth=3
	v_bfe_u32 v61, v33, 24, 3
	v_bfe_u32 v72, v33, 27, 4
	s_delay_alu instid0(VALU_DEP_2) | instskip(NEXT) | instid1(VALU_DEP_2)
	v_clz_i32_u32_e32 v62, v61
	v_cmp_eq_u32_e32 vcc_lo, 0, v72
	s_delay_alu instid0(VALU_DEP_2) | instskip(NEXT) | instid1(VALU_DEP_1)
	v_min_u32_e32 v62, 32, v62
	v_subrev_nc_u32_e32 v63, 28, v62
	v_sub_nc_u32_e32 v62, 29, v62
	s_delay_alu instid0(VALU_DEP_1) | instskip(NEXT) | instid1(VALU_DEP_1)
	v_dual_cndmask_b32 v62, v72, v62 :: v_dual_lshlrev_b32 v63, v63, v60
	v_and_b32_e32 v63, 7, v63
	s_delay_alu instid0(VALU_DEP_2) | instskip(NEXT) | instid1(VALU_DEP_2)
	v_lshl_add_u32 v62, v62, 23, 0x3b800000
	v_cndmask_b32_e32 v61, v61, v63, vcc_lo
	v_and_b32_e32 v63, 0x80000000, v33
	s_delay_alu instid0(VALU_DEP_2) | instskip(NEXT) | instid1(VALU_DEP_1)
	v_lshlrev_b32_e32 v61, 20, v61
	v_or3_b32 v61, v63, v62, v61
.LBB6_11530:                            ;   in Loop: Header=BB6_10858 Depth=3
	s_or_b32 exec_lo, exec_lo, s17
	s_mov_b32 s13, 0
	s_mov_b32 s31, exec_lo
                                        ; implicit-def: $sgpr17
	v_cmpx_lt_i16_e32 0x7f, v59
	s_xor_b32 s31, exec_lo, s31
	s_cbranch_execnz .LBB6_13084
; %bb.11531:                            ;   in Loop: Header=BB6_10858 Depth=3
	s_or_saveexec_b32 s31, s31
	v_mov_b32_e32 v62, s17
	s_xor_b32 exec_lo, exec_lo, s31
	s_cbranch_execnz .LBB6_13087
.LBB6_11532:                            ;   in Loop: Header=BB6_10858 Depth=3
	s_or_b32 exec_lo, exec_lo, s31
	s_and_saveexec_b32 s17, s13
	s_cbranch_execz .LBB6_11534
.LBB6_11533:                            ;   in Loop: Header=BB6_10858 Depth=3
	v_bfe_u32 v62, v25, 24, 3
	v_bfe_u32 v73, v25, 27, 4
	s_delay_alu instid0(VALU_DEP_2) | instskip(NEXT) | instid1(VALU_DEP_2)
	v_clz_i32_u32_e32 v63, v62
	v_cmp_eq_u32_e32 vcc_lo, 0, v73
	s_delay_alu instid0(VALU_DEP_2) | instskip(NEXT) | instid1(VALU_DEP_1)
	v_min_u32_e32 v63, 32, v63
	v_subrev_nc_u32_e32 v72, 28, v63
	v_sub_nc_u32_e32 v63, 29, v63
	s_delay_alu instid0(VALU_DEP_2) | instskip(NEXT) | instid1(VALU_DEP_1)
	v_lshlrev_b32_e32 v72, v72, v59
	v_dual_cndmask_b32 v63, v73, v63 :: v_dual_and_b32 v72, 7, v72
	s_delay_alu instid0(VALU_DEP_1) | instskip(NEXT) | instid1(VALU_DEP_2)
	v_lshl_add_u32 v63, v63, 23, 0x3b800000
	v_cndmask_b32_e32 v62, v62, v72, vcc_lo
	v_and_b32_e32 v72, 0x80000000, v25
	s_delay_alu instid0(VALU_DEP_2) | instskip(NEXT) | instid1(VALU_DEP_1)
	v_lshlrev_b32_e32 v62, 20, v62
	v_or3_b32 v62, v72, v63, v62
.LBB6_11534:                            ;   in Loop: Header=BB6_10858 Depth=3
	s_or_b32 exec_lo, exec_lo, s17
	s_delay_alu instid0(VALU_DEP_1) | instskip(SKIP_1) | instid1(VALU_DEP_1)
	v_dual_max_f32 v62, v62, v62 :: v_dual_max_f32 v61, v61, v61
	s_mov_b32 s13, 0
	v_max_f32_e32 v61, v61, v62
	s_branch .LBB6_11536
.LBB6_11535:                            ;   in Loop: Header=BB6_10858 Depth=3
	s_mov_b32 s13, -1
                                        ; implicit-def: $vgpr61
.LBB6_11536:                            ;   in Loop: Header=BB6_10858 Depth=3
	s_delay_alu instid0(SALU_CYCLE_1)
	s_and_b32 vcc_lo, exec_lo, s13
	s_cbranch_vccz .LBB6_11546
; %bb.11537:                            ;   in Loop: Header=BB6_10858 Depth=3
	s_mov_b32 s13, 0
	s_mov_b32 s31, exec_lo
                                        ; implicit-def: $sgpr17
	v_cmpx_lt_i16_e32 0x7f, v60
	s_xor_b32 s31, exec_lo, s31
	s_cbranch_execnz .LBB6_13088
; %bb.11538:                            ;   in Loop: Header=BB6_10858 Depth=3
	s_or_saveexec_b32 s31, s31
	v_mov_b32_e32 v61, s17
	s_xor_b32 exec_lo, exec_lo, s31
	s_cbranch_execnz .LBB6_13091
.LBB6_11539:                            ;   in Loop: Header=BB6_10858 Depth=3
	s_or_b32 exec_lo, exec_lo, s31
	s_and_saveexec_b32 s17, s13
	s_cbranch_execz .LBB6_11541
.LBB6_11540:                            ;   in Loop: Header=BB6_10858 Depth=3
	v_bfe_u32 v61, v33, 24, 3
	s_delay_alu instid0(VALU_DEP_1) | instskip(NEXT) | instid1(VALU_DEP_1)
	v_clz_i32_u32_e32 v62, v61
	v_min_u32_e32 v62, 32, v62
	s_delay_alu instid0(VALU_DEP_1) | instskip(SKIP_1) | instid1(VALU_DEP_2)
	v_subrev_nc_u32_e32 v63, 28, v62
	v_sub_nc_u32_e32 v62, 29, v62
	v_lshlrev_b32_e32 v60, v63, v60
	v_bfe_u32 v63, v33, 27, 4
	v_and_b32_e32 v33, 0x80000000, v33
	s_delay_alu instid0(VALU_DEP_3) | instskip(NEXT) | instid1(VALU_DEP_3)
	v_and_b32_e32 v60, 7, v60
	v_cmp_eq_u32_e32 vcc_lo, 0, v63
	v_cndmask_b32_e32 v62, v63, v62, vcc_lo
	s_delay_alu instid0(VALU_DEP_3) | instskip(NEXT) | instid1(VALU_DEP_2)
	v_cndmask_b32_e32 v60, v61, v60, vcc_lo
	v_lshl_add_u32 v61, v62, 23, 0x3b800000
	s_delay_alu instid0(VALU_DEP_2) | instskip(NEXT) | instid1(VALU_DEP_1)
	v_lshlrev_b32_e32 v60, 20, v60
	v_or3_b32 v61, v33, v61, v60
.LBB6_11541:                            ;   in Loop: Header=BB6_10858 Depth=3
	s_or_b32 exec_lo, exec_lo, s17
	s_mov_b32 s13, 0
	s_mov_b32 s31, exec_lo
                                        ; implicit-def: $sgpr17
	v_cmpx_lt_i16_e32 0x7f, v59
	s_xor_b32 s31, exec_lo, s31
	s_cbranch_execnz .LBB6_13092
; %bb.11542:                            ;   in Loop: Header=BB6_10858 Depth=3
	s_or_saveexec_b32 s31, s31
	v_mov_b32_e32 v33, s17
	s_xor_b32 exec_lo, exec_lo, s31
	s_cbranch_execnz .LBB6_13095
.LBB6_11543:                            ;   in Loop: Header=BB6_10858 Depth=3
	s_or_b32 exec_lo, exec_lo, s31
	s_and_saveexec_b32 s17, s13
	s_cbranch_execz .LBB6_11545
.LBB6_11544:                            ;   in Loop: Header=BB6_10858 Depth=3
	v_bfe_u32 v33, v25, 24, 3
	s_delay_alu instid0(VALU_DEP_1) | instskip(NEXT) | instid1(VALU_DEP_1)
	v_clz_i32_u32_e32 v60, v33
	v_min_u32_e32 v60, 32, v60
	s_delay_alu instid0(VALU_DEP_1) | instskip(SKIP_1) | instid1(VALU_DEP_2)
	v_subrev_nc_u32_e32 v62, 28, v60
	v_sub_nc_u32_e32 v60, 29, v60
	v_lshlrev_b32_e32 v59, v62, v59
	v_bfe_u32 v62, v25, 27, 4
	v_and_b32_e32 v25, 0x80000000, v25
	s_delay_alu instid0(VALU_DEP_2) | instskip(NEXT) | instid1(VALU_DEP_4)
	v_cmp_eq_u32_e32 vcc_lo, 0, v62
	v_dual_cndmask_b32 v60, v62, v60 :: v_dual_and_b32 v59, 7, v59
	s_delay_alu instid0(VALU_DEP_1) | instskip(NEXT) | instid1(VALU_DEP_2)
	v_cndmask_b32_e32 v33, v33, v59, vcc_lo
	v_lshl_add_u32 v59, v60, 23, 0x3b800000
	s_delay_alu instid0(VALU_DEP_2) | instskip(NEXT) | instid1(VALU_DEP_1)
	v_lshlrev_b32_e32 v33, 20, v33
	v_or3_b32 v33, v25, v59, v33
.LBB6_11545:                            ;   in Loop: Header=BB6_10858 Depth=3
	s_or_b32 exec_lo, exec_lo, s17
	s_delay_alu instid0(VALU_DEP_1) | instskip(SKIP_1) | instid1(VALU_DEP_1)
	v_max_f32_e32 v25, v33, v33
	v_max_f32_e32 v33, v61, v61
	v_min_f32_e32 v61, v33, v25
.LBB6_11546:                            ;   in Loop: Header=BB6_10858 Depth=3
	s_delay_alu instid0(VALU_DEP_1) | instskip(NEXT) | instid1(VALU_DEP_1)
	v_and_b32_e32 v25, 0x7f800000, v61
	v_cmp_ne_u32_e32 vcc_lo, 0x7f800000, v25
	v_mov_b32_e32 v25, 0x8000
	s_and_saveexec_b32 s17, vcc_lo
	s_cbranch_execz .LBB6_11554
; %bb.11547:                            ;   in Loop: Header=BB6_10858 Depth=3
	v_mov_b32_e32 v25, 0
	s_mov_b32 s31, exec_lo
	v_cmpx_ne_u32_e32 0, v61
	s_cbranch_execz .LBB6_11553
; %bb.11548:                            ;   in Loop: Header=BB6_10858 Depth=3
	v_bfe_u32 v25, v61, 23, 8
	v_and_b32_e32 v33, 0x7fffff, v61
	s_delay_alu instid0(VALU_DEP_2) | instskip(SKIP_1) | instid1(VALU_DEP_3)
	v_sub_nc_u32_e32 v59, 0x78, v25
	v_cmp_gt_u32_e32 vcc_lo, 0x79, v25
	v_or_b32_e32 v60, 0x800000, v33
	s_delay_alu instid0(VALU_DEP_3) | instskip(SKIP_2) | instid1(VALU_DEP_3)
	v_cndmask_b32_e32 v59, 0, v59, vcc_lo
	v_cmp_eq_u32_e32 vcc_lo, 0, v25
	v_add_nc_u32_e32 v25, 0xffffff89, v25
	v_cndmask_b32_e64 v59, v59, 0x77, vcc_lo
	v_cndmask_b32_e32 v33, v60, v33, vcc_lo
	s_delay_alu instid0(VALU_DEP_3) | instskip(NEXT) | instid1(VALU_DEP_3)
	v_cndmask_b32_e64 v25, v25, 0xffffff8a, vcc_lo
	v_lshl_add_u32 v60, 0x100000, v59, -1
	s_delay_alu instid0(VALU_DEP_3) | instskip(SKIP_1) | instid1(VALU_DEP_4)
	v_lshrrev_b32_e32 v62, v59, v33
	v_lshlrev_b32_e64 v72, v59, 0x80000
	v_add_nc_u32_e32 v59, v59, v25
	s_delay_alu instid0(VALU_DEP_4) | instskip(NEXT) | instid1(VALU_DEP_4)
	v_and_b32_e32 v33, v60, v33
	v_bfe_u32 v63, v62, 20, 1
	s_delay_alu instid0(VALU_DEP_2) | instskip(NEXT) | instid1(VALU_DEP_2)
	v_cmp_eq_u32_e64 s13, v33, v72
	v_add_nc_u32_e32 v60, -1, v63
	s_delay_alu instid0(VALU_DEP_1) | instskip(SKIP_2) | instid1(VALU_DEP_2)
	v_cndmask_b32_e64 v33, 0, v60, s13
	v_lshrrev_b32_e32 v60, 23, v62
	s_mov_b32 s13, exec_lo
	v_add_nc_u32_e32 v33, v33, v62
	s_delay_alu instid0(VALU_DEP_2) | instskip(NEXT) | instid1(VALU_DEP_2)
	v_xor_b32_e32 v60, 1, v60
	v_and_b32_e32 v25, 0xfffff, v33
	s_delay_alu instid0(VALU_DEP_1) | instskip(NEXT) | instid1(VALU_DEP_3)
	v_add_nc_u32_e32 v33, v25, v62
                                        ; implicit-def: $vgpr25
	v_cmpx_ne_u32_e64 v59, v60
	s_xor_b32 s13, exec_lo, s13
; %bb.11549:                            ;   in Loop: Header=BB6_10858 Depth=3
	s_delay_alu instid0(VALU_DEP_2) | instskip(SKIP_2) | instid1(VALU_DEP_2)
	v_cmp_lt_u32_e32 vcc_lo, 0xffffff, v33
	v_sub_nc_u32_e32 v25, v59, v60
	v_cndmask_b32_e64 v59, 0, 1, vcc_lo
	v_add_co_ci_u32_e32 v25, vcc_lo, 0, v25, vcc_lo
	s_delay_alu instid0(VALU_DEP_2)
	v_lshrrev_b32_e32 v33, v59, v33
; %bb.11550:                            ;   in Loop: Header=BB6_10858 Depth=3
	s_and_not1_saveexec_b32 s13, s13
; %bb.11551:                            ;   in Loop: Header=BB6_10858 Depth=3
	s_delay_alu instid0(VALU_DEP_1)
	v_bfe_u32 v25, v33, 23, 1
; %bb.11552:                            ;   in Loop: Header=BB6_10858 Depth=3
	s_or_b32 exec_lo, exec_lo, s13
	v_lshrrev_b32_e32 v33, 20, v33
	s_delay_alu instid0(VALU_DEP_2) | instskip(SKIP_2) | instid1(VALU_DEP_3)
	v_min_i32_e32 v59, 15, v25
	v_cmp_gt_i32_e32 vcc_lo, 16, v25
	v_lshrrev_b32_e32 v60, 24, v61
	v_lshlrev_b32_e32 v59, 3, v59
	s_delay_alu instid0(VALU_DEP_2) | instskip(NEXT) | instid1(VALU_DEP_2)
	v_dual_cndmask_b32 v33, 7, v33 :: v_dual_and_b32 v60, 0x80, v60
	v_and_b32_e32 v59, 0xf8, v59
	s_delay_alu instid0(VALU_DEP_2) | instskip(SKIP_1) | instid1(VALU_DEP_2)
	v_and_b32_e32 v61, 7, v33
	v_or_b32_e32 v25, v25, v33
	v_or3_b32 v59, v60, v59, v61
	s_delay_alu instid0(VALU_DEP_2) | instskip(NEXT) | instid1(VALU_DEP_2)
	v_cmp_ne_u32_e32 vcc_lo, 0, v25
	v_lshlrev_b32_e32 v33, 8, v59
	s_delay_alu instid0(VALU_DEP_1)
	v_cndmask_b32_e32 v25, 0, v33, vcc_lo
.LBB6_11553:                            ;   in Loop: Header=BB6_10858 Depth=3
	s_or_b32 exec_lo, exec_lo, s31
.LBB6_11554:                            ;   in Loop: Header=BB6_10858 Depth=3
	s_delay_alu instid0(SALU_CYCLE_1) | instskip(NEXT) | instid1(SALU_CYCLE_1)
	s_or_b32 exec_lo, exec_lo, s17
	s_and_not1_b32 vcc_lo, exec_lo, s16
	s_cbranch_vccnz .LBB6_11564
; %bb.11555:                            ;   in Loop: Header=BB6_10858 Depth=3
	v_and_b32_e32 v59, 0xff, v34
	s_mov_b32 s13, 0
	s_mov_b32 s31, exec_lo
                                        ; implicit-def: $sgpr17
	s_delay_alu instid0(VALU_DEP_1)
	v_cmpx_lt_i16_e32 0x7f, v59
	s_xor_b32 s31, exec_lo, s31
	s_cbranch_execnz .LBB6_13096
; %bb.11556:                            ;   in Loop: Header=BB6_10858 Depth=3
	s_or_saveexec_b32 s31, s31
	v_mov_b32_e32 v33, s17
	s_xor_b32 exec_lo, exec_lo, s31
	s_cbranch_execnz .LBB6_13099
.LBB6_11557:                            ;   in Loop: Header=BB6_10858 Depth=3
	s_or_b32 exec_lo, exec_lo, s31
	s_and_saveexec_b32 s17, s13
	s_cbranch_execz .LBB6_11559
.LBB6_11558:                            ;   in Loop: Header=BB6_10858 Depth=3
	v_and_b32_e32 v33, 7, v34
	v_bfe_u32 v61, v34, 3, 4
	s_delay_alu instid0(VALU_DEP_2) | instskip(NEXT) | instid1(VALU_DEP_2)
	v_clz_i32_u32_e32 v59, v33
	v_cmp_eq_u32_e32 vcc_lo, 0, v61
	s_delay_alu instid0(VALU_DEP_2) | instskip(NEXT) | instid1(VALU_DEP_1)
	v_min_u32_e32 v59, 32, v59
	v_subrev_nc_u32_e32 v60, 28, v59
	v_sub_nc_u32_e32 v59, 29, v59
	s_delay_alu instid0(VALU_DEP_1) | instskip(NEXT) | instid1(VALU_DEP_1)
	v_dual_cndmask_b32 v59, v61, v59 :: v_dual_lshlrev_b32 v60, v60, v34
	v_and_b32_e32 v60, 7, v60
	v_lshlrev_b32_e32 v62, 24, v34
	s_delay_alu instid0(VALU_DEP_3) | instskip(NEXT) | instid1(VALU_DEP_2)
	v_lshl_add_u32 v59, v59, 23, 0x3b800000
	v_dual_cndmask_b32 v33, v33, v60 :: v_dual_and_b32 v60, 0x80000000, v62
	s_delay_alu instid0(VALU_DEP_1) | instskip(NEXT) | instid1(VALU_DEP_1)
	v_lshlrev_b32_e32 v33, 20, v33
	v_or3_b32 v33, v60, v59, v33
.LBB6_11559:                            ;   in Loop: Header=BB6_10858 Depth=3
	s_or_b32 exec_lo, exec_lo, s17
	v_and_b32_e32 v60, 0xff, v26
	s_mov_b32 s13, 0
	s_mov_b32 s31, exec_lo
                                        ; implicit-def: $sgpr17
	s_delay_alu instid0(VALU_DEP_1)
	v_cmpx_lt_i16_e32 0x7f, v60
	s_xor_b32 s31, exec_lo, s31
	s_cbranch_execnz .LBB6_13100
; %bb.11560:                            ;   in Loop: Header=BB6_10858 Depth=3
	s_or_saveexec_b32 s31, s31
	v_mov_b32_e32 v59, s17
	s_xor_b32 exec_lo, exec_lo, s31
	s_cbranch_execnz .LBB6_13103
.LBB6_11561:                            ;   in Loop: Header=BB6_10858 Depth=3
	s_or_b32 exec_lo, exec_lo, s31
	s_and_saveexec_b32 s17, s13
	s_cbranch_execz .LBB6_11563
.LBB6_11562:                            ;   in Loop: Header=BB6_10858 Depth=3
	v_bfe_u32 v62, v26, 3, 4
	v_lshlrev_b32_e32 v63, 24, v26
	s_delay_alu instid0(VALU_DEP_2) | instskip(SKIP_1) | instid1(VALU_DEP_1)
	v_cmp_eq_u32_e32 vcc_lo, 0, v62
	v_and_b32_e32 v59, 7, v26
	v_clz_i32_u32_e32 v60, v59
	s_delay_alu instid0(VALU_DEP_1) | instskip(NEXT) | instid1(VALU_DEP_1)
	v_min_u32_e32 v60, 32, v60
	v_subrev_nc_u32_e32 v61, 28, v60
	v_sub_nc_u32_e32 v60, 29, v60
	s_delay_alu instid0(VALU_DEP_1) | instskip(NEXT) | instid1(VALU_DEP_1)
	v_dual_cndmask_b32 v60, v62, v60 :: v_dual_lshlrev_b32 v61, v61, v26
	v_and_b32_e32 v61, 7, v61
	s_delay_alu instid0(VALU_DEP_2) | instskip(NEXT) | instid1(VALU_DEP_2)
	v_lshl_add_u32 v60, v60, 23, 0x3b800000
	v_cndmask_b32_e32 v59, v59, v61, vcc_lo
	v_and_b32_e32 v61, 0x80000000, v63
	s_delay_alu instid0(VALU_DEP_2) | instskip(NEXT) | instid1(VALU_DEP_1)
	v_lshlrev_b32_e32 v59, 20, v59
	v_or3_b32 v59, v61, v60, v59
.LBB6_11563:                            ;   in Loop: Header=BB6_10858 Depth=3
	s_or_b32 exec_lo, exec_lo, s17
	s_delay_alu instid0(VALU_DEP_1) | instskip(SKIP_2) | instid1(VALU_DEP_1)
	v_max_f32_e32 v59, v59, v59
	v_max_f32_e32 v33, v33, v33
	s_mov_b32 s13, 0
	v_max_f32_e32 v59, v33, v59
	s_branch .LBB6_11565
.LBB6_11564:                            ;   in Loop: Header=BB6_10858 Depth=3
	s_mov_b32 s13, -1
                                        ; implicit-def: $vgpr59
.LBB6_11565:                            ;   in Loop: Header=BB6_10858 Depth=3
	s_delay_alu instid0(SALU_CYCLE_1)
	s_and_b32 vcc_lo, exec_lo, s13
	s_cbranch_vccz .LBB6_11575
; %bb.11566:                            ;   in Loop: Header=BB6_10858 Depth=3
	v_and_b32_e32 v59, 0xff, v34
	s_mov_b32 s13, 0
	s_mov_b32 s31, exec_lo
                                        ; implicit-def: $sgpr17
	s_delay_alu instid0(VALU_DEP_1)
	v_cmpx_lt_i16_e32 0x7f, v59
	s_xor_b32 s31, exec_lo, s31
	s_cbranch_execnz .LBB6_13104
; %bb.11567:                            ;   in Loop: Header=BB6_10858 Depth=3
	s_or_saveexec_b32 s31, s31
	v_mov_b32_e32 v33, s17
	s_xor_b32 exec_lo, exec_lo, s31
	s_cbranch_execnz .LBB6_13107
.LBB6_11568:                            ;   in Loop: Header=BB6_10858 Depth=3
	s_or_b32 exec_lo, exec_lo, s31
	s_and_saveexec_b32 s17, s13
	s_cbranch_execz .LBB6_11570
.LBB6_11569:                            ;   in Loop: Header=BB6_10858 Depth=3
	v_and_b32_e32 v33, 7, v34
	v_bfe_u32 v61, v34, 3, 4
	s_delay_alu instid0(VALU_DEP_2) | instskip(NEXT) | instid1(VALU_DEP_2)
	v_clz_i32_u32_e32 v59, v33
	v_cmp_eq_u32_e32 vcc_lo, 0, v61
	s_delay_alu instid0(VALU_DEP_2) | instskip(NEXT) | instid1(VALU_DEP_1)
	v_min_u32_e32 v59, 32, v59
	v_subrev_nc_u32_e32 v60, 28, v59
	v_sub_nc_u32_e32 v59, 29, v59
	s_delay_alu instid0(VALU_DEP_1) | instskip(NEXT) | instid1(VALU_DEP_1)
	v_dual_cndmask_b32 v59, v61, v59 :: v_dual_lshlrev_b32 v60, v60, v34
	v_and_b32_e32 v60, 7, v60
	v_lshlrev_b32_e32 v62, 24, v34
	s_delay_alu instid0(VALU_DEP_3) | instskip(NEXT) | instid1(VALU_DEP_2)
	v_lshl_add_u32 v59, v59, 23, 0x3b800000
	v_dual_cndmask_b32 v33, v33, v60 :: v_dual_and_b32 v60, 0x80000000, v62
	s_delay_alu instid0(VALU_DEP_1) | instskip(NEXT) | instid1(VALU_DEP_1)
	v_lshlrev_b32_e32 v33, 20, v33
	v_or3_b32 v33, v60, v59, v33
.LBB6_11570:                            ;   in Loop: Header=BB6_10858 Depth=3
	s_or_b32 exec_lo, exec_lo, s17
	v_and_b32_e32 v60, 0xff, v26
	s_mov_b32 s13, 0
	s_mov_b32 s31, exec_lo
                                        ; implicit-def: $sgpr17
	s_delay_alu instid0(VALU_DEP_1)
	v_cmpx_lt_i16_e32 0x7f, v60
	s_xor_b32 s31, exec_lo, s31
	s_cbranch_execnz .LBB6_13108
; %bb.11571:                            ;   in Loop: Header=BB6_10858 Depth=3
	s_or_saveexec_b32 s31, s31
	v_mov_b32_e32 v59, s17
	s_xor_b32 exec_lo, exec_lo, s31
	s_cbranch_execnz .LBB6_13111
.LBB6_11572:                            ;   in Loop: Header=BB6_10858 Depth=3
	s_or_b32 exec_lo, exec_lo, s31
	s_and_saveexec_b32 s17, s13
	s_cbranch_execz .LBB6_11574
.LBB6_11573:                            ;   in Loop: Header=BB6_10858 Depth=3
	v_bfe_u32 v62, v26, 3, 4
	v_lshlrev_b32_e32 v63, 24, v26
	s_delay_alu instid0(VALU_DEP_2) | instskip(SKIP_1) | instid1(VALU_DEP_1)
	v_cmp_eq_u32_e32 vcc_lo, 0, v62
	v_and_b32_e32 v59, 7, v26
	v_clz_i32_u32_e32 v60, v59
	s_delay_alu instid0(VALU_DEP_1) | instskip(NEXT) | instid1(VALU_DEP_1)
	v_min_u32_e32 v60, 32, v60
	v_subrev_nc_u32_e32 v61, 28, v60
	v_sub_nc_u32_e32 v60, 29, v60
	s_delay_alu instid0(VALU_DEP_1) | instskip(NEXT) | instid1(VALU_DEP_1)
	v_dual_cndmask_b32 v60, v62, v60 :: v_dual_lshlrev_b32 v61, v61, v26
	v_and_b32_e32 v61, 7, v61
	s_delay_alu instid0(VALU_DEP_2) | instskip(NEXT) | instid1(VALU_DEP_2)
	v_lshl_add_u32 v60, v60, 23, 0x3b800000
	v_cndmask_b32_e32 v59, v59, v61, vcc_lo
	v_and_b32_e32 v61, 0x80000000, v63
	s_delay_alu instid0(VALU_DEP_2) | instskip(NEXT) | instid1(VALU_DEP_1)
	v_lshlrev_b32_e32 v59, 20, v59
	v_or3_b32 v59, v61, v60, v59
.LBB6_11574:                            ;   in Loop: Header=BB6_10858 Depth=3
	s_or_b32 exec_lo, exec_lo, s17
	s_delay_alu instid0(VALU_DEP_1) | instskip(SKIP_1) | instid1(VALU_DEP_1)
	v_max_f32_e32 v59, v59, v59
	v_max_f32_e32 v33, v33, v33
	v_min_f32_e32 v59, v33, v59
.LBB6_11575:                            ;   in Loop: Header=BB6_10858 Depth=3
	s_delay_alu instid0(VALU_DEP_1) | instskip(NEXT) | instid1(VALU_DEP_1)
	v_and_b32_e32 v33, 0x7f800000, v59
	v_cmp_ne_u32_e32 vcc_lo, 0x7f800000, v33
	v_mov_b32_e32 v33, 0x80
	s_and_saveexec_b32 s17, vcc_lo
	s_cbranch_execz .LBB6_11583
; %bb.11576:                            ;   in Loop: Header=BB6_10858 Depth=3
	v_mov_b32_e32 v33, 0
	s_mov_b32 s31, exec_lo
	v_cmpx_ne_u32_e32 0, v59
	s_cbranch_execz .LBB6_11582
; %bb.11577:                            ;   in Loop: Header=BB6_10858 Depth=3
	v_bfe_u32 v33, v59, 23, 8
	s_delay_alu instid0(VALU_DEP_1) | instskip(SKIP_1) | instid1(VALU_DEP_2)
	v_sub_nc_u32_e32 v61, 0x78, v33
	v_cmp_gt_u32_e32 vcc_lo, 0x79, v33
	v_dual_cndmask_b32 v61, 0, v61 :: v_dual_and_b32 v60, 0x7fffff, v59
	s_delay_alu instid0(VALU_DEP_1) | instskip(SKIP_2) | instid1(VALU_DEP_4)
	v_or_b32_e32 v62, 0x800000, v60
	v_cmp_eq_u32_e32 vcc_lo, 0, v33
	v_add_nc_u32_e32 v33, 0xffffff89, v33
	v_cndmask_b32_e64 v61, v61, 0x77, vcc_lo
	s_delay_alu instid0(VALU_DEP_4) | instskip(NEXT) | instid1(VALU_DEP_3)
	v_cndmask_b32_e32 v60, v62, v60, vcc_lo
	v_cndmask_b32_e64 v33, v33, 0xffffff8a, vcc_lo
	s_delay_alu instid0(VALU_DEP_3) | instskip(NEXT) | instid1(VALU_DEP_3)
	v_lshl_add_u32 v62, 0x100000, v61, -1
	v_lshrrev_b32_e32 v63, v61, v60
	v_lshlrev_b32_e64 v73, v61, 0x80000
	s_delay_alu instid0(VALU_DEP_4) | instskip(NEXT) | instid1(VALU_DEP_4)
	v_add_nc_u32_e32 v61, v61, v33
	v_and_b32_e32 v60, v62, v60
	s_delay_alu instid0(VALU_DEP_4) | instskip(NEXT) | instid1(VALU_DEP_2)
	v_bfe_u32 v72, v63, 20, 1
	v_cmp_eq_u32_e64 s13, v60, v73
	s_delay_alu instid0(VALU_DEP_2) | instskip(NEXT) | instid1(VALU_DEP_1)
	v_add_nc_u32_e32 v62, -1, v72
	v_cndmask_b32_e64 v60, 0, v62, s13
	v_lshrrev_b32_e32 v62, 23, v63
	s_mov_b32 s13, exec_lo
	s_delay_alu instid0(VALU_DEP_2) | instskip(NEXT) | instid1(VALU_DEP_2)
	v_add_nc_u32_e32 v60, v60, v63
	v_xor_b32_e32 v62, 1, v62
	s_delay_alu instid0(VALU_DEP_2) | instskip(NEXT) | instid1(VALU_DEP_1)
	v_and_b32_e32 v33, 0xfffff, v60
	v_add_nc_u32_e32 v60, v33, v63
                                        ; implicit-def: $vgpr33
	s_delay_alu instid0(VALU_DEP_3)
	v_cmpx_ne_u32_e64 v61, v62
	s_xor_b32 s13, exec_lo, s13
; %bb.11578:                            ;   in Loop: Header=BB6_10858 Depth=3
	s_delay_alu instid0(VALU_DEP_2) | instskip(SKIP_2) | instid1(VALU_DEP_2)
	v_cmp_lt_u32_e32 vcc_lo, 0xffffff, v60
	v_sub_nc_u32_e32 v33, v61, v62
	v_cndmask_b32_e64 v61, 0, 1, vcc_lo
	v_add_co_ci_u32_e32 v33, vcc_lo, 0, v33, vcc_lo
	s_delay_alu instid0(VALU_DEP_2)
	v_lshrrev_b32_e32 v60, v61, v60
; %bb.11579:                            ;   in Loop: Header=BB6_10858 Depth=3
	s_and_not1_saveexec_b32 s13, s13
; %bb.11580:                            ;   in Loop: Header=BB6_10858 Depth=3
	s_delay_alu instid0(VALU_DEP_1)
	v_bfe_u32 v33, v60, 23, 1
; %bb.11581:                            ;   in Loop: Header=BB6_10858 Depth=3
	s_or_b32 exec_lo, exec_lo, s13
	v_lshrrev_b32_e32 v60, 20, v60
	s_delay_alu instid0(VALU_DEP_2) | instskip(SKIP_2) | instid1(VALU_DEP_2)
	v_cmp_gt_i32_e32 vcc_lo, 16, v33
	v_lshrrev_b32_e32 v59, 24, v59
	v_min_i32_e32 v61, 15, v33
	v_dual_cndmask_b32 v60, 7, v60 :: v_dual_and_b32 v59, 0x80, v59
	s_delay_alu instid0(VALU_DEP_2) | instskip(NEXT) | instid1(VALU_DEP_2)
	v_lshlrev_b32_e32 v61, 3, v61
	v_or_b32_e32 v33, v33, v60
	s_delay_alu instid0(VALU_DEP_1) | instskip(SKIP_1) | instid1(VALU_DEP_1)
	v_cmp_ne_u32_e32 vcc_lo, 0, v33
	v_and_b32_e32 v62, 7, v60
	v_or3_b32 v59, v61, v59, v62
	s_delay_alu instid0(VALU_DEP_1)
	v_cndmask_b32_e32 v33, 0, v59, vcc_lo
.LBB6_11582:                            ;   in Loop: Header=BB6_10858 Depth=3
	s_or_b32 exec_lo, exec_lo, s31
.LBB6_11583:                            ;   in Loop: Header=BB6_10858 Depth=3
	s_delay_alu instid0(SALU_CYCLE_1)
	s_or_b32 exec_lo, exec_lo, s17
	v_lshrrev_b16 v60, 8, v34
	v_lshrrev_b16 v59, 8, v26
	s_and_not1_b32 vcc_lo, exec_lo, s16
	s_cbranch_vccnz .LBB6_11593
; %bb.11584:                            ;   in Loop: Header=BB6_10858 Depth=3
	s_mov_b32 s13, 0
	s_mov_b32 s31, exec_lo
                                        ; implicit-def: $sgpr17
	v_cmpx_lt_i16_e32 0x7f, v60
	s_xor_b32 s31, exec_lo, s31
	s_cbranch_execnz .LBB6_13112
; %bb.11585:                            ;   in Loop: Header=BB6_10858 Depth=3
	s_or_saveexec_b32 s31, s31
	v_mov_b32_e32 v61, s17
	s_xor_b32 exec_lo, exec_lo, s31
	s_cbranch_execnz .LBB6_13115
.LBB6_11586:                            ;   in Loop: Header=BB6_10858 Depth=3
	s_or_b32 exec_lo, exec_lo, s31
	s_and_saveexec_b32 s17, s13
	s_cbranch_execz .LBB6_11588
.LBB6_11587:                            ;   in Loop: Header=BB6_10858 Depth=3
	v_and_b32_e32 v61, 0xffff, v60
	s_delay_alu instid0(VALU_DEP_1) | instskip(NEXT) | instid1(VALU_DEP_1)
	v_and_b32_e32 v62, 7, v61
	v_clz_i32_u32_e32 v63, v62
	s_delay_alu instid0(VALU_DEP_1) | instskip(NEXT) | instid1(VALU_DEP_1)
	v_min_u32_e32 v63, 32, v63
	v_subrev_nc_u32_e32 v72, 28, v63
	v_sub_nc_u32_e32 v63, 29, v63
	s_delay_alu instid0(VALU_DEP_2) | instskip(SKIP_1) | instid1(VALU_DEP_2)
	v_lshlrev_b32_e32 v72, v72, v61
	v_bfe_u32 v61, v61, 3, 4
	v_and_b32_e32 v72, 7, v72
	s_delay_alu instid0(VALU_DEP_2) | instskip(SKIP_1) | instid1(VALU_DEP_3)
	v_cmp_eq_u32_e32 vcc_lo, 0, v61
	v_cndmask_b32_e32 v61, v61, v63, vcc_lo
	v_dual_cndmask_b32 v62, v62, v72 :: v_dual_lshlrev_b32 v73, 16, v34
	s_delay_alu instid0(VALU_DEP_2) | instskip(NEXT) | instid1(VALU_DEP_2)
	v_lshl_add_u32 v61, v61, 23, 0x3b800000
	v_and_b32_e32 v63, 0x80000000, v73
	s_delay_alu instid0(VALU_DEP_3) | instskip(NEXT) | instid1(VALU_DEP_1)
	v_lshlrev_b32_e32 v62, 20, v62
	v_or3_b32 v61, v63, v61, v62
.LBB6_11588:                            ;   in Loop: Header=BB6_10858 Depth=3
	s_or_b32 exec_lo, exec_lo, s17
	s_mov_b32 s13, 0
	s_mov_b32 s31, exec_lo
                                        ; implicit-def: $sgpr17
	v_cmpx_lt_i16_e32 0x7f, v59
	s_xor_b32 s31, exec_lo, s31
	s_cbranch_execnz .LBB6_13116
; %bb.11589:                            ;   in Loop: Header=BB6_10858 Depth=3
	s_or_saveexec_b32 s31, s31
	v_mov_b32_e32 v62, s17
	s_xor_b32 exec_lo, exec_lo, s31
	s_cbranch_execnz .LBB6_13119
.LBB6_11590:                            ;   in Loop: Header=BB6_10858 Depth=3
	s_or_b32 exec_lo, exec_lo, s31
	s_and_saveexec_b32 s17, s13
	s_cbranch_execz .LBB6_11592
.LBB6_11591:                            ;   in Loop: Header=BB6_10858 Depth=3
	v_and_b32_e32 v62, 0xffff, v59
	v_lshlrev_b32_e32 v74, 16, v26
	s_delay_alu instid0(VALU_DEP_2) | instskip(NEXT) | instid1(VALU_DEP_1)
	v_and_b32_e32 v63, 7, v62
	v_clz_i32_u32_e32 v72, v63
	s_delay_alu instid0(VALU_DEP_1) | instskip(NEXT) | instid1(VALU_DEP_1)
	v_min_u32_e32 v72, 32, v72
	v_subrev_nc_u32_e32 v73, 28, v72
	v_sub_nc_u32_e32 v72, 29, v72
	s_delay_alu instid0(VALU_DEP_2) | instskip(SKIP_1) | instid1(VALU_DEP_2)
	v_lshlrev_b32_e32 v73, v73, v62
	v_bfe_u32 v62, v62, 3, 4
	v_and_b32_e32 v73, 7, v73
	s_delay_alu instid0(VALU_DEP_2) | instskip(NEXT) | instid1(VALU_DEP_2)
	v_cmp_eq_u32_e32 vcc_lo, 0, v62
	v_dual_cndmask_b32 v62, v62, v72 :: v_dual_cndmask_b32 v63, v63, v73
	v_and_b32_e32 v72, 0x80000000, v74
	s_delay_alu instid0(VALU_DEP_2) | instskip(NEXT) | instid1(VALU_DEP_3)
	v_lshl_add_u32 v62, v62, 23, 0x3b800000
	v_lshlrev_b32_e32 v63, 20, v63
	s_delay_alu instid0(VALU_DEP_1)
	v_or3_b32 v62, v72, v62, v63
.LBB6_11592:                            ;   in Loop: Header=BB6_10858 Depth=3
	s_or_b32 exec_lo, exec_lo, s17
	s_delay_alu instid0(VALU_DEP_1) | instskip(SKIP_1) | instid1(VALU_DEP_1)
	v_dual_max_f32 v62, v62, v62 :: v_dual_max_f32 v61, v61, v61
	s_mov_b32 s13, 0
	v_max_f32_e32 v61, v61, v62
	s_branch .LBB6_11594
.LBB6_11593:                            ;   in Loop: Header=BB6_10858 Depth=3
	s_mov_b32 s13, -1
                                        ; implicit-def: $vgpr61
.LBB6_11594:                            ;   in Loop: Header=BB6_10858 Depth=3
	s_delay_alu instid0(SALU_CYCLE_1)
	s_and_b32 vcc_lo, exec_lo, s13
	s_cbranch_vccz .LBB6_11604
; %bb.11595:                            ;   in Loop: Header=BB6_10858 Depth=3
	s_mov_b32 s13, 0
	s_mov_b32 s31, exec_lo
                                        ; implicit-def: $sgpr17
	v_cmpx_lt_i16_e32 0x7f, v60
	s_xor_b32 s31, exec_lo, s31
	s_cbranch_execnz .LBB6_13120
; %bb.11596:                            ;   in Loop: Header=BB6_10858 Depth=3
	s_or_saveexec_b32 s31, s31
	v_mov_b32_e32 v61, s17
	s_xor_b32 exec_lo, exec_lo, s31
	s_cbranch_execnz .LBB6_13123
.LBB6_11597:                            ;   in Loop: Header=BB6_10858 Depth=3
	s_or_b32 exec_lo, exec_lo, s31
	s_and_saveexec_b32 s17, s13
	s_cbranch_execz .LBB6_11599
.LBB6_11598:                            ;   in Loop: Header=BB6_10858 Depth=3
	v_and_b32_e32 v60, 0xffff, v60
	v_lshlrev_b32_e32 v72, 16, v34
	s_delay_alu instid0(VALU_DEP_2) | instskip(NEXT) | instid1(VALU_DEP_1)
	v_and_b32_e32 v61, 7, v60
	v_clz_i32_u32_e32 v62, v61
	s_delay_alu instid0(VALU_DEP_1) | instskip(NEXT) | instid1(VALU_DEP_1)
	v_min_u32_e32 v62, 32, v62
	v_subrev_nc_u32_e32 v63, 28, v62
	v_sub_nc_u32_e32 v62, 29, v62
	s_delay_alu instid0(VALU_DEP_2) | instskip(SKIP_1) | instid1(VALU_DEP_2)
	v_lshlrev_b32_e32 v63, v63, v60
	v_bfe_u32 v60, v60, 3, 4
	v_and_b32_e32 v63, 7, v63
	s_delay_alu instid0(VALU_DEP_2) | instskip(NEXT) | instid1(VALU_DEP_2)
	v_cmp_eq_u32_e32 vcc_lo, 0, v60
	v_dual_cndmask_b32 v60, v60, v62 :: v_dual_cndmask_b32 v61, v61, v63
	v_and_b32_e32 v62, 0x80000000, v72
	s_delay_alu instid0(VALU_DEP_2) | instskip(NEXT) | instid1(VALU_DEP_3)
	v_lshl_add_u32 v60, v60, 23, 0x3b800000
	v_lshlrev_b32_e32 v61, 20, v61
	s_delay_alu instid0(VALU_DEP_1)
	v_or3_b32 v61, v62, v60, v61
.LBB6_11599:                            ;   in Loop: Header=BB6_10858 Depth=3
	s_or_b32 exec_lo, exec_lo, s17
	s_mov_b32 s13, 0
	s_mov_b32 s31, exec_lo
                                        ; implicit-def: $sgpr17
	v_cmpx_lt_i16_e32 0x7f, v59
	s_xor_b32 s31, exec_lo, s31
	s_cbranch_execnz .LBB6_13124
; %bb.11600:                            ;   in Loop: Header=BB6_10858 Depth=3
	s_or_saveexec_b32 s31, s31
	v_mov_b32_e32 v60, s17
	s_xor_b32 exec_lo, exec_lo, s31
	s_cbranch_execnz .LBB6_13127
.LBB6_11601:                            ;   in Loop: Header=BB6_10858 Depth=3
	s_or_b32 exec_lo, exec_lo, s31
	s_and_saveexec_b32 s17, s13
	s_cbranch_execz .LBB6_11603
.LBB6_11602:                            ;   in Loop: Header=BB6_10858 Depth=3
	v_and_b32_e32 v59, 0xffff, v59
	v_lshlrev_b32_e32 v72, 16, v26
	s_delay_alu instid0(VALU_DEP_2) | instskip(NEXT) | instid1(VALU_DEP_1)
	v_and_b32_e32 v60, 7, v59
	v_clz_i32_u32_e32 v62, v60
	s_delay_alu instid0(VALU_DEP_1) | instskip(NEXT) | instid1(VALU_DEP_1)
	v_min_u32_e32 v62, 32, v62
	v_subrev_nc_u32_e32 v63, 28, v62
	v_sub_nc_u32_e32 v62, 29, v62
	s_delay_alu instid0(VALU_DEP_2) | instskip(SKIP_1) | instid1(VALU_DEP_2)
	v_lshlrev_b32_e32 v63, v63, v59
	v_bfe_u32 v59, v59, 3, 4
	v_and_b32_e32 v63, 7, v63
	s_delay_alu instid0(VALU_DEP_2) | instskip(NEXT) | instid1(VALU_DEP_2)
	v_cmp_eq_u32_e32 vcc_lo, 0, v59
	v_dual_cndmask_b32 v59, v59, v62 :: v_dual_cndmask_b32 v60, v60, v63
	v_and_b32_e32 v62, 0x80000000, v72
	s_delay_alu instid0(VALU_DEP_2) | instskip(NEXT) | instid1(VALU_DEP_3)
	v_lshl_add_u32 v59, v59, 23, 0x3b800000
	v_lshlrev_b32_e32 v60, 20, v60
	s_delay_alu instid0(VALU_DEP_1)
	v_or3_b32 v60, v62, v59, v60
.LBB6_11603:                            ;   in Loop: Header=BB6_10858 Depth=3
	s_or_b32 exec_lo, exec_lo, s17
	s_delay_alu instid0(VALU_DEP_1) | instskip(NEXT) | instid1(VALU_DEP_1)
	v_dual_max_f32 v59, v60, v60 :: v_dual_max_f32 v60, v61, v61
	v_min_f32_e32 v61, v60, v59
.LBB6_11604:                            ;   in Loop: Header=BB6_10858 Depth=3
	s_delay_alu instid0(VALU_DEP_1) | instskip(NEXT) | instid1(VALU_DEP_1)
	v_and_b32_e32 v59, 0x7f800000, v61
	v_cmp_ne_u32_e32 vcc_lo, 0x7f800000, v59
	v_mov_b32_e32 v59, 0x80
	s_and_saveexec_b32 s17, vcc_lo
	s_cbranch_execz .LBB6_11612
; %bb.11605:                            ;   in Loop: Header=BB6_10858 Depth=3
	v_mov_b32_e32 v59, 0
	s_mov_b32 s31, exec_lo
	v_cmpx_ne_u32_e32 0, v61
	s_cbranch_execz .LBB6_11611
; %bb.11606:                            ;   in Loop: Header=BB6_10858 Depth=3
	v_bfe_u32 v59, v61, 23, 8
	v_and_b32_e32 v60, 0x7fffff, v61
	s_delay_alu instid0(VALU_DEP_2) | instskip(SKIP_1) | instid1(VALU_DEP_3)
	v_sub_nc_u32_e32 v62, 0x78, v59
	v_cmp_gt_u32_e32 vcc_lo, 0x79, v59
	v_or_b32_e32 v63, 0x800000, v60
	s_delay_alu instid0(VALU_DEP_3) | instskip(SKIP_2) | instid1(VALU_DEP_3)
	v_cndmask_b32_e32 v62, 0, v62, vcc_lo
	v_cmp_eq_u32_e32 vcc_lo, 0, v59
	v_add_nc_u32_e32 v59, 0xffffff89, v59
	v_cndmask_b32_e64 v62, v62, 0x77, vcc_lo
	v_cndmask_b32_e32 v60, v63, v60, vcc_lo
	s_delay_alu instid0(VALU_DEP_3) | instskip(NEXT) | instid1(VALU_DEP_3)
	v_cndmask_b32_e64 v59, v59, 0xffffff8a, vcc_lo
	v_lshl_add_u32 v63, 0x100000, v62, -1
	s_delay_alu instid0(VALU_DEP_3) | instskip(SKIP_1) | instid1(VALU_DEP_4)
	v_lshrrev_b32_e32 v72, v62, v60
	v_lshlrev_b32_e64 v74, v62, 0x80000
	v_add_nc_u32_e32 v62, v62, v59
	s_delay_alu instid0(VALU_DEP_4) | instskip(NEXT) | instid1(VALU_DEP_4)
	v_and_b32_e32 v60, v63, v60
	v_bfe_u32 v73, v72, 20, 1
	s_delay_alu instid0(VALU_DEP_2) | instskip(NEXT) | instid1(VALU_DEP_2)
	v_cmp_eq_u32_e64 s13, v60, v74
	v_add_nc_u32_e32 v63, -1, v73
	s_delay_alu instid0(VALU_DEP_1) | instskip(SKIP_2) | instid1(VALU_DEP_2)
	v_cndmask_b32_e64 v60, 0, v63, s13
	v_lshrrev_b32_e32 v63, 23, v72
	s_mov_b32 s13, exec_lo
	v_add_nc_u32_e32 v60, v60, v72
	s_delay_alu instid0(VALU_DEP_2) | instskip(NEXT) | instid1(VALU_DEP_2)
	v_xor_b32_e32 v63, 1, v63
	v_and_b32_e32 v59, 0xfffff, v60
	s_delay_alu instid0(VALU_DEP_1) | instskip(NEXT) | instid1(VALU_DEP_3)
	v_add_nc_u32_e32 v60, v59, v72
                                        ; implicit-def: $vgpr59
	v_cmpx_ne_u32_e64 v62, v63
	s_xor_b32 s13, exec_lo, s13
; %bb.11607:                            ;   in Loop: Header=BB6_10858 Depth=3
	s_delay_alu instid0(VALU_DEP_2) | instskip(SKIP_2) | instid1(VALU_DEP_2)
	v_cmp_lt_u32_e32 vcc_lo, 0xffffff, v60
	v_sub_nc_u32_e32 v59, v62, v63
	v_cndmask_b32_e64 v62, 0, 1, vcc_lo
	v_add_co_ci_u32_e32 v59, vcc_lo, 0, v59, vcc_lo
	s_delay_alu instid0(VALU_DEP_2)
	v_lshrrev_b32_e32 v60, v62, v60
; %bb.11608:                            ;   in Loop: Header=BB6_10858 Depth=3
	s_and_not1_saveexec_b32 s13, s13
; %bb.11609:                            ;   in Loop: Header=BB6_10858 Depth=3
	s_delay_alu instid0(VALU_DEP_1)
	v_bfe_u32 v59, v60, 23, 1
; %bb.11610:                            ;   in Loop: Header=BB6_10858 Depth=3
	s_or_b32 exec_lo, exec_lo, s13
	v_lshrrev_b32_e32 v60, 20, v60
	s_delay_alu instid0(VALU_DEP_2) | instskip(SKIP_2) | instid1(VALU_DEP_2)
	v_cmp_gt_i32_e32 vcc_lo, 16, v59
	v_lshrrev_b32_e32 v61, 24, v61
	v_min_i32_e32 v62, 15, v59
	v_dual_cndmask_b32 v60, 7, v60 :: v_dual_and_b32 v61, 0x80, v61
	s_delay_alu instid0(VALU_DEP_1) | instskip(SKIP_1) | instid1(VALU_DEP_2)
	v_or_b32_e32 v59, v59, v60
	v_and_b32_e32 v63, 7, v60
	v_cmp_ne_u32_e32 vcc_lo, 0, v59
	v_lshlrev_b32_e32 v62, 3, v62
	s_delay_alu instid0(VALU_DEP_1) | instskip(NEXT) | instid1(VALU_DEP_1)
	v_or3_b32 v60, v62, v61, v63
	v_cndmask_b32_e32 v59, 0, v60, vcc_lo
.LBB6_11611:                            ;   in Loop: Header=BB6_10858 Depth=3
	s_or_b32 exec_lo, exec_lo, s31
.LBB6_11612:                            ;   in Loop: Header=BB6_10858 Depth=3
	s_delay_alu instid0(SALU_CYCLE_1)
	s_or_b32 exec_lo, exec_lo, s17
	v_lshrrev_b32_e32 v61, 16, v34
	v_lshrrev_b32_e32 v60, 16, v26
	s_and_not1_b32 vcc_lo, exec_lo, s16
	s_cbranch_vccnz .LBB6_11622
; %bb.11613:                            ;   in Loop: Header=BB6_10858 Depth=3
	s_delay_alu instid0(VALU_DEP_2) | instskip(SKIP_2) | instid1(VALU_DEP_1)
	v_and_b32_e32 v63, 0xff, v61
	s_mov_b32 s13, 0
	s_mov_b32 s31, exec_lo
                                        ; implicit-def: $sgpr17
	v_cmpx_lt_i16_e32 0x7f, v63
	s_xor_b32 s31, exec_lo, s31
	s_cbranch_execnz .LBB6_13128
; %bb.11614:                            ;   in Loop: Header=BB6_10858 Depth=3
	s_or_saveexec_b32 s31, s31
	v_mov_b32_e32 v62, s17
	s_xor_b32 exec_lo, exec_lo, s31
	s_cbranch_execnz .LBB6_13131
.LBB6_11615:                            ;   in Loop: Header=BB6_10858 Depth=3
	s_or_b32 exec_lo, exec_lo, s31
	s_and_saveexec_b32 s17, s13
	s_cbranch_execz .LBB6_11617
.LBB6_11616:                            ;   in Loop: Header=BB6_10858 Depth=3
	v_bfe_u32 v62, v34, 16, 3
	v_bfe_u32 v73, v34, 19, 4
	v_lshlrev_b32_e32 v74, 24, v61
	s_delay_alu instid0(VALU_DEP_3) | instskip(NEXT) | instid1(VALU_DEP_3)
	v_clz_i32_u32_e32 v63, v62
	v_cmp_eq_u32_e32 vcc_lo, 0, v73
	s_delay_alu instid0(VALU_DEP_2) | instskip(NEXT) | instid1(VALU_DEP_1)
	v_min_u32_e32 v63, 32, v63
	v_subrev_nc_u32_e32 v72, 28, v63
	v_sub_nc_u32_e32 v63, 29, v63
	s_delay_alu instid0(VALU_DEP_1) | instskip(NEXT) | instid1(VALU_DEP_1)
	v_dual_cndmask_b32 v63, v73, v63 :: v_dual_lshlrev_b32 v72, v72, v61
	v_and_b32_e32 v72, 7, v72
	s_delay_alu instid0(VALU_DEP_2) | instskip(NEXT) | instid1(VALU_DEP_2)
	v_lshl_add_u32 v63, v63, 23, 0x3b800000
	v_cndmask_b32_e32 v62, v62, v72, vcc_lo
	v_and_b32_e32 v72, 0x80000000, v74
	s_delay_alu instid0(VALU_DEP_2) | instskip(NEXT) | instid1(VALU_DEP_1)
	v_lshlrev_b32_e32 v62, 20, v62
	v_or3_b32 v62, v72, v63, v62
.LBB6_11617:                            ;   in Loop: Header=BB6_10858 Depth=3
	s_or_b32 exec_lo, exec_lo, s17
	v_and_b32_e32 v72, 0xff, v60
	s_mov_b32 s13, 0
	s_mov_b32 s31, exec_lo
                                        ; implicit-def: $sgpr17
	s_delay_alu instid0(VALU_DEP_1)
	v_cmpx_lt_i16_e32 0x7f, v72
	s_xor_b32 s31, exec_lo, s31
	s_cbranch_execnz .LBB6_13132
; %bb.11618:                            ;   in Loop: Header=BB6_10858 Depth=3
	s_or_saveexec_b32 s31, s31
	v_mov_b32_e32 v63, s17
	s_xor_b32 exec_lo, exec_lo, s31
	s_cbranch_execnz .LBB6_13135
.LBB6_11619:                            ;   in Loop: Header=BB6_10858 Depth=3
	s_or_b32 exec_lo, exec_lo, s31
	s_and_saveexec_b32 s17, s13
	s_cbranch_execz .LBB6_11621
.LBB6_11620:                            ;   in Loop: Header=BB6_10858 Depth=3
	v_bfe_u32 v63, v26, 16, 3
	v_bfe_u32 v74, v26, 19, 4
	v_lshlrev_b32_e32 v75, 24, v60
	s_delay_alu instid0(VALU_DEP_3) | instskip(NEXT) | instid1(VALU_DEP_3)
	v_clz_i32_u32_e32 v72, v63
	v_cmp_eq_u32_e32 vcc_lo, 0, v74
	s_delay_alu instid0(VALU_DEP_2) | instskip(NEXT) | instid1(VALU_DEP_1)
	v_min_u32_e32 v72, 32, v72
	v_subrev_nc_u32_e32 v73, 28, v72
	v_sub_nc_u32_e32 v72, 29, v72
	s_delay_alu instid0(VALU_DEP_2) | instskip(NEXT) | instid1(VALU_DEP_1)
	v_lshlrev_b32_e32 v73, v73, v60
	v_dual_cndmask_b32 v72, v74, v72 :: v_dual_and_b32 v73, 7, v73
	s_delay_alu instid0(VALU_DEP_1) | instskip(NEXT) | instid1(VALU_DEP_2)
	v_lshl_add_u32 v72, v72, 23, 0x3b800000
	v_cndmask_b32_e32 v63, v63, v73, vcc_lo
	v_and_b32_e32 v73, 0x80000000, v75
	s_delay_alu instid0(VALU_DEP_2) | instskip(NEXT) | instid1(VALU_DEP_1)
	v_lshlrev_b32_e32 v63, 20, v63
	v_or3_b32 v63, v73, v72, v63
.LBB6_11621:                            ;   in Loop: Header=BB6_10858 Depth=3
	s_or_b32 exec_lo, exec_lo, s17
	s_delay_alu instid0(VALU_DEP_1) | instskip(SKIP_1) | instid1(VALU_DEP_1)
	v_dual_max_f32 v63, v63, v63 :: v_dual_max_f32 v62, v62, v62
	s_mov_b32 s13, 0
	v_max_f32_e32 v62, v62, v63
	s_branch .LBB6_11623
.LBB6_11622:                            ;   in Loop: Header=BB6_10858 Depth=3
	s_mov_b32 s13, -1
                                        ; implicit-def: $vgpr62
.LBB6_11623:                            ;   in Loop: Header=BB6_10858 Depth=3
	s_delay_alu instid0(SALU_CYCLE_1)
	s_and_b32 vcc_lo, exec_lo, s13
	s_cbranch_vccz .LBB6_11633
; %bb.11624:                            ;   in Loop: Header=BB6_10858 Depth=3
	v_and_b32_e32 v63, 0xff, v61
	s_mov_b32 s13, 0
	s_mov_b32 s31, exec_lo
                                        ; implicit-def: $sgpr17
	s_delay_alu instid0(VALU_DEP_1)
	v_cmpx_lt_i16_e32 0x7f, v63
	s_xor_b32 s31, exec_lo, s31
	s_cbranch_execnz .LBB6_13136
; %bb.11625:                            ;   in Loop: Header=BB6_10858 Depth=3
	s_or_saveexec_b32 s31, s31
	v_mov_b32_e32 v62, s17
	s_xor_b32 exec_lo, exec_lo, s31
	s_cbranch_execnz .LBB6_13139
.LBB6_11626:                            ;   in Loop: Header=BB6_10858 Depth=3
	s_or_b32 exec_lo, exec_lo, s31
	s_and_saveexec_b32 s17, s13
	s_cbranch_execz .LBB6_11628
.LBB6_11627:                            ;   in Loop: Header=BB6_10858 Depth=3
	v_bfe_u32 v62, v34, 16, 3
	v_bfe_u32 v73, v34, 19, 4
	s_delay_alu instid0(VALU_DEP_2) | instskip(NEXT) | instid1(VALU_DEP_2)
	v_clz_i32_u32_e32 v63, v62
	v_cmp_eq_u32_e32 vcc_lo, 0, v73
	s_delay_alu instid0(VALU_DEP_2) | instskip(NEXT) | instid1(VALU_DEP_1)
	v_min_u32_e32 v63, 32, v63
	v_subrev_nc_u32_e32 v72, 28, v63
	v_sub_nc_u32_e32 v63, 29, v63
	s_delay_alu instid0(VALU_DEP_1) | instskip(NEXT) | instid1(VALU_DEP_1)
	v_dual_cndmask_b32 v63, v73, v63 :: v_dual_lshlrev_b32 v72, v72, v61
	v_and_b32_e32 v72, 7, v72
	v_lshlrev_b32_e32 v61, 24, v61
	s_delay_alu instid0(VALU_DEP_3) | instskip(NEXT) | instid1(VALU_DEP_2)
	v_lshl_add_u32 v63, v63, 23, 0x3b800000
	v_dual_cndmask_b32 v62, v62, v72 :: v_dual_and_b32 v61, 0x80000000, v61
	s_delay_alu instid0(VALU_DEP_1) | instskip(NEXT) | instid1(VALU_DEP_1)
	v_lshlrev_b32_e32 v62, 20, v62
	v_or3_b32 v62, v61, v63, v62
.LBB6_11628:                            ;   in Loop: Header=BB6_10858 Depth=3
	s_or_b32 exec_lo, exec_lo, s17
	v_and_b32_e32 v63, 0xff, v60
	s_mov_b32 s13, 0
	s_mov_b32 s31, exec_lo
                                        ; implicit-def: $sgpr17
	s_delay_alu instid0(VALU_DEP_1)
	v_cmpx_lt_i16_e32 0x7f, v63
	s_xor_b32 s31, exec_lo, s31
	s_cbranch_execnz .LBB6_13140
; %bb.11629:                            ;   in Loop: Header=BB6_10858 Depth=3
	s_or_saveexec_b32 s31, s31
	v_mov_b32_e32 v61, s17
	s_xor_b32 exec_lo, exec_lo, s31
	s_cbranch_execnz .LBB6_13143
.LBB6_11630:                            ;   in Loop: Header=BB6_10858 Depth=3
	s_or_b32 exec_lo, exec_lo, s31
	s_and_saveexec_b32 s17, s13
	s_cbranch_execz .LBB6_11632
.LBB6_11631:                            ;   in Loop: Header=BB6_10858 Depth=3
	v_bfe_u32 v61, v26, 16, 3
	v_bfe_u32 v73, v26, 19, 4
	s_delay_alu instid0(VALU_DEP_2) | instskip(NEXT) | instid1(VALU_DEP_2)
	v_clz_i32_u32_e32 v63, v61
	v_cmp_eq_u32_e32 vcc_lo, 0, v73
	s_delay_alu instid0(VALU_DEP_2) | instskip(NEXT) | instid1(VALU_DEP_1)
	v_min_u32_e32 v63, 32, v63
	v_subrev_nc_u32_e32 v72, 28, v63
	v_sub_nc_u32_e32 v63, 29, v63
	s_delay_alu instid0(VALU_DEP_1) | instskip(SKIP_1) | instid1(VALU_DEP_2)
	v_dual_cndmask_b32 v63, v73, v63 :: v_dual_lshlrev_b32 v72, v72, v60
	v_lshlrev_b32_e32 v60, 24, v60
	v_and_b32_e32 v72, 7, v72
	s_delay_alu instid0(VALU_DEP_3) | instskip(NEXT) | instid1(VALU_DEP_3)
	v_lshl_add_u32 v63, v63, 23, 0x3b800000
	v_and_b32_e32 v60, 0x80000000, v60
	s_delay_alu instid0(VALU_DEP_3) | instskip(NEXT) | instid1(VALU_DEP_1)
	v_cndmask_b32_e32 v61, v61, v72, vcc_lo
	v_lshlrev_b32_e32 v61, 20, v61
	s_delay_alu instid0(VALU_DEP_1)
	v_or3_b32 v61, v60, v63, v61
.LBB6_11632:                            ;   in Loop: Header=BB6_10858 Depth=3
	s_or_b32 exec_lo, exec_lo, s17
	s_delay_alu instid0(VALU_DEP_1) | instskip(NEXT) | instid1(VALU_DEP_1)
	v_dual_max_f32 v60, v61, v61 :: v_dual_max_f32 v61, v62, v62
	v_min_f32_e32 v62, v61, v60
.LBB6_11633:                            ;   in Loop: Header=BB6_10858 Depth=3
	s_delay_alu instid0(VALU_DEP_1) | instskip(NEXT) | instid1(VALU_DEP_1)
	v_and_b32_e32 v60, 0x7f800000, v62
	v_cmp_ne_u32_e32 vcc_lo, 0x7f800000, v60
	v_mov_b32_e32 v60, 0x80
	s_and_saveexec_b32 s17, vcc_lo
	s_cbranch_execz .LBB6_11641
; %bb.11634:                            ;   in Loop: Header=BB6_10858 Depth=3
	v_mov_b32_e32 v60, 0
	s_mov_b32 s31, exec_lo
	v_cmpx_ne_u32_e32 0, v62
	s_cbranch_execz .LBB6_11640
; %bb.11635:                            ;   in Loop: Header=BB6_10858 Depth=3
	v_bfe_u32 v60, v62, 23, 8
	v_and_b32_e32 v61, 0x7fffff, v62
	s_delay_alu instid0(VALU_DEP_2) | instskip(SKIP_1) | instid1(VALU_DEP_3)
	v_sub_nc_u32_e32 v63, 0x78, v60
	v_cmp_gt_u32_e32 vcc_lo, 0x79, v60
	v_or_b32_e32 v72, 0x800000, v61
	s_delay_alu instid0(VALU_DEP_3) | instskip(SKIP_2) | instid1(VALU_DEP_3)
	v_cndmask_b32_e32 v63, 0, v63, vcc_lo
	v_cmp_eq_u32_e32 vcc_lo, 0, v60
	v_add_nc_u32_e32 v60, 0xffffff89, v60
	v_cndmask_b32_e64 v63, v63, 0x77, vcc_lo
	v_cndmask_b32_e32 v61, v72, v61, vcc_lo
	s_delay_alu instid0(VALU_DEP_3) | instskip(NEXT) | instid1(VALU_DEP_3)
	v_cndmask_b32_e64 v60, v60, 0xffffff8a, vcc_lo
	v_lshl_add_u32 v72, 0x100000, v63, -1
	s_delay_alu instid0(VALU_DEP_3) | instskip(SKIP_1) | instid1(VALU_DEP_4)
	v_lshrrev_b32_e32 v73, v63, v61
	v_lshlrev_b32_e64 v75, v63, 0x80000
	v_add_nc_u32_e32 v63, v63, v60
	s_delay_alu instid0(VALU_DEP_4) | instskip(NEXT) | instid1(VALU_DEP_4)
	v_and_b32_e32 v61, v72, v61
	v_bfe_u32 v74, v73, 20, 1
	s_delay_alu instid0(VALU_DEP_2) | instskip(NEXT) | instid1(VALU_DEP_2)
	v_cmp_eq_u32_e64 s13, v61, v75
	v_add_nc_u32_e32 v72, -1, v74
	s_delay_alu instid0(VALU_DEP_1) | instskip(SKIP_2) | instid1(VALU_DEP_2)
	v_cndmask_b32_e64 v61, 0, v72, s13
	v_lshrrev_b32_e32 v72, 23, v73
	s_mov_b32 s13, exec_lo
	v_add_nc_u32_e32 v61, v61, v73
	s_delay_alu instid0(VALU_DEP_2) | instskip(NEXT) | instid1(VALU_DEP_2)
	v_xor_b32_e32 v72, 1, v72
	v_and_b32_e32 v60, 0xfffff, v61
	s_delay_alu instid0(VALU_DEP_1) | instskip(NEXT) | instid1(VALU_DEP_3)
	v_add_nc_u32_e32 v61, v60, v73
                                        ; implicit-def: $vgpr60
	v_cmpx_ne_u32_e64 v63, v72
	s_xor_b32 s13, exec_lo, s13
; %bb.11636:                            ;   in Loop: Header=BB6_10858 Depth=3
	s_delay_alu instid0(VALU_DEP_2) | instskip(SKIP_2) | instid1(VALU_DEP_2)
	v_cmp_lt_u32_e32 vcc_lo, 0xffffff, v61
	v_sub_nc_u32_e32 v60, v63, v72
	v_cndmask_b32_e64 v63, 0, 1, vcc_lo
	v_add_co_ci_u32_e32 v60, vcc_lo, 0, v60, vcc_lo
	s_delay_alu instid0(VALU_DEP_2)
	v_lshrrev_b32_e32 v61, v63, v61
; %bb.11637:                            ;   in Loop: Header=BB6_10858 Depth=3
	s_and_not1_saveexec_b32 s13, s13
; %bb.11638:                            ;   in Loop: Header=BB6_10858 Depth=3
	s_delay_alu instid0(VALU_DEP_1)
	v_bfe_u32 v60, v61, 23, 1
; %bb.11639:                            ;   in Loop: Header=BB6_10858 Depth=3
	s_or_b32 exec_lo, exec_lo, s13
	v_lshrrev_b32_e32 v61, 20, v61
	s_delay_alu instid0(VALU_DEP_2) | instskip(SKIP_2) | instid1(VALU_DEP_2)
	v_cmp_gt_i32_e32 vcc_lo, 16, v60
	v_lshrrev_b32_e32 v62, 24, v62
	v_min_i32_e32 v63, 15, v60
	v_dual_cndmask_b32 v61, 7, v61 :: v_dual_and_b32 v62, 0x80, v62
	s_delay_alu instid0(VALU_DEP_1) | instskip(SKIP_1) | instid1(VALU_DEP_2)
	v_or_b32_e32 v60, v60, v61
	v_and_b32_e32 v72, 7, v61
	v_cmp_ne_u32_e32 vcc_lo, 0, v60
	v_lshlrev_b32_e32 v63, 3, v63
	s_delay_alu instid0(VALU_DEP_1) | instskip(NEXT) | instid1(VALU_DEP_1)
	v_or3_b32 v61, v63, v62, v72
	v_cndmask_b32_e32 v60, 0, v61, vcc_lo
.LBB6_11640:                            ;   in Loop: Header=BB6_10858 Depth=3
	s_or_b32 exec_lo, exec_lo, s31
.LBB6_11641:                            ;   in Loop: Header=BB6_10858 Depth=3
	s_delay_alu instid0(SALU_CYCLE_1)
	s_or_b32 exec_lo, exec_lo, s17
	v_lshrrev_b32_e32 v62, 24, v34
	v_lshrrev_b32_e32 v61, 24, v26
	s_and_not1_b32 vcc_lo, exec_lo, s16
	s_cbranch_vccnz .LBB6_11651
; %bb.11642:                            ;   in Loop: Header=BB6_10858 Depth=3
	s_mov_b32 s13, 0
	s_mov_b32 s31, exec_lo
                                        ; implicit-def: $sgpr17
	v_cmpx_lt_i16_e32 0x7f, v62
	s_xor_b32 s31, exec_lo, s31
	s_cbranch_execnz .LBB6_13144
; %bb.11643:                            ;   in Loop: Header=BB6_10858 Depth=3
	s_or_saveexec_b32 s31, s31
	v_mov_b32_e32 v63, s17
	s_xor_b32 exec_lo, exec_lo, s31
	s_cbranch_execnz .LBB6_13147
.LBB6_11644:                            ;   in Loop: Header=BB6_10858 Depth=3
	s_or_b32 exec_lo, exec_lo, s31
	s_and_saveexec_b32 s17, s13
	s_cbranch_execz .LBB6_11646
.LBB6_11645:                            ;   in Loop: Header=BB6_10858 Depth=3
	v_bfe_u32 v63, v34, 24, 3
	v_bfe_u32 v74, v34, 27, 4
	s_delay_alu instid0(VALU_DEP_2) | instskip(NEXT) | instid1(VALU_DEP_2)
	v_clz_i32_u32_e32 v72, v63
	v_cmp_eq_u32_e32 vcc_lo, 0, v74
	s_delay_alu instid0(VALU_DEP_2) | instskip(NEXT) | instid1(VALU_DEP_1)
	v_min_u32_e32 v72, 32, v72
	v_subrev_nc_u32_e32 v73, 28, v72
	v_sub_nc_u32_e32 v72, 29, v72
	s_delay_alu instid0(VALU_DEP_1) | instskip(NEXT) | instid1(VALU_DEP_1)
	v_dual_cndmask_b32 v72, v74, v72 :: v_dual_lshlrev_b32 v73, v73, v62
	v_and_b32_e32 v73, 7, v73
	s_delay_alu instid0(VALU_DEP_2) | instskip(NEXT) | instid1(VALU_DEP_2)
	v_lshl_add_u32 v72, v72, 23, 0x3b800000
	v_cndmask_b32_e32 v63, v63, v73, vcc_lo
	v_and_b32_e32 v73, 0x80000000, v34
	s_delay_alu instid0(VALU_DEP_2) | instskip(NEXT) | instid1(VALU_DEP_1)
	v_lshlrev_b32_e32 v63, 20, v63
	v_or3_b32 v63, v73, v72, v63
.LBB6_11646:                            ;   in Loop: Header=BB6_10858 Depth=3
	s_or_b32 exec_lo, exec_lo, s17
	s_mov_b32 s13, 0
	s_mov_b32 s31, exec_lo
                                        ; implicit-def: $sgpr17
	v_cmpx_lt_i16_e32 0x7f, v61
	s_xor_b32 s31, exec_lo, s31
	s_cbranch_execnz .LBB6_13148
; %bb.11647:                            ;   in Loop: Header=BB6_10858 Depth=3
	s_or_saveexec_b32 s31, s31
	v_mov_b32_e32 v72, s17
	s_xor_b32 exec_lo, exec_lo, s31
	s_cbranch_execnz .LBB6_13151
.LBB6_11648:                            ;   in Loop: Header=BB6_10858 Depth=3
	s_or_b32 exec_lo, exec_lo, s31
	s_and_saveexec_b32 s17, s13
	s_cbranch_execz .LBB6_11650
.LBB6_11649:                            ;   in Loop: Header=BB6_10858 Depth=3
	v_bfe_u32 v72, v26, 24, 3
	v_bfe_u32 v75, v26, 27, 4
	s_delay_alu instid0(VALU_DEP_2) | instskip(NEXT) | instid1(VALU_DEP_2)
	v_clz_i32_u32_e32 v73, v72
	v_cmp_eq_u32_e32 vcc_lo, 0, v75
	s_delay_alu instid0(VALU_DEP_2) | instskip(NEXT) | instid1(VALU_DEP_1)
	v_min_u32_e32 v73, 32, v73
	v_subrev_nc_u32_e32 v74, 28, v73
	v_sub_nc_u32_e32 v73, 29, v73
	s_delay_alu instid0(VALU_DEP_2) | instskip(NEXT) | instid1(VALU_DEP_1)
	v_lshlrev_b32_e32 v74, v74, v61
	v_dual_cndmask_b32 v73, v75, v73 :: v_dual_and_b32 v74, 7, v74
	s_delay_alu instid0(VALU_DEP_1) | instskip(NEXT) | instid1(VALU_DEP_2)
	v_lshl_add_u32 v73, v73, 23, 0x3b800000
	v_cndmask_b32_e32 v72, v72, v74, vcc_lo
	v_and_b32_e32 v74, 0x80000000, v26
	s_delay_alu instid0(VALU_DEP_2) | instskip(NEXT) | instid1(VALU_DEP_1)
	v_lshlrev_b32_e32 v72, 20, v72
	v_or3_b32 v72, v74, v73, v72
.LBB6_11650:                            ;   in Loop: Header=BB6_10858 Depth=3
	s_or_b32 exec_lo, exec_lo, s17
	s_delay_alu instid0(VALU_DEP_1) | instskip(SKIP_1) | instid1(VALU_DEP_1)
	v_dual_max_f32 v72, v72, v72 :: v_dual_max_f32 v63, v63, v63
	s_mov_b32 s13, 0
	v_max_f32_e32 v63, v63, v72
	s_branch .LBB6_11652
.LBB6_11651:                            ;   in Loop: Header=BB6_10858 Depth=3
	s_mov_b32 s13, -1
                                        ; implicit-def: $vgpr63
.LBB6_11652:                            ;   in Loop: Header=BB6_10858 Depth=3
	s_delay_alu instid0(SALU_CYCLE_1)
	s_and_b32 vcc_lo, exec_lo, s13
	s_cbranch_vccz .LBB6_11662
; %bb.11653:                            ;   in Loop: Header=BB6_10858 Depth=3
	s_mov_b32 s13, 0
	s_mov_b32 s31, exec_lo
                                        ; implicit-def: $sgpr17
	v_cmpx_lt_i16_e32 0x7f, v62
	s_xor_b32 s31, exec_lo, s31
	s_cbranch_execnz .LBB6_13152
; %bb.11654:                            ;   in Loop: Header=BB6_10858 Depth=3
	s_or_saveexec_b32 s31, s31
	v_mov_b32_e32 v63, s17
	s_xor_b32 exec_lo, exec_lo, s31
	s_cbranch_execnz .LBB6_13155
.LBB6_11655:                            ;   in Loop: Header=BB6_10858 Depth=3
	s_or_b32 exec_lo, exec_lo, s31
	s_and_saveexec_b32 s17, s13
	s_cbranch_execz .LBB6_11657
.LBB6_11656:                            ;   in Loop: Header=BB6_10858 Depth=3
	v_bfe_u32 v63, v34, 24, 3
	s_delay_alu instid0(VALU_DEP_1) | instskip(NEXT) | instid1(VALU_DEP_1)
	v_clz_i32_u32_e32 v72, v63
	v_min_u32_e32 v72, 32, v72
	s_delay_alu instid0(VALU_DEP_1) | instskip(SKIP_1) | instid1(VALU_DEP_2)
	v_subrev_nc_u32_e32 v73, 28, v72
	v_sub_nc_u32_e32 v72, 29, v72
	v_lshlrev_b32_e32 v62, v73, v62
	v_bfe_u32 v73, v34, 27, 4
	v_and_b32_e32 v34, 0x80000000, v34
	s_delay_alu instid0(VALU_DEP_3) | instskip(NEXT) | instid1(VALU_DEP_3)
	v_and_b32_e32 v62, 7, v62
	v_cmp_eq_u32_e32 vcc_lo, 0, v73
	v_cndmask_b32_e32 v72, v73, v72, vcc_lo
	s_delay_alu instid0(VALU_DEP_3) | instskip(NEXT) | instid1(VALU_DEP_2)
	v_cndmask_b32_e32 v62, v63, v62, vcc_lo
	v_lshl_add_u32 v63, v72, 23, 0x3b800000
	s_delay_alu instid0(VALU_DEP_2) | instskip(NEXT) | instid1(VALU_DEP_1)
	v_lshlrev_b32_e32 v62, 20, v62
	v_or3_b32 v63, v34, v63, v62
.LBB6_11657:                            ;   in Loop: Header=BB6_10858 Depth=3
	s_or_b32 exec_lo, exec_lo, s17
	s_mov_b32 s13, 0
	s_mov_b32 s31, exec_lo
                                        ; implicit-def: $sgpr17
	v_cmpx_lt_i16_e32 0x7f, v61
	s_xor_b32 s31, exec_lo, s31
	s_cbranch_execnz .LBB6_13156
; %bb.11658:                            ;   in Loop: Header=BB6_10858 Depth=3
	s_or_saveexec_b32 s31, s31
	v_mov_b32_e32 v34, s17
	s_xor_b32 exec_lo, exec_lo, s31
	s_cbranch_execnz .LBB6_13159
.LBB6_11659:                            ;   in Loop: Header=BB6_10858 Depth=3
	s_or_b32 exec_lo, exec_lo, s31
	s_and_saveexec_b32 s17, s13
	s_cbranch_execz .LBB6_11661
.LBB6_11660:                            ;   in Loop: Header=BB6_10858 Depth=3
	v_bfe_u32 v34, v26, 24, 3
	s_delay_alu instid0(VALU_DEP_1) | instskip(NEXT) | instid1(VALU_DEP_1)
	v_clz_i32_u32_e32 v62, v34
	v_min_u32_e32 v62, 32, v62
	s_delay_alu instid0(VALU_DEP_1) | instskip(SKIP_1) | instid1(VALU_DEP_2)
	v_subrev_nc_u32_e32 v72, 28, v62
	v_sub_nc_u32_e32 v62, 29, v62
	v_lshlrev_b32_e32 v61, v72, v61
	v_bfe_u32 v72, v26, 27, 4
	v_and_b32_e32 v26, 0x80000000, v26
	s_delay_alu instid0(VALU_DEP_2) | instskip(NEXT) | instid1(VALU_DEP_4)
	v_cmp_eq_u32_e32 vcc_lo, 0, v72
	v_dual_cndmask_b32 v62, v72, v62 :: v_dual_and_b32 v61, 7, v61
	s_delay_alu instid0(VALU_DEP_1) | instskip(NEXT) | instid1(VALU_DEP_2)
	v_cndmask_b32_e32 v34, v34, v61, vcc_lo
	v_lshl_add_u32 v61, v62, 23, 0x3b800000
	s_delay_alu instid0(VALU_DEP_2) | instskip(NEXT) | instid1(VALU_DEP_1)
	v_lshlrev_b32_e32 v34, 20, v34
	v_or3_b32 v34, v26, v61, v34
.LBB6_11661:                            ;   in Loop: Header=BB6_10858 Depth=3
	s_or_b32 exec_lo, exec_lo, s17
	s_delay_alu instid0(VALU_DEP_1) | instskip(SKIP_1) | instid1(VALU_DEP_1)
	v_max_f32_e32 v26, v34, v34
	v_max_f32_e32 v34, v63, v63
	v_min_f32_e32 v63, v34, v26
.LBB6_11662:                            ;   in Loop: Header=BB6_10858 Depth=3
	s_delay_alu instid0(VALU_DEP_1) | instskip(NEXT) | instid1(VALU_DEP_1)
	v_and_b32_e32 v26, 0x7f800000, v63
	v_cmp_ne_u32_e32 vcc_lo, 0x7f800000, v26
	v_mov_b32_e32 v26, 0x80
	s_and_saveexec_b32 s17, vcc_lo
	s_cbranch_execz .LBB6_11670
; %bb.11663:                            ;   in Loop: Header=BB6_10858 Depth=3
	v_mov_b32_e32 v26, 0
	s_mov_b32 s31, exec_lo
	v_cmpx_ne_u32_e32 0, v63
	s_cbranch_execz .LBB6_11669
; %bb.11664:                            ;   in Loop: Header=BB6_10858 Depth=3
	v_bfe_u32 v26, v63, 23, 8
	s_delay_alu instid0(VALU_DEP_1) | instskip(SKIP_1) | instid1(VALU_DEP_2)
	v_sub_nc_u32_e32 v61, 0x78, v26
	v_cmp_gt_u32_e32 vcc_lo, 0x79, v26
	v_dual_cndmask_b32 v61, 0, v61 :: v_dual_and_b32 v34, 0x7fffff, v63
	s_delay_alu instid0(VALU_DEP_1) | instskip(SKIP_2) | instid1(VALU_DEP_4)
	v_or_b32_e32 v62, 0x800000, v34
	v_cmp_eq_u32_e32 vcc_lo, 0, v26
	v_add_nc_u32_e32 v26, 0xffffff89, v26
	v_cndmask_b32_e64 v61, v61, 0x77, vcc_lo
	s_delay_alu instid0(VALU_DEP_4) | instskip(NEXT) | instid1(VALU_DEP_3)
	v_cndmask_b32_e32 v34, v62, v34, vcc_lo
	v_cndmask_b32_e64 v26, v26, 0xffffff8a, vcc_lo
	s_delay_alu instid0(VALU_DEP_3) | instskip(NEXT) | instid1(VALU_DEP_3)
	v_lshl_add_u32 v62, 0x100000, v61, -1
	v_lshrrev_b32_e32 v72, v61, v34
	v_lshlrev_b32_e64 v74, v61, 0x80000
	s_delay_alu instid0(VALU_DEP_4) | instskip(NEXT) | instid1(VALU_DEP_4)
	v_add_nc_u32_e32 v61, v61, v26
	v_and_b32_e32 v34, v62, v34
	s_delay_alu instid0(VALU_DEP_4) | instskip(NEXT) | instid1(VALU_DEP_2)
	v_bfe_u32 v73, v72, 20, 1
	v_cmp_eq_u32_e64 s13, v34, v74
	s_delay_alu instid0(VALU_DEP_2) | instskip(NEXT) | instid1(VALU_DEP_1)
	v_add_nc_u32_e32 v62, -1, v73
	v_cndmask_b32_e64 v34, 0, v62, s13
	v_lshrrev_b32_e32 v62, 23, v72
	s_mov_b32 s13, exec_lo
	s_delay_alu instid0(VALU_DEP_2) | instskip(NEXT) | instid1(VALU_DEP_2)
	v_add_nc_u32_e32 v34, v34, v72
	v_xor_b32_e32 v62, 1, v62
	s_delay_alu instid0(VALU_DEP_2) | instskip(NEXT) | instid1(VALU_DEP_1)
	v_and_b32_e32 v26, 0xfffff, v34
	v_add_nc_u32_e32 v34, v26, v72
                                        ; implicit-def: $vgpr26
	s_delay_alu instid0(VALU_DEP_3)
	v_cmpx_ne_u32_e64 v61, v62
	s_xor_b32 s13, exec_lo, s13
; %bb.11665:                            ;   in Loop: Header=BB6_10858 Depth=3
	s_delay_alu instid0(VALU_DEP_2) | instskip(SKIP_2) | instid1(VALU_DEP_2)
	v_cmp_lt_u32_e32 vcc_lo, 0xffffff, v34
	v_sub_nc_u32_e32 v26, v61, v62
	v_cndmask_b32_e64 v61, 0, 1, vcc_lo
	v_add_co_ci_u32_e32 v26, vcc_lo, 0, v26, vcc_lo
	s_delay_alu instid0(VALU_DEP_2)
	v_lshrrev_b32_e32 v34, v61, v34
; %bb.11666:                            ;   in Loop: Header=BB6_10858 Depth=3
	s_and_not1_saveexec_b32 s13, s13
; %bb.11667:                            ;   in Loop: Header=BB6_10858 Depth=3
	s_delay_alu instid0(VALU_DEP_1)
	v_bfe_u32 v26, v34, 23, 1
; %bb.11668:                            ;   in Loop: Header=BB6_10858 Depth=3
	s_or_b32 exec_lo, exec_lo, s13
	v_lshrrev_b32_e32 v34, 20, v34
	s_delay_alu instid0(VALU_DEP_2) | instskip(SKIP_2) | instid1(VALU_DEP_2)
	v_cmp_gt_i32_e32 vcc_lo, 16, v26
	v_lshrrev_b32_e32 v61, 24, v63
	v_min_i32_e32 v62, 15, v26
	v_dual_cndmask_b32 v34, 7, v34 :: v_dual_and_b32 v61, 0x80, v61
	s_delay_alu instid0(VALU_DEP_2) | instskip(NEXT) | instid1(VALU_DEP_2)
	v_lshlrev_b32_e32 v62, 3, v62
	v_and_b32_e32 v63, 7, v34
	v_or_b32_e32 v26, v26, v34
	s_delay_alu instid0(VALU_DEP_2) | instskip(NEXT) | instid1(VALU_DEP_2)
	v_or3_b32 v34, v62, v61, v63
	v_cmp_ne_u32_e32 vcc_lo, 0, v26
	s_delay_alu instid0(VALU_DEP_2)
	v_cndmask_b32_e32 v26, 0, v34, vcc_lo
.LBB6_11669:                            ;   in Loop: Header=BB6_10858 Depth=3
	s_or_b32 exec_lo, exec_lo, s31
.LBB6_11670:                            ;   in Loop: Header=BB6_10858 Depth=3
	s_delay_alu instid0(SALU_CYCLE_1) | instskip(NEXT) | instid1(SALU_CYCLE_1)
	s_or_b32 exec_lo, exec_lo, s17
	s_and_not1_b32 vcc_lo, exec_lo, s16
	s_cbranch_vccnz .LBB6_11680
; %bb.11671:                            ;   in Loop: Header=BB6_10858 Depth=3
	v_and_b32_e32 v61, 0xff, v35
	s_mov_b32 s13, 0
	s_mov_b32 s31, exec_lo
                                        ; implicit-def: $sgpr17
	s_delay_alu instid0(VALU_DEP_1)
	v_cmpx_lt_i16_e32 0x7f, v61
	s_xor_b32 s31, exec_lo, s31
	s_cbranch_execnz .LBB6_13160
; %bb.11672:                            ;   in Loop: Header=BB6_10858 Depth=3
	s_or_saveexec_b32 s31, s31
	v_mov_b32_e32 v34, s17
	s_xor_b32 exec_lo, exec_lo, s31
	s_cbranch_execnz .LBB6_13163
.LBB6_11673:                            ;   in Loop: Header=BB6_10858 Depth=3
	s_or_b32 exec_lo, exec_lo, s31
	s_and_saveexec_b32 s17, s13
	s_cbranch_execz .LBB6_11675
.LBB6_11674:                            ;   in Loop: Header=BB6_10858 Depth=3
	v_bfe_u32 v63, v35, 3, 4
	v_lshlrev_b32_e32 v72, 24, v35
	s_delay_alu instid0(VALU_DEP_2) | instskip(SKIP_1) | instid1(VALU_DEP_1)
	v_cmp_eq_u32_e32 vcc_lo, 0, v63
	v_and_b32_e32 v34, 7, v35
	v_clz_i32_u32_e32 v61, v34
	s_delay_alu instid0(VALU_DEP_1) | instskip(NEXT) | instid1(VALU_DEP_1)
	v_min_u32_e32 v61, 32, v61
	v_subrev_nc_u32_e32 v62, 28, v61
	v_sub_nc_u32_e32 v61, 29, v61
	s_delay_alu instid0(VALU_DEP_1) | instskip(NEXT) | instid1(VALU_DEP_1)
	v_dual_cndmask_b32 v61, v63, v61 :: v_dual_lshlrev_b32 v62, v62, v35
	v_and_b32_e32 v62, 7, v62
	s_delay_alu instid0(VALU_DEP_2) | instskip(NEXT) | instid1(VALU_DEP_2)
	v_lshl_add_u32 v61, v61, 23, 0x3b800000
	v_cndmask_b32_e32 v34, v34, v62, vcc_lo
	v_and_b32_e32 v62, 0x80000000, v72
	s_delay_alu instid0(VALU_DEP_2) | instskip(NEXT) | instid1(VALU_DEP_1)
	v_lshlrev_b32_e32 v34, 20, v34
	v_or3_b32 v34, v62, v61, v34
.LBB6_11675:                            ;   in Loop: Header=BB6_10858 Depth=3
	s_or_b32 exec_lo, exec_lo, s17
	v_and_b32_e32 v62, 0xff, v27
	s_mov_b32 s13, 0
	s_mov_b32 s31, exec_lo
                                        ; implicit-def: $sgpr17
	s_delay_alu instid0(VALU_DEP_1)
	v_cmpx_lt_i16_e32 0x7f, v62
	s_xor_b32 s31, exec_lo, s31
	s_cbranch_execnz .LBB6_13164
; %bb.11676:                            ;   in Loop: Header=BB6_10858 Depth=3
	s_or_saveexec_b32 s31, s31
	v_mov_b32_e32 v61, s17
	s_xor_b32 exec_lo, exec_lo, s31
	s_cbranch_execnz .LBB6_13167
.LBB6_11677:                            ;   in Loop: Header=BB6_10858 Depth=3
	s_or_b32 exec_lo, exec_lo, s31
	s_and_saveexec_b32 s17, s13
	s_cbranch_execz .LBB6_11679
.LBB6_11678:                            ;   in Loop: Header=BB6_10858 Depth=3
	v_bfe_u32 v72, v27, 3, 4
	v_lshlrev_b32_e32 v73, 24, v27
	s_delay_alu instid0(VALU_DEP_2) | instskip(SKIP_1) | instid1(VALU_DEP_1)
	v_cmp_eq_u32_e32 vcc_lo, 0, v72
	v_and_b32_e32 v61, 7, v27
	v_clz_i32_u32_e32 v62, v61
	s_delay_alu instid0(VALU_DEP_1) | instskip(NEXT) | instid1(VALU_DEP_1)
	v_min_u32_e32 v62, 32, v62
	v_subrev_nc_u32_e32 v63, 28, v62
	v_sub_nc_u32_e32 v62, 29, v62
	s_delay_alu instid0(VALU_DEP_1) | instskip(NEXT) | instid1(VALU_DEP_1)
	v_dual_cndmask_b32 v62, v72, v62 :: v_dual_lshlrev_b32 v63, v63, v27
	v_and_b32_e32 v63, 7, v63
	s_delay_alu instid0(VALU_DEP_2) | instskip(NEXT) | instid1(VALU_DEP_2)
	v_lshl_add_u32 v62, v62, 23, 0x3b800000
	v_cndmask_b32_e32 v61, v61, v63, vcc_lo
	v_and_b32_e32 v63, 0x80000000, v73
	s_delay_alu instid0(VALU_DEP_2) | instskip(NEXT) | instid1(VALU_DEP_1)
	v_lshlrev_b32_e32 v61, 20, v61
	v_or3_b32 v61, v63, v62, v61
.LBB6_11679:                            ;   in Loop: Header=BB6_10858 Depth=3
	s_or_b32 exec_lo, exec_lo, s17
	s_delay_alu instid0(VALU_DEP_1) | instskip(SKIP_1) | instid1(VALU_DEP_1)
	v_dual_max_f32 v61, v61, v61 :: v_dual_max_f32 v34, v34, v34
	s_mov_b32 s13, 0
	v_max_f32_e32 v61, v34, v61
	s_branch .LBB6_11681
.LBB6_11680:                            ;   in Loop: Header=BB6_10858 Depth=3
	s_mov_b32 s13, -1
                                        ; implicit-def: $vgpr61
.LBB6_11681:                            ;   in Loop: Header=BB6_10858 Depth=3
	s_delay_alu instid0(SALU_CYCLE_1)
	s_and_b32 vcc_lo, exec_lo, s13
	s_cbranch_vccz .LBB6_11691
; %bb.11682:                            ;   in Loop: Header=BB6_10858 Depth=3
	v_and_b32_e32 v61, 0xff, v35
	s_mov_b32 s13, 0
	s_mov_b32 s31, exec_lo
                                        ; implicit-def: $sgpr17
	s_delay_alu instid0(VALU_DEP_1)
	v_cmpx_lt_i16_e32 0x7f, v61
	s_xor_b32 s31, exec_lo, s31
	s_cbranch_execnz .LBB6_13168
; %bb.11683:                            ;   in Loop: Header=BB6_10858 Depth=3
	s_or_saveexec_b32 s31, s31
	v_mov_b32_e32 v34, s17
	s_xor_b32 exec_lo, exec_lo, s31
	s_cbranch_execnz .LBB6_13171
.LBB6_11684:                            ;   in Loop: Header=BB6_10858 Depth=3
	s_or_b32 exec_lo, exec_lo, s31
	s_and_saveexec_b32 s17, s13
	s_cbranch_execz .LBB6_11686
.LBB6_11685:                            ;   in Loop: Header=BB6_10858 Depth=3
	v_bfe_u32 v63, v35, 3, 4
	v_lshlrev_b32_e32 v72, 24, v35
	s_delay_alu instid0(VALU_DEP_2) | instskip(SKIP_1) | instid1(VALU_DEP_1)
	v_cmp_eq_u32_e32 vcc_lo, 0, v63
	v_and_b32_e32 v34, 7, v35
	v_clz_i32_u32_e32 v61, v34
	s_delay_alu instid0(VALU_DEP_1) | instskip(NEXT) | instid1(VALU_DEP_1)
	v_min_u32_e32 v61, 32, v61
	v_subrev_nc_u32_e32 v62, 28, v61
	v_sub_nc_u32_e32 v61, 29, v61
	s_delay_alu instid0(VALU_DEP_1) | instskip(NEXT) | instid1(VALU_DEP_1)
	v_dual_cndmask_b32 v61, v63, v61 :: v_dual_lshlrev_b32 v62, v62, v35
	v_and_b32_e32 v62, 7, v62
	s_delay_alu instid0(VALU_DEP_2) | instskip(NEXT) | instid1(VALU_DEP_2)
	v_lshl_add_u32 v61, v61, 23, 0x3b800000
	v_cndmask_b32_e32 v34, v34, v62, vcc_lo
	v_and_b32_e32 v62, 0x80000000, v72
	s_delay_alu instid0(VALU_DEP_2) | instskip(NEXT) | instid1(VALU_DEP_1)
	v_lshlrev_b32_e32 v34, 20, v34
	v_or3_b32 v34, v62, v61, v34
.LBB6_11686:                            ;   in Loop: Header=BB6_10858 Depth=3
	s_or_b32 exec_lo, exec_lo, s17
	v_and_b32_e32 v62, 0xff, v27
	s_mov_b32 s13, 0
	s_mov_b32 s31, exec_lo
                                        ; implicit-def: $sgpr17
	s_delay_alu instid0(VALU_DEP_1)
	v_cmpx_lt_i16_e32 0x7f, v62
	s_xor_b32 s31, exec_lo, s31
	s_cbranch_execnz .LBB6_13172
; %bb.11687:                            ;   in Loop: Header=BB6_10858 Depth=3
	s_or_saveexec_b32 s31, s31
	v_mov_b32_e32 v61, s17
	s_xor_b32 exec_lo, exec_lo, s31
	s_cbranch_execnz .LBB6_13175
.LBB6_11688:                            ;   in Loop: Header=BB6_10858 Depth=3
	s_or_b32 exec_lo, exec_lo, s31
	s_and_saveexec_b32 s17, s13
	s_cbranch_execz .LBB6_11690
.LBB6_11689:                            ;   in Loop: Header=BB6_10858 Depth=3
	v_bfe_u32 v72, v27, 3, 4
	v_lshlrev_b32_e32 v73, 24, v27
	s_delay_alu instid0(VALU_DEP_2) | instskip(SKIP_1) | instid1(VALU_DEP_1)
	v_cmp_eq_u32_e32 vcc_lo, 0, v72
	v_and_b32_e32 v61, 7, v27
	v_clz_i32_u32_e32 v62, v61
	s_delay_alu instid0(VALU_DEP_1) | instskip(NEXT) | instid1(VALU_DEP_1)
	v_min_u32_e32 v62, 32, v62
	v_subrev_nc_u32_e32 v63, 28, v62
	v_sub_nc_u32_e32 v62, 29, v62
	s_delay_alu instid0(VALU_DEP_1) | instskip(NEXT) | instid1(VALU_DEP_1)
	v_dual_cndmask_b32 v62, v72, v62 :: v_dual_lshlrev_b32 v63, v63, v27
	v_and_b32_e32 v63, 7, v63
	s_delay_alu instid0(VALU_DEP_2) | instskip(NEXT) | instid1(VALU_DEP_2)
	v_lshl_add_u32 v62, v62, 23, 0x3b800000
	v_cndmask_b32_e32 v61, v61, v63, vcc_lo
	v_and_b32_e32 v63, 0x80000000, v73
	s_delay_alu instid0(VALU_DEP_2) | instskip(NEXT) | instid1(VALU_DEP_1)
	v_lshlrev_b32_e32 v61, 20, v61
	v_or3_b32 v61, v63, v62, v61
.LBB6_11690:                            ;   in Loop: Header=BB6_10858 Depth=3
	s_or_b32 exec_lo, exec_lo, s17
	s_delay_alu instid0(VALU_DEP_1) | instskip(NEXT) | instid1(VALU_DEP_1)
	v_dual_max_f32 v61, v61, v61 :: v_dual_max_f32 v34, v34, v34
	v_min_f32_e32 v61, v34, v61
.LBB6_11691:                            ;   in Loop: Header=BB6_10858 Depth=3
	s_delay_alu instid0(VALU_DEP_1) | instskip(NEXT) | instid1(VALU_DEP_1)
	v_and_b32_e32 v34, 0x7f800000, v61
	v_cmp_ne_u32_e32 vcc_lo, 0x7f800000, v34
	v_mov_b32_e32 v34, 0x80
	s_and_saveexec_b32 s17, vcc_lo
	s_cbranch_execz .LBB6_11699
; %bb.11692:                            ;   in Loop: Header=BB6_10858 Depth=3
	v_mov_b32_e32 v34, 0
	s_mov_b32 s31, exec_lo
	v_cmpx_ne_u32_e32 0, v61
	s_cbranch_execz .LBB6_11698
; %bb.11693:                            ;   in Loop: Header=BB6_10858 Depth=3
	v_bfe_u32 v34, v61, 23, 8
	s_delay_alu instid0(VALU_DEP_1) | instskip(SKIP_1) | instid1(VALU_DEP_2)
	v_sub_nc_u32_e32 v63, 0x78, v34
	v_cmp_gt_u32_e32 vcc_lo, 0x79, v34
	v_dual_cndmask_b32 v63, 0, v63 :: v_dual_and_b32 v62, 0x7fffff, v61
	s_delay_alu instid0(VALU_DEP_1) | instskip(SKIP_2) | instid1(VALU_DEP_4)
	v_or_b32_e32 v72, 0x800000, v62
	v_cmp_eq_u32_e32 vcc_lo, 0, v34
	v_add_nc_u32_e32 v34, 0xffffff89, v34
	v_cndmask_b32_e64 v63, v63, 0x77, vcc_lo
	s_delay_alu instid0(VALU_DEP_4) | instskip(NEXT) | instid1(VALU_DEP_3)
	v_cndmask_b32_e32 v62, v72, v62, vcc_lo
	v_cndmask_b32_e64 v34, v34, 0xffffff8a, vcc_lo
	s_delay_alu instid0(VALU_DEP_3) | instskip(NEXT) | instid1(VALU_DEP_3)
	v_lshl_add_u32 v72, 0x100000, v63, -1
	v_lshrrev_b32_e32 v73, v63, v62
	v_lshlrev_b32_e64 v75, v63, 0x80000
	s_delay_alu instid0(VALU_DEP_4) | instskip(NEXT) | instid1(VALU_DEP_4)
	v_add_nc_u32_e32 v63, v63, v34
	v_and_b32_e32 v62, v72, v62
	s_delay_alu instid0(VALU_DEP_4) | instskip(NEXT) | instid1(VALU_DEP_2)
	v_bfe_u32 v74, v73, 20, 1
	v_cmp_eq_u32_e64 s13, v62, v75
	s_delay_alu instid0(VALU_DEP_2) | instskip(NEXT) | instid1(VALU_DEP_1)
	v_add_nc_u32_e32 v72, -1, v74
	v_cndmask_b32_e64 v62, 0, v72, s13
	v_lshrrev_b32_e32 v72, 23, v73
	s_mov_b32 s13, exec_lo
	s_delay_alu instid0(VALU_DEP_2) | instskip(NEXT) | instid1(VALU_DEP_2)
	v_add_nc_u32_e32 v62, v62, v73
	v_xor_b32_e32 v72, 1, v72
	s_delay_alu instid0(VALU_DEP_2) | instskip(NEXT) | instid1(VALU_DEP_1)
	v_and_b32_e32 v34, 0xfffff, v62
	v_add_nc_u32_e32 v62, v34, v73
                                        ; implicit-def: $vgpr34
	s_delay_alu instid0(VALU_DEP_3)
	v_cmpx_ne_u32_e64 v63, v72
	s_xor_b32 s13, exec_lo, s13
; %bb.11694:                            ;   in Loop: Header=BB6_10858 Depth=3
	s_delay_alu instid0(VALU_DEP_2) | instskip(SKIP_2) | instid1(VALU_DEP_2)
	v_cmp_lt_u32_e32 vcc_lo, 0xffffff, v62
	v_sub_nc_u32_e32 v34, v63, v72
	v_cndmask_b32_e64 v63, 0, 1, vcc_lo
	v_add_co_ci_u32_e32 v34, vcc_lo, 0, v34, vcc_lo
	s_delay_alu instid0(VALU_DEP_2)
	v_lshrrev_b32_e32 v62, v63, v62
; %bb.11695:                            ;   in Loop: Header=BB6_10858 Depth=3
	s_and_not1_saveexec_b32 s13, s13
; %bb.11696:                            ;   in Loop: Header=BB6_10858 Depth=3
	s_delay_alu instid0(VALU_DEP_1)
	v_bfe_u32 v34, v62, 23, 1
; %bb.11697:                            ;   in Loop: Header=BB6_10858 Depth=3
	s_or_b32 exec_lo, exec_lo, s13
	v_lshrrev_b32_e32 v62, 20, v62
	s_delay_alu instid0(VALU_DEP_2) | instskip(SKIP_2) | instid1(VALU_DEP_2)
	v_cmp_gt_i32_e32 vcc_lo, 16, v34
	v_lshrrev_b32_e32 v61, 24, v61
	v_min_i32_e32 v63, 15, v34
	v_dual_cndmask_b32 v62, 7, v62 :: v_dual_and_b32 v61, 0x80, v61
	s_delay_alu instid0(VALU_DEP_1) | instskip(SKIP_1) | instid1(VALU_DEP_2)
	v_or_b32_e32 v34, v34, v62
	v_and_b32_e32 v72, 7, v62
	v_cmp_ne_u32_e32 vcc_lo, 0, v34
	v_lshlrev_b32_e32 v63, 3, v63
	s_delay_alu instid0(VALU_DEP_1) | instskip(NEXT) | instid1(VALU_DEP_1)
	v_or3_b32 v61, v63, v61, v72
	v_cndmask_b32_e32 v34, 0, v61, vcc_lo
.LBB6_11698:                            ;   in Loop: Header=BB6_10858 Depth=3
	s_or_b32 exec_lo, exec_lo, s31
.LBB6_11699:                            ;   in Loop: Header=BB6_10858 Depth=3
	s_delay_alu instid0(SALU_CYCLE_1)
	s_or_b32 exec_lo, exec_lo, s17
	v_lshrrev_b16 v62, 8, v35
	v_lshrrev_b16 v61, 8, v27
	s_and_not1_b32 vcc_lo, exec_lo, s16
	s_cbranch_vccnz .LBB6_11709
; %bb.11700:                            ;   in Loop: Header=BB6_10858 Depth=3
	s_mov_b32 s13, 0
	s_mov_b32 s31, exec_lo
                                        ; implicit-def: $sgpr17
	v_cmpx_lt_i16_e32 0x7f, v62
	s_xor_b32 s31, exec_lo, s31
	s_cbranch_execnz .LBB6_13176
; %bb.11701:                            ;   in Loop: Header=BB6_10858 Depth=3
	s_or_saveexec_b32 s31, s31
	v_mov_b32_e32 v63, s17
	s_xor_b32 exec_lo, exec_lo, s31
	s_cbranch_execnz .LBB6_13179
.LBB6_11702:                            ;   in Loop: Header=BB6_10858 Depth=3
	s_or_b32 exec_lo, exec_lo, s31
	s_and_saveexec_b32 s17, s13
	s_cbranch_execz .LBB6_11704
.LBB6_11703:                            ;   in Loop: Header=BB6_10858 Depth=3
	v_and_b32_e32 v63, 0xffff, v62
	s_delay_alu instid0(VALU_DEP_1) | instskip(NEXT) | instid1(VALU_DEP_1)
	v_and_b32_e32 v72, 7, v63
	v_clz_i32_u32_e32 v73, v72
	s_delay_alu instid0(VALU_DEP_1) | instskip(NEXT) | instid1(VALU_DEP_1)
	v_min_u32_e32 v73, 32, v73
	v_subrev_nc_u32_e32 v74, 28, v73
	v_sub_nc_u32_e32 v73, 29, v73
	s_delay_alu instid0(VALU_DEP_2) | instskip(SKIP_1) | instid1(VALU_DEP_2)
	v_lshlrev_b32_e32 v74, v74, v63
	v_bfe_u32 v63, v63, 3, 4
	v_and_b32_e32 v74, 7, v74
	s_delay_alu instid0(VALU_DEP_2) | instskip(SKIP_1) | instid1(VALU_DEP_3)
	v_cmp_eq_u32_e32 vcc_lo, 0, v63
	v_cndmask_b32_e32 v63, v63, v73, vcc_lo
	v_dual_cndmask_b32 v72, v72, v74 :: v_dual_lshlrev_b32 v75, 16, v35
	s_delay_alu instid0(VALU_DEP_2) | instskip(NEXT) | instid1(VALU_DEP_2)
	v_lshl_add_u32 v63, v63, 23, 0x3b800000
	v_and_b32_e32 v73, 0x80000000, v75
	s_delay_alu instid0(VALU_DEP_3) | instskip(NEXT) | instid1(VALU_DEP_1)
	v_lshlrev_b32_e32 v72, 20, v72
	v_or3_b32 v63, v73, v63, v72
.LBB6_11704:                            ;   in Loop: Header=BB6_10858 Depth=3
	s_or_b32 exec_lo, exec_lo, s17
	s_mov_b32 s13, 0
	s_mov_b32 s31, exec_lo
                                        ; implicit-def: $sgpr17
	v_cmpx_lt_i16_e32 0x7f, v61
	s_xor_b32 s31, exec_lo, s31
	s_cbranch_execnz .LBB6_13180
; %bb.11705:                            ;   in Loop: Header=BB6_10858 Depth=3
	s_or_saveexec_b32 s31, s31
	v_mov_b32_e32 v72, s17
	s_xor_b32 exec_lo, exec_lo, s31
	s_cbranch_execnz .LBB6_13183
.LBB6_11706:                            ;   in Loop: Header=BB6_10858 Depth=3
	s_or_b32 exec_lo, exec_lo, s31
	s_and_saveexec_b32 s17, s13
	s_cbranch_execz .LBB6_11708
.LBB6_11707:                            ;   in Loop: Header=BB6_10858 Depth=3
	v_and_b32_e32 v72, 0xffff, v61
	v_lshlrev_b32_e32 v76, 16, v27
	s_delay_alu instid0(VALU_DEP_2) | instskip(NEXT) | instid1(VALU_DEP_1)
	v_and_b32_e32 v73, 7, v72
	v_clz_i32_u32_e32 v74, v73
	s_delay_alu instid0(VALU_DEP_1) | instskip(NEXT) | instid1(VALU_DEP_1)
	v_min_u32_e32 v74, 32, v74
	v_subrev_nc_u32_e32 v75, 28, v74
	v_sub_nc_u32_e32 v74, 29, v74
	s_delay_alu instid0(VALU_DEP_2) | instskip(SKIP_1) | instid1(VALU_DEP_2)
	v_lshlrev_b32_e32 v75, v75, v72
	v_bfe_u32 v72, v72, 3, 4
	v_and_b32_e32 v75, 7, v75
	s_delay_alu instid0(VALU_DEP_2) | instskip(NEXT) | instid1(VALU_DEP_2)
	v_cmp_eq_u32_e32 vcc_lo, 0, v72
	v_dual_cndmask_b32 v72, v72, v74 :: v_dual_cndmask_b32 v73, v73, v75
	v_and_b32_e32 v74, 0x80000000, v76
	s_delay_alu instid0(VALU_DEP_2) | instskip(NEXT) | instid1(VALU_DEP_3)
	v_lshl_add_u32 v72, v72, 23, 0x3b800000
	v_lshlrev_b32_e32 v73, 20, v73
	s_delay_alu instid0(VALU_DEP_1)
	v_or3_b32 v72, v74, v72, v73
.LBB6_11708:                            ;   in Loop: Header=BB6_10858 Depth=3
	s_or_b32 exec_lo, exec_lo, s17
	s_delay_alu instid0(VALU_DEP_1) | instskip(SKIP_1) | instid1(VALU_DEP_1)
	v_dual_max_f32 v72, v72, v72 :: v_dual_max_f32 v63, v63, v63
	s_mov_b32 s13, 0
	v_max_f32_e32 v63, v63, v72
	s_branch .LBB6_11710
.LBB6_11709:                            ;   in Loop: Header=BB6_10858 Depth=3
	s_mov_b32 s13, -1
                                        ; implicit-def: $vgpr63
.LBB6_11710:                            ;   in Loop: Header=BB6_10858 Depth=3
	s_delay_alu instid0(SALU_CYCLE_1)
	s_and_b32 vcc_lo, exec_lo, s13
	s_cbranch_vccz .LBB6_11720
; %bb.11711:                            ;   in Loop: Header=BB6_10858 Depth=3
	s_mov_b32 s13, 0
	s_mov_b32 s31, exec_lo
                                        ; implicit-def: $sgpr17
	v_cmpx_lt_i16_e32 0x7f, v62
	s_xor_b32 s31, exec_lo, s31
	s_cbranch_execnz .LBB6_13184
; %bb.11712:                            ;   in Loop: Header=BB6_10858 Depth=3
	s_or_saveexec_b32 s31, s31
	v_mov_b32_e32 v63, s17
	s_xor_b32 exec_lo, exec_lo, s31
	s_cbranch_execnz .LBB6_13187
.LBB6_11713:                            ;   in Loop: Header=BB6_10858 Depth=3
	s_or_b32 exec_lo, exec_lo, s31
	s_and_saveexec_b32 s17, s13
	s_cbranch_execz .LBB6_11715
.LBB6_11714:                            ;   in Loop: Header=BB6_10858 Depth=3
	v_and_b32_e32 v62, 0xffff, v62
	v_lshlrev_b32_e32 v74, 16, v35
	s_delay_alu instid0(VALU_DEP_2) | instskip(NEXT) | instid1(VALU_DEP_1)
	v_and_b32_e32 v63, 7, v62
	v_clz_i32_u32_e32 v72, v63
	s_delay_alu instid0(VALU_DEP_1) | instskip(NEXT) | instid1(VALU_DEP_1)
	v_min_u32_e32 v72, 32, v72
	v_subrev_nc_u32_e32 v73, 28, v72
	v_sub_nc_u32_e32 v72, 29, v72
	s_delay_alu instid0(VALU_DEP_2) | instskip(SKIP_1) | instid1(VALU_DEP_2)
	v_lshlrev_b32_e32 v73, v73, v62
	v_bfe_u32 v62, v62, 3, 4
	v_and_b32_e32 v73, 7, v73
	s_delay_alu instid0(VALU_DEP_2) | instskip(NEXT) | instid1(VALU_DEP_2)
	v_cmp_eq_u32_e32 vcc_lo, 0, v62
	v_dual_cndmask_b32 v62, v62, v72 :: v_dual_cndmask_b32 v63, v63, v73
	v_and_b32_e32 v72, 0x80000000, v74
	s_delay_alu instid0(VALU_DEP_2) | instskip(NEXT) | instid1(VALU_DEP_3)
	v_lshl_add_u32 v62, v62, 23, 0x3b800000
	v_lshlrev_b32_e32 v63, 20, v63
	s_delay_alu instid0(VALU_DEP_1)
	v_or3_b32 v63, v72, v62, v63
.LBB6_11715:                            ;   in Loop: Header=BB6_10858 Depth=3
	s_or_b32 exec_lo, exec_lo, s17
	s_mov_b32 s13, 0
	s_mov_b32 s31, exec_lo
                                        ; implicit-def: $sgpr17
	v_cmpx_lt_i16_e32 0x7f, v61
	s_xor_b32 s31, exec_lo, s31
	s_cbranch_execnz .LBB6_13188
; %bb.11716:                            ;   in Loop: Header=BB6_10858 Depth=3
	s_or_saveexec_b32 s31, s31
	v_mov_b32_e32 v62, s17
	s_xor_b32 exec_lo, exec_lo, s31
	s_cbranch_execnz .LBB6_13191
.LBB6_11717:                            ;   in Loop: Header=BB6_10858 Depth=3
	s_or_b32 exec_lo, exec_lo, s31
	s_and_saveexec_b32 s17, s13
	s_cbranch_execz .LBB6_11719
.LBB6_11718:                            ;   in Loop: Header=BB6_10858 Depth=3
	v_and_b32_e32 v61, 0xffff, v61
	v_lshlrev_b32_e32 v74, 16, v27
	s_delay_alu instid0(VALU_DEP_2) | instskip(NEXT) | instid1(VALU_DEP_1)
	v_and_b32_e32 v62, 7, v61
	v_clz_i32_u32_e32 v72, v62
	s_delay_alu instid0(VALU_DEP_1) | instskip(NEXT) | instid1(VALU_DEP_1)
	v_min_u32_e32 v72, 32, v72
	v_subrev_nc_u32_e32 v73, 28, v72
	v_sub_nc_u32_e32 v72, 29, v72
	s_delay_alu instid0(VALU_DEP_2) | instskip(SKIP_1) | instid1(VALU_DEP_2)
	v_lshlrev_b32_e32 v73, v73, v61
	v_bfe_u32 v61, v61, 3, 4
	v_and_b32_e32 v73, 7, v73
	s_delay_alu instid0(VALU_DEP_2) | instskip(NEXT) | instid1(VALU_DEP_2)
	v_cmp_eq_u32_e32 vcc_lo, 0, v61
	v_dual_cndmask_b32 v61, v61, v72 :: v_dual_cndmask_b32 v62, v62, v73
	v_and_b32_e32 v72, 0x80000000, v74
	s_delay_alu instid0(VALU_DEP_2) | instskip(NEXT) | instid1(VALU_DEP_3)
	v_lshl_add_u32 v61, v61, 23, 0x3b800000
	v_lshlrev_b32_e32 v62, 20, v62
	s_delay_alu instid0(VALU_DEP_1)
	v_or3_b32 v62, v72, v61, v62
.LBB6_11719:                            ;   in Loop: Header=BB6_10858 Depth=3
	s_or_b32 exec_lo, exec_lo, s17
	s_delay_alu instid0(VALU_DEP_1) | instskip(NEXT) | instid1(VALU_DEP_1)
	v_dual_max_f32 v61, v62, v62 :: v_dual_max_f32 v62, v63, v63
	v_min_f32_e32 v63, v62, v61
.LBB6_11720:                            ;   in Loop: Header=BB6_10858 Depth=3
	s_delay_alu instid0(VALU_DEP_1) | instskip(NEXT) | instid1(VALU_DEP_1)
	v_and_b32_e32 v61, 0x7f800000, v63
	v_cmp_ne_u32_e32 vcc_lo, 0x7f800000, v61
	v_mov_b32_e32 v61, 0x80
	s_and_saveexec_b32 s17, vcc_lo
	s_cbranch_execz .LBB6_11728
; %bb.11721:                            ;   in Loop: Header=BB6_10858 Depth=3
	v_mov_b32_e32 v61, 0
	s_mov_b32 s31, exec_lo
	v_cmpx_ne_u32_e32 0, v63
	s_cbranch_execz .LBB6_11727
; %bb.11722:                            ;   in Loop: Header=BB6_10858 Depth=3
	v_bfe_u32 v61, v63, 23, 8
	v_and_b32_e32 v62, 0x7fffff, v63
	s_delay_alu instid0(VALU_DEP_2) | instskip(SKIP_1) | instid1(VALU_DEP_3)
	v_sub_nc_u32_e32 v72, 0x78, v61
	v_cmp_gt_u32_e32 vcc_lo, 0x79, v61
	v_or_b32_e32 v73, 0x800000, v62
	s_delay_alu instid0(VALU_DEP_3) | instskip(SKIP_2) | instid1(VALU_DEP_3)
	v_cndmask_b32_e32 v72, 0, v72, vcc_lo
	v_cmp_eq_u32_e32 vcc_lo, 0, v61
	v_add_nc_u32_e32 v61, 0xffffff89, v61
	v_cndmask_b32_e64 v72, v72, 0x77, vcc_lo
	v_cndmask_b32_e32 v62, v73, v62, vcc_lo
	s_delay_alu instid0(VALU_DEP_3) | instskip(NEXT) | instid1(VALU_DEP_3)
	v_cndmask_b32_e64 v61, v61, 0xffffff8a, vcc_lo
	v_lshl_add_u32 v73, 0x100000, v72, -1
	s_delay_alu instid0(VALU_DEP_3) | instskip(SKIP_1) | instid1(VALU_DEP_4)
	v_lshrrev_b32_e32 v74, v72, v62
	v_lshlrev_b32_e64 v76, v72, 0x80000
	v_add_nc_u32_e32 v72, v72, v61
	s_delay_alu instid0(VALU_DEP_4) | instskip(NEXT) | instid1(VALU_DEP_4)
	v_and_b32_e32 v62, v73, v62
	v_bfe_u32 v75, v74, 20, 1
	s_delay_alu instid0(VALU_DEP_2) | instskip(NEXT) | instid1(VALU_DEP_2)
	v_cmp_eq_u32_e64 s13, v62, v76
	v_add_nc_u32_e32 v73, -1, v75
	s_delay_alu instid0(VALU_DEP_1) | instskip(SKIP_2) | instid1(VALU_DEP_2)
	v_cndmask_b32_e64 v62, 0, v73, s13
	v_lshrrev_b32_e32 v73, 23, v74
	s_mov_b32 s13, exec_lo
	v_add_nc_u32_e32 v62, v62, v74
	s_delay_alu instid0(VALU_DEP_2) | instskip(NEXT) | instid1(VALU_DEP_2)
	v_xor_b32_e32 v73, 1, v73
	v_and_b32_e32 v61, 0xfffff, v62
	s_delay_alu instid0(VALU_DEP_1) | instskip(NEXT) | instid1(VALU_DEP_3)
	v_add_nc_u32_e32 v62, v61, v74
                                        ; implicit-def: $vgpr61
	v_cmpx_ne_u32_e64 v72, v73
	s_xor_b32 s13, exec_lo, s13
; %bb.11723:                            ;   in Loop: Header=BB6_10858 Depth=3
	s_delay_alu instid0(VALU_DEP_2) | instskip(SKIP_2) | instid1(VALU_DEP_2)
	v_cmp_lt_u32_e32 vcc_lo, 0xffffff, v62
	v_sub_nc_u32_e32 v61, v72, v73
	v_cndmask_b32_e64 v72, 0, 1, vcc_lo
	v_add_co_ci_u32_e32 v61, vcc_lo, 0, v61, vcc_lo
	s_delay_alu instid0(VALU_DEP_2)
	v_lshrrev_b32_e32 v62, v72, v62
; %bb.11724:                            ;   in Loop: Header=BB6_10858 Depth=3
	s_and_not1_saveexec_b32 s13, s13
; %bb.11725:                            ;   in Loop: Header=BB6_10858 Depth=3
	s_delay_alu instid0(VALU_DEP_1)
	v_bfe_u32 v61, v62, 23, 1
; %bb.11726:                            ;   in Loop: Header=BB6_10858 Depth=3
	s_or_b32 exec_lo, exec_lo, s13
	v_lshrrev_b32_e32 v62, 20, v62
	s_delay_alu instid0(VALU_DEP_2) | instskip(SKIP_2) | instid1(VALU_DEP_2)
	v_cmp_gt_i32_e32 vcc_lo, 16, v61
	v_lshrrev_b32_e32 v63, 24, v63
	v_min_i32_e32 v72, 15, v61
	v_dual_cndmask_b32 v62, 7, v62 :: v_dual_and_b32 v63, 0x80, v63
	s_delay_alu instid0(VALU_DEP_1) | instskip(SKIP_1) | instid1(VALU_DEP_2)
	v_or_b32_e32 v61, v61, v62
	v_and_b32_e32 v73, 7, v62
	v_cmp_ne_u32_e32 vcc_lo, 0, v61
	v_lshlrev_b32_e32 v72, 3, v72
	s_delay_alu instid0(VALU_DEP_1) | instskip(NEXT) | instid1(VALU_DEP_1)
	v_or3_b32 v62, v72, v63, v73
	v_cndmask_b32_e32 v61, 0, v62, vcc_lo
.LBB6_11727:                            ;   in Loop: Header=BB6_10858 Depth=3
	s_or_b32 exec_lo, exec_lo, s31
.LBB6_11728:                            ;   in Loop: Header=BB6_10858 Depth=3
	s_delay_alu instid0(SALU_CYCLE_1)
	s_or_b32 exec_lo, exec_lo, s17
	v_lshrrev_b32_e32 v63, 16, v35
	v_lshrrev_b32_e32 v62, 16, v27
	s_and_not1_b32 vcc_lo, exec_lo, s16
	s_cbranch_vccnz .LBB6_11738
; %bb.11729:                            ;   in Loop: Header=BB6_10858 Depth=3
	s_delay_alu instid0(VALU_DEP_2) | instskip(SKIP_2) | instid1(VALU_DEP_1)
	v_and_b32_e32 v73, 0xff, v63
	s_mov_b32 s13, 0
	s_mov_b32 s31, exec_lo
                                        ; implicit-def: $sgpr17
	v_cmpx_lt_i16_e32 0x7f, v73
	s_xor_b32 s31, exec_lo, s31
	s_cbranch_execnz .LBB6_13192
; %bb.11730:                            ;   in Loop: Header=BB6_10858 Depth=3
	s_or_saveexec_b32 s31, s31
	v_mov_b32_e32 v72, s17
	s_xor_b32 exec_lo, exec_lo, s31
	s_cbranch_execnz .LBB6_13195
.LBB6_11731:                            ;   in Loop: Header=BB6_10858 Depth=3
	s_or_b32 exec_lo, exec_lo, s31
	s_and_saveexec_b32 s17, s13
	s_cbranch_execz .LBB6_11733
.LBB6_11732:                            ;   in Loop: Header=BB6_10858 Depth=3
	v_bfe_u32 v72, v35, 16, 3
	v_bfe_u32 v75, v35, 19, 4
	v_lshlrev_b32_e32 v76, 24, v63
	s_delay_alu instid0(VALU_DEP_3) | instskip(NEXT) | instid1(VALU_DEP_3)
	v_clz_i32_u32_e32 v73, v72
	v_cmp_eq_u32_e32 vcc_lo, 0, v75
	s_delay_alu instid0(VALU_DEP_2) | instskip(NEXT) | instid1(VALU_DEP_1)
	v_min_u32_e32 v73, 32, v73
	v_subrev_nc_u32_e32 v74, 28, v73
	v_sub_nc_u32_e32 v73, 29, v73
	s_delay_alu instid0(VALU_DEP_1) | instskip(NEXT) | instid1(VALU_DEP_1)
	v_dual_cndmask_b32 v73, v75, v73 :: v_dual_lshlrev_b32 v74, v74, v63
	v_and_b32_e32 v74, 7, v74
	s_delay_alu instid0(VALU_DEP_2) | instskip(NEXT) | instid1(VALU_DEP_2)
	v_lshl_add_u32 v73, v73, 23, 0x3b800000
	v_cndmask_b32_e32 v72, v72, v74, vcc_lo
	v_and_b32_e32 v74, 0x80000000, v76
	s_delay_alu instid0(VALU_DEP_2) | instskip(NEXT) | instid1(VALU_DEP_1)
	v_lshlrev_b32_e32 v72, 20, v72
	v_or3_b32 v72, v74, v73, v72
.LBB6_11733:                            ;   in Loop: Header=BB6_10858 Depth=3
	s_or_b32 exec_lo, exec_lo, s17
	v_and_b32_e32 v74, 0xff, v62
	s_mov_b32 s13, 0
	s_mov_b32 s31, exec_lo
                                        ; implicit-def: $sgpr17
	s_delay_alu instid0(VALU_DEP_1)
	v_cmpx_lt_i16_e32 0x7f, v74
	s_xor_b32 s31, exec_lo, s31
	s_cbranch_execnz .LBB6_13196
; %bb.11734:                            ;   in Loop: Header=BB6_10858 Depth=3
	s_or_saveexec_b32 s31, s31
	v_mov_b32_e32 v73, s17
	s_xor_b32 exec_lo, exec_lo, s31
	s_cbranch_execnz .LBB6_13199
.LBB6_11735:                            ;   in Loop: Header=BB6_10858 Depth=3
	s_or_b32 exec_lo, exec_lo, s31
	s_and_saveexec_b32 s17, s13
	s_cbranch_execz .LBB6_11737
.LBB6_11736:                            ;   in Loop: Header=BB6_10858 Depth=3
	v_bfe_u32 v73, v27, 16, 3
	v_bfe_u32 v76, v27, 19, 4
	v_lshlrev_b32_e32 v77, 24, v62
	s_delay_alu instid0(VALU_DEP_3) | instskip(NEXT) | instid1(VALU_DEP_3)
	v_clz_i32_u32_e32 v74, v73
	v_cmp_eq_u32_e32 vcc_lo, 0, v76
	s_delay_alu instid0(VALU_DEP_2) | instskip(NEXT) | instid1(VALU_DEP_1)
	v_min_u32_e32 v74, 32, v74
	v_subrev_nc_u32_e32 v75, 28, v74
	v_sub_nc_u32_e32 v74, 29, v74
	s_delay_alu instid0(VALU_DEP_2) | instskip(NEXT) | instid1(VALU_DEP_1)
	v_lshlrev_b32_e32 v75, v75, v62
	v_dual_cndmask_b32 v74, v76, v74 :: v_dual_and_b32 v75, 7, v75
	s_delay_alu instid0(VALU_DEP_1) | instskip(NEXT) | instid1(VALU_DEP_2)
	v_lshl_add_u32 v74, v74, 23, 0x3b800000
	v_cndmask_b32_e32 v73, v73, v75, vcc_lo
	v_and_b32_e32 v75, 0x80000000, v77
	s_delay_alu instid0(VALU_DEP_2) | instskip(NEXT) | instid1(VALU_DEP_1)
	v_lshlrev_b32_e32 v73, 20, v73
	v_or3_b32 v73, v75, v74, v73
.LBB6_11737:                            ;   in Loop: Header=BB6_10858 Depth=3
	s_or_b32 exec_lo, exec_lo, s17
	s_delay_alu instid0(VALU_DEP_1) | instskip(SKIP_1) | instid1(VALU_DEP_1)
	v_dual_max_f32 v73, v73, v73 :: v_dual_max_f32 v72, v72, v72
	s_mov_b32 s13, 0
	v_max_f32_e32 v72, v72, v73
	s_branch .LBB6_11739
.LBB6_11738:                            ;   in Loop: Header=BB6_10858 Depth=3
	s_mov_b32 s13, -1
                                        ; implicit-def: $vgpr72
.LBB6_11739:                            ;   in Loop: Header=BB6_10858 Depth=3
	s_delay_alu instid0(SALU_CYCLE_1)
	s_and_b32 vcc_lo, exec_lo, s13
	s_cbranch_vccz .LBB6_11749
; %bb.11740:                            ;   in Loop: Header=BB6_10858 Depth=3
	v_and_b32_e32 v73, 0xff, v63
	s_mov_b32 s13, 0
	s_mov_b32 s31, exec_lo
                                        ; implicit-def: $sgpr17
	s_delay_alu instid0(VALU_DEP_1)
	v_cmpx_lt_i16_e32 0x7f, v73
	s_xor_b32 s31, exec_lo, s31
	s_cbranch_execnz .LBB6_13200
; %bb.11741:                            ;   in Loop: Header=BB6_10858 Depth=3
	s_or_saveexec_b32 s31, s31
	v_mov_b32_e32 v72, s17
	s_xor_b32 exec_lo, exec_lo, s31
	s_cbranch_execnz .LBB6_13203
.LBB6_11742:                            ;   in Loop: Header=BB6_10858 Depth=3
	s_or_b32 exec_lo, exec_lo, s31
	s_and_saveexec_b32 s17, s13
	s_cbranch_execz .LBB6_11744
.LBB6_11743:                            ;   in Loop: Header=BB6_10858 Depth=3
	v_bfe_u32 v72, v35, 16, 3
	v_bfe_u32 v75, v35, 19, 4
	s_delay_alu instid0(VALU_DEP_2) | instskip(NEXT) | instid1(VALU_DEP_2)
	v_clz_i32_u32_e32 v73, v72
	v_cmp_eq_u32_e32 vcc_lo, 0, v75
	s_delay_alu instid0(VALU_DEP_2) | instskip(NEXT) | instid1(VALU_DEP_1)
	v_min_u32_e32 v73, 32, v73
	v_subrev_nc_u32_e32 v74, 28, v73
	v_sub_nc_u32_e32 v73, 29, v73
	s_delay_alu instid0(VALU_DEP_1) | instskip(NEXT) | instid1(VALU_DEP_1)
	v_dual_cndmask_b32 v73, v75, v73 :: v_dual_lshlrev_b32 v74, v74, v63
	v_and_b32_e32 v74, 7, v74
	v_lshlrev_b32_e32 v63, 24, v63
	s_delay_alu instid0(VALU_DEP_3) | instskip(NEXT) | instid1(VALU_DEP_2)
	v_lshl_add_u32 v73, v73, 23, 0x3b800000
	v_dual_cndmask_b32 v72, v72, v74 :: v_dual_and_b32 v63, 0x80000000, v63
	s_delay_alu instid0(VALU_DEP_1) | instskip(NEXT) | instid1(VALU_DEP_1)
	v_lshlrev_b32_e32 v72, 20, v72
	v_or3_b32 v72, v63, v73, v72
.LBB6_11744:                            ;   in Loop: Header=BB6_10858 Depth=3
	s_or_b32 exec_lo, exec_lo, s17
	v_and_b32_e32 v73, 0xff, v62
	s_mov_b32 s13, 0
	s_mov_b32 s31, exec_lo
                                        ; implicit-def: $sgpr17
	s_delay_alu instid0(VALU_DEP_1)
	v_cmpx_lt_i16_e32 0x7f, v73
	s_xor_b32 s31, exec_lo, s31
	s_cbranch_execnz .LBB6_13204
; %bb.11745:                            ;   in Loop: Header=BB6_10858 Depth=3
	s_or_saveexec_b32 s31, s31
	v_mov_b32_e32 v63, s17
	s_xor_b32 exec_lo, exec_lo, s31
	s_cbranch_execnz .LBB6_13207
.LBB6_11746:                            ;   in Loop: Header=BB6_10858 Depth=3
	s_or_b32 exec_lo, exec_lo, s31
	s_and_saveexec_b32 s17, s13
	s_cbranch_execz .LBB6_11748
.LBB6_11747:                            ;   in Loop: Header=BB6_10858 Depth=3
	v_bfe_u32 v63, v27, 16, 3
	v_bfe_u32 v75, v27, 19, 4
	s_delay_alu instid0(VALU_DEP_2) | instskip(NEXT) | instid1(VALU_DEP_2)
	v_clz_i32_u32_e32 v73, v63
	v_cmp_eq_u32_e32 vcc_lo, 0, v75
	s_delay_alu instid0(VALU_DEP_2) | instskip(NEXT) | instid1(VALU_DEP_1)
	v_min_u32_e32 v73, 32, v73
	v_subrev_nc_u32_e32 v74, 28, v73
	v_sub_nc_u32_e32 v73, 29, v73
	s_delay_alu instid0(VALU_DEP_1) | instskip(SKIP_1) | instid1(VALU_DEP_2)
	v_dual_cndmask_b32 v73, v75, v73 :: v_dual_lshlrev_b32 v74, v74, v62
	v_lshlrev_b32_e32 v62, 24, v62
	v_and_b32_e32 v74, 7, v74
	s_delay_alu instid0(VALU_DEP_3) | instskip(NEXT) | instid1(VALU_DEP_3)
	v_lshl_add_u32 v73, v73, 23, 0x3b800000
	v_and_b32_e32 v62, 0x80000000, v62
	s_delay_alu instid0(VALU_DEP_3) | instskip(NEXT) | instid1(VALU_DEP_1)
	v_cndmask_b32_e32 v63, v63, v74, vcc_lo
	v_lshlrev_b32_e32 v63, 20, v63
	s_delay_alu instid0(VALU_DEP_1)
	v_or3_b32 v63, v62, v73, v63
.LBB6_11748:                            ;   in Loop: Header=BB6_10858 Depth=3
	s_or_b32 exec_lo, exec_lo, s17
	s_delay_alu instid0(VALU_DEP_1) | instskip(NEXT) | instid1(VALU_DEP_1)
	v_dual_max_f32 v62, v63, v63 :: v_dual_max_f32 v63, v72, v72
	v_min_f32_e32 v72, v63, v62
.LBB6_11749:                            ;   in Loop: Header=BB6_10858 Depth=3
	s_delay_alu instid0(VALU_DEP_1) | instskip(NEXT) | instid1(VALU_DEP_1)
	v_and_b32_e32 v62, 0x7f800000, v72
	v_cmp_ne_u32_e32 vcc_lo, 0x7f800000, v62
	v_mov_b32_e32 v62, 0x80
	s_and_saveexec_b32 s17, vcc_lo
	s_cbranch_execz .LBB6_11757
; %bb.11750:                            ;   in Loop: Header=BB6_10858 Depth=3
	v_mov_b32_e32 v62, 0
	s_mov_b32 s31, exec_lo
	v_cmpx_ne_u32_e32 0, v72
	s_cbranch_execz .LBB6_11756
; %bb.11751:                            ;   in Loop: Header=BB6_10858 Depth=3
	v_bfe_u32 v62, v72, 23, 8
	v_and_b32_e32 v63, 0x7fffff, v72
	s_delay_alu instid0(VALU_DEP_2) | instskip(SKIP_1) | instid1(VALU_DEP_3)
	v_sub_nc_u32_e32 v73, 0x78, v62
	v_cmp_gt_u32_e32 vcc_lo, 0x79, v62
	v_or_b32_e32 v74, 0x800000, v63
	s_delay_alu instid0(VALU_DEP_3) | instskip(SKIP_2) | instid1(VALU_DEP_3)
	v_cndmask_b32_e32 v73, 0, v73, vcc_lo
	v_cmp_eq_u32_e32 vcc_lo, 0, v62
	v_add_nc_u32_e32 v62, 0xffffff89, v62
	v_cndmask_b32_e64 v73, v73, 0x77, vcc_lo
	v_cndmask_b32_e32 v63, v74, v63, vcc_lo
	s_delay_alu instid0(VALU_DEP_3) | instskip(NEXT) | instid1(VALU_DEP_3)
	v_cndmask_b32_e64 v62, v62, 0xffffff8a, vcc_lo
	v_lshl_add_u32 v74, 0x100000, v73, -1
	s_delay_alu instid0(VALU_DEP_3) | instskip(SKIP_1) | instid1(VALU_DEP_4)
	v_lshrrev_b32_e32 v75, v73, v63
	v_lshlrev_b32_e64 v77, v73, 0x80000
	v_add_nc_u32_e32 v73, v73, v62
	s_delay_alu instid0(VALU_DEP_4) | instskip(NEXT) | instid1(VALU_DEP_4)
	v_and_b32_e32 v63, v74, v63
	v_bfe_u32 v76, v75, 20, 1
	s_delay_alu instid0(VALU_DEP_2) | instskip(NEXT) | instid1(VALU_DEP_2)
	v_cmp_eq_u32_e64 s13, v63, v77
	v_add_nc_u32_e32 v74, -1, v76
	s_delay_alu instid0(VALU_DEP_1) | instskip(SKIP_2) | instid1(VALU_DEP_2)
	v_cndmask_b32_e64 v63, 0, v74, s13
	v_lshrrev_b32_e32 v74, 23, v75
	s_mov_b32 s13, exec_lo
	v_add_nc_u32_e32 v63, v63, v75
	s_delay_alu instid0(VALU_DEP_2) | instskip(NEXT) | instid1(VALU_DEP_2)
	v_xor_b32_e32 v74, 1, v74
	v_and_b32_e32 v62, 0xfffff, v63
	s_delay_alu instid0(VALU_DEP_1) | instskip(NEXT) | instid1(VALU_DEP_3)
	v_add_nc_u32_e32 v63, v62, v75
                                        ; implicit-def: $vgpr62
	v_cmpx_ne_u32_e64 v73, v74
	s_xor_b32 s13, exec_lo, s13
; %bb.11752:                            ;   in Loop: Header=BB6_10858 Depth=3
	s_delay_alu instid0(VALU_DEP_2) | instskip(SKIP_2) | instid1(VALU_DEP_2)
	v_cmp_lt_u32_e32 vcc_lo, 0xffffff, v63
	v_sub_nc_u32_e32 v62, v73, v74
	v_cndmask_b32_e64 v73, 0, 1, vcc_lo
	v_add_co_ci_u32_e32 v62, vcc_lo, 0, v62, vcc_lo
	s_delay_alu instid0(VALU_DEP_2)
	v_lshrrev_b32_e32 v63, v73, v63
; %bb.11753:                            ;   in Loop: Header=BB6_10858 Depth=3
	s_and_not1_saveexec_b32 s13, s13
; %bb.11754:                            ;   in Loop: Header=BB6_10858 Depth=3
	s_delay_alu instid0(VALU_DEP_1)
	v_bfe_u32 v62, v63, 23, 1
; %bb.11755:                            ;   in Loop: Header=BB6_10858 Depth=3
	s_or_b32 exec_lo, exec_lo, s13
	v_lshrrev_b32_e32 v63, 20, v63
	s_delay_alu instid0(VALU_DEP_2) | instskip(SKIP_2) | instid1(VALU_DEP_2)
	v_cmp_gt_i32_e32 vcc_lo, 16, v62
	v_lshrrev_b32_e32 v72, 24, v72
	v_min_i32_e32 v73, 15, v62
	v_dual_cndmask_b32 v63, 7, v63 :: v_dual_and_b32 v72, 0x80, v72
	s_delay_alu instid0(VALU_DEP_1) | instskip(SKIP_1) | instid1(VALU_DEP_2)
	v_or_b32_e32 v62, v62, v63
	v_and_b32_e32 v74, 7, v63
	v_cmp_ne_u32_e32 vcc_lo, 0, v62
	v_lshlrev_b32_e32 v73, 3, v73
	s_delay_alu instid0(VALU_DEP_1) | instskip(NEXT) | instid1(VALU_DEP_1)
	v_and_b32_e32 v73, 0xf8, v73
	v_or3_b32 v63, v73, v72, v74
	s_delay_alu instid0(VALU_DEP_1)
	v_cndmask_b32_e32 v62, 0, v63, vcc_lo
.LBB6_11756:                            ;   in Loop: Header=BB6_10858 Depth=3
	s_or_b32 exec_lo, exec_lo, s31
.LBB6_11757:                            ;   in Loop: Header=BB6_10858 Depth=3
	s_delay_alu instid0(SALU_CYCLE_1)
	s_or_b32 exec_lo, exec_lo, s17
	v_lshrrev_b32_e32 v72, 24, v35
	v_lshrrev_b32_e32 v63, 24, v27
	s_and_not1_b32 vcc_lo, exec_lo, s16
	s_cbranch_vccnz .LBB6_11767
; %bb.11758:                            ;   in Loop: Header=BB6_10858 Depth=3
	s_mov_b32 s13, 0
	s_mov_b32 s31, exec_lo
                                        ; implicit-def: $sgpr17
	v_cmpx_lt_i16_e32 0x7f, v72
	s_xor_b32 s31, exec_lo, s31
	s_cbranch_execnz .LBB6_13208
; %bb.11759:                            ;   in Loop: Header=BB6_10858 Depth=3
	s_or_saveexec_b32 s31, s31
	v_mov_b32_e32 v73, s17
	s_xor_b32 exec_lo, exec_lo, s31
	s_cbranch_execnz .LBB6_13211
.LBB6_11760:                            ;   in Loop: Header=BB6_10858 Depth=3
	s_or_b32 exec_lo, exec_lo, s31
	s_and_saveexec_b32 s17, s13
	s_cbranch_execz .LBB6_11762
.LBB6_11761:                            ;   in Loop: Header=BB6_10858 Depth=3
	v_bfe_u32 v73, v35, 24, 3
	v_bfe_u32 v76, v35, 27, 4
	s_delay_alu instid0(VALU_DEP_2) | instskip(NEXT) | instid1(VALU_DEP_2)
	v_clz_i32_u32_e32 v74, v73
	v_cmp_eq_u32_e32 vcc_lo, 0, v76
	s_delay_alu instid0(VALU_DEP_2) | instskip(NEXT) | instid1(VALU_DEP_1)
	v_min_u32_e32 v74, 32, v74
	v_subrev_nc_u32_e32 v75, 28, v74
	v_sub_nc_u32_e32 v74, 29, v74
	s_delay_alu instid0(VALU_DEP_1) | instskip(NEXT) | instid1(VALU_DEP_1)
	v_dual_cndmask_b32 v74, v76, v74 :: v_dual_lshlrev_b32 v75, v75, v72
	v_and_b32_e32 v75, 7, v75
	s_delay_alu instid0(VALU_DEP_2) | instskip(NEXT) | instid1(VALU_DEP_2)
	v_lshl_add_u32 v74, v74, 23, 0x3b800000
	v_cndmask_b32_e32 v73, v73, v75, vcc_lo
	v_and_b32_e32 v75, 0x80000000, v35
	s_delay_alu instid0(VALU_DEP_2) | instskip(NEXT) | instid1(VALU_DEP_1)
	v_lshlrev_b32_e32 v73, 20, v73
	v_or3_b32 v73, v75, v74, v73
.LBB6_11762:                            ;   in Loop: Header=BB6_10858 Depth=3
	s_or_b32 exec_lo, exec_lo, s17
	s_mov_b32 s13, 0
	s_mov_b32 s31, exec_lo
                                        ; implicit-def: $sgpr17
	v_cmpx_lt_i16_e32 0x7f, v63
	s_xor_b32 s31, exec_lo, s31
	s_cbranch_execnz .LBB6_13212
; %bb.11763:                            ;   in Loop: Header=BB6_10858 Depth=3
	s_or_saveexec_b32 s31, s31
	v_mov_b32_e32 v74, s17
	s_xor_b32 exec_lo, exec_lo, s31
	s_cbranch_execnz .LBB6_13215
.LBB6_11764:                            ;   in Loop: Header=BB6_10858 Depth=3
	s_or_b32 exec_lo, exec_lo, s31
	s_and_saveexec_b32 s17, s13
	s_cbranch_execz .LBB6_11766
.LBB6_11765:                            ;   in Loop: Header=BB6_10858 Depth=3
	v_bfe_u32 v74, v27, 24, 3
	v_bfe_u32 v77, v27, 27, 4
	s_delay_alu instid0(VALU_DEP_2) | instskip(NEXT) | instid1(VALU_DEP_2)
	v_clz_i32_u32_e32 v75, v74
	v_cmp_eq_u32_e32 vcc_lo, 0, v77
	s_delay_alu instid0(VALU_DEP_2) | instskip(NEXT) | instid1(VALU_DEP_1)
	v_min_u32_e32 v75, 32, v75
	v_subrev_nc_u32_e32 v76, 28, v75
	v_sub_nc_u32_e32 v75, 29, v75
	s_delay_alu instid0(VALU_DEP_2) | instskip(NEXT) | instid1(VALU_DEP_1)
	v_lshlrev_b32_e32 v76, v76, v63
	v_dual_cndmask_b32 v75, v77, v75 :: v_dual_and_b32 v76, 7, v76
	s_delay_alu instid0(VALU_DEP_1) | instskip(NEXT) | instid1(VALU_DEP_2)
	v_lshl_add_u32 v75, v75, 23, 0x3b800000
	v_cndmask_b32_e32 v74, v74, v76, vcc_lo
	v_and_b32_e32 v76, 0x80000000, v27
	s_delay_alu instid0(VALU_DEP_2) | instskip(NEXT) | instid1(VALU_DEP_1)
	v_lshlrev_b32_e32 v74, 20, v74
	v_or3_b32 v74, v76, v75, v74
.LBB6_11766:                            ;   in Loop: Header=BB6_10858 Depth=3
	s_or_b32 exec_lo, exec_lo, s17
	s_delay_alu instid0(VALU_DEP_1) | instskip(SKIP_1) | instid1(VALU_DEP_1)
	v_dual_max_f32 v74, v74, v74 :: v_dual_max_f32 v73, v73, v73
	s_mov_b32 s13, 0
	v_max_f32_e32 v73, v73, v74
	s_branch .LBB6_11768
.LBB6_11767:                            ;   in Loop: Header=BB6_10858 Depth=3
	s_mov_b32 s13, -1
                                        ; implicit-def: $vgpr73
.LBB6_11768:                            ;   in Loop: Header=BB6_10858 Depth=3
	s_delay_alu instid0(SALU_CYCLE_1)
	s_and_b32 vcc_lo, exec_lo, s13
	s_cbranch_vccz .LBB6_11778
; %bb.11769:                            ;   in Loop: Header=BB6_10858 Depth=3
	s_mov_b32 s13, 0
	s_mov_b32 s31, exec_lo
                                        ; implicit-def: $sgpr17
	v_cmpx_lt_i16_e32 0x7f, v72
	s_xor_b32 s31, exec_lo, s31
	s_cbranch_execnz .LBB6_13216
; %bb.11770:                            ;   in Loop: Header=BB6_10858 Depth=3
	s_or_saveexec_b32 s31, s31
	v_mov_b32_e32 v73, s17
	s_xor_b32 exec_lo, exec_lo, s31
	s_cbranch_execnz .LBB6_13219
.LBB6_11771:                            ;   in Loop: Header=BB6_10858 Depth=3
	s_or_b32 exec_lo, exec_lo, s31
	s_and_saveexec_b32 s17, s13
	s_cbranch_execz .LBB6_11773
.LBB6_11772:                            ;   in Loop: Header=BB6_10858 Depth=3
	v_bfe_u32 v73, v35, 24, 3
	s_delay_alu instid0(VALU_DEP_1) | instskip(NEXT) | instid1(VALU_DEP_1)
	v_clz_i32_u32_e32 v74, v73
	v_min_u32_e32 v74, 32, v74
	s_delay_alu instid0(VALU_DEP_1) | instskip(SKIP_1) | instid1(VALU_DEP_2)
	v_subrev_nc_u32_e32 v75, 28, v74
	v_sub_nc_u32_e32 v74, 29, v74
	v_lshlrev_b32_e32 v72, v75, v72
	v_bfe_u32 v75, v35, 27, 4
	v_and_b32_e32 v35, 0x80000000, v35
	s_delay_alu instid0(VALU_DEP_3) | instskip(NEXT) | instid1(VALU_DEP_3)
	v_and_b32_e32 v72, 7, v72
	v_cmp_eq_u32_e32 vcc_lo, 0, v75
	v_cndmask_b32_e32 v74, v75, v74, vcc_lo
	s_delay_alu instid0(VALU_DEP_3) | instskip(NEXT) | instid1(VALU_DEP_2)
	v_cndmask_b32_e32 v72, v73, v72, vcc_lo
	v_lshl_add_u32 v73, v74, 23, 0x3b800000
	s_delay_alu instid0(VALU_DEP_2) | instskip(NEXT) | instid1(VALU_DEP_1)
	v_lshlrev_b32_e32 v72, 20, v72
	v_or3_b32 v73, v35, v73, v72
.LBB6_11773:                            ;   in Loop: Header=BB6_10858 Depth=3
	s_or_b32 exec_lo, exec_lo, s17
	s_mov_b32 s13, 0
	s_mov_b32 s31, exec_lo
                                        ; implicit-def: $sgpr17
	v_cmpx_lt_i16_e32 0x7f, v63
	s_xor_b32 s31, exec_lo, s31
	s_cbranch_execnz .LBB6_13220
; %bb.11774:                            ;   in Loop: Header=BB6_10858 Depth=3
	s_or_saveexec_b32 s31, s31
	v_mov_b32_e32 v35, s17
	s_xor_b32 exec_lo, exec_lo, s31
	s_cbranch_execnz .LBB6_13223
.LBB6_11775:                            ;   in Loop: Header=BB6_10858 Depth=3
	s_or_b32 exec_lo, exec_lo, s31
	s_and_saveexec_b32 s17, s13
	s_cbranch_execz .LBB6_11777
.LBB6_11776:                            ;   in Loop: Header=BB6_10858 Depth=3
	v_bfe_u32 v35, v27, 24, 3
	s_delay_alu instid0(VALU_DEP_1) | instskip(NEXT) | instid1(VALU_DEP_1)
	v_clz_i32_u32_e32 v72, v35
	v_min_u32_e32 v72, 32, v72
	s_delay_alu instid0(VALU_DEP_1) | instskip(SKIP_1) | instid1(VALU_DEP_2)
	v_subrev_nc_u32_e32 v74, 28, v72
	v_sub_nc_u32_e32 v72, 29, v72
	v_lshlrev_b32_e32 v63, v74, v63
	v_bfe_u32 v74, v27, 27, 4
	v_and_b32_e32 v27, 0x80000000, v27
	s_delay_alu instid0(VALU_DEP_2) | instskip(NEXT) | instid1(VALU_DEP_4)
	v_cmp_eq_u32_e32 vcc_lo, 0, v74
	v_dual_cndmask_b32 v72, v74, v72 :: v_dual_and_b32 v63, 7, v63
	s_delay_alu instid0(VALU_DEP_1) | instskip(NEXT) | instid1(VALU_DEP_2)
	v_cndmask_b32_e32 v35, v35, v63, vcc_lo
	v_lshl_add_u32 v63, v72, 23, 0x3b800000
	s_delay_alu instid0(VALU_DEP_2) | instskip(NEXT) | instid1(VALU_DEP_1)
	v_lshlrev_b32_e32 v35, 20, v35
	v_or3_b32 v35, v27, v63, v35
.LBB6_11777:                            ;   in Loop: Header=BB6_10858 Depth=3
	s_or_b32 exec_lo, exec_lo, s17
	s_delay_alu instid0(VALU_DEP_1) | instskip(SKIP_1) | instid1(VALU_DEP_1)
	v_max_f32_e32 v27, v35, v35
	v_max_f32_e32 v35, v73, v73
	v_min_f32_e32 v73, v35, v27
.LBB6_11778:                            ;   in Loop: Header=BB6_10858 Depth=3
	s_delay_alu instid0(VALU_DEP_1) | instskip(NEXT) | instid1(VALU_DEP_1)
	v_and_b32_e32 v27, 0x7f800000, v73
	v_cmp_ne_u32_e32 vcc_lo, 0x7f800000, v27
	v_mov_b32_e32 v27, 0x8000
	s_and_saveexec_b32 s17, vcc_lo
	s_cbranch_execz .LBB6_11786
; %bb.11779:                            ;   in Loop: Header=BB6_10858 Depth=3
	v_mov_b32_e32 v27, 0
	s_mov_b32 s31, exec_lo
	v_cmpx_ne_u32_e32 0, v73
	s_cbranch_execz .LBB6_11785
; %bb.11780:                            ;   in Loop: Header=BB6_10858 Depth=3
	v_bfe_u32 v27, v73, 23, 8
	v_and_b32_e32 v35, 0x7fffff, v73
	s_delay_alu instid0(VALU_DEP_2) | instskip(SKIP_1) | instid1(VALU_DEP_3)
	v_sub_nc_u32_e32 v63, 0x78, v27
	v_cmp_gt_u32_e32 vcc_lo, 0x79, v27
	v_or_b32_e32 v72, 0x800000, v35
	s_delay_alu instid0(VALU_DEP_3) | instskip(SKIP_2) | instid1(VALU_DEP_3)
	v_cndmask_b32_e32 v63, 0, v63, vcc_lo
	v_cmp_eq_u32_e32 vcc_lo, 0, v27
	v_add_nc_u32_e32 v27, 0xffffff89, v27
	v_cndmask_b32_e64 v63, v63, 0x77, vcc_lo
	v_cndmask_b32_e32 v35, v72, v35, vcc_lo
	s_delay_alu instid0(VALU_DEP_3) | instskip(NEXT) | instid1(VALU_DEP_3)
	v_cndmask_b32_e64 v27, v27, 0xffffff8a, vcc_lo
	v_lshl_add_u32 v72, 0x100000, v63, -1
	s_delay_alu instid0(VALU_DEP_3) | instskip(SKIP_1) | instid1(VALU_DEP_4)
	v_lshrrev_b32_e32 v74, v63, v35
	v_lshlrev_b32_e64 v76, v63, 0x80000
	v_add_nc_u32_e32 v63, v63, v27
	s_delay_alu instid0(VALU_DEP_4) | instskip(NEXT) | instid1(VALU_DEP_4)
	v_and_b32_e32 v35, v72, v35
	v_bfe_u32 v75, v74, 20, 1
	s_delay_alu instid0(VALU_DEP_2) | instskip(NEXT) | instid1(VALU_DEP_2)
	v_cmp_eq_u32_e64 s13, v35, v76
	v_add_nc_u32_e32 v72, -1, v75
	s_delay_alu instid0(VALU_DEP_1) | instskip(SKIP_2) | instid1(VALU_DEP_2)
	v_cndmask_b32_e64 v35, 0, v72, s13
	v_lshrrev_b32_e32 v72, 23, v74
	s_mov_b32 s13, exec_lo
	v_add_nc_u32_e32 v35, v35, v74
	s_delay_alu instid0(VALU_DEP_2) | instskip(NEXT) | instid1(VALU_DEP_2)
	v_xor_b32_e32 v72, 1, v72
	v_and_b32_e32 v27, 0xfffff, v35
	s_delay_alu instid0(VALU_DEP_1) | instskip(NEXT) | instid1(VALU_DEP_3)
	v_add_nc_u32_e32 v35, v27, v74
                                        ; implicit-def: $vgpr27
	v_cmpx_ne_u32_e64 v63, v72
	s_xor_b32 s13, exec_lo, s13
; %bb.11781:                            ;   in Loop: Header=BB6_10858 Depth=3
	s_delay_alu instid0(VALU_DEP_2) | instskip(SKIP_2) | instid1(VALU_DEP_2)
	v_cmp_lt_u32_e32 vcc_lo, 0xffffff, v35
	v_sub_nc_u32_e32 v27, v63, v72
	v_cndmask_b32_e64 v63, 0, 1, vcc_lo
	v_add_co_ci_u32_e32 v27, vcc_lo, 0, v27, vcc_lo
	s_delay_alu instid0(VALU_DEP_2)
	v_lshrrev_b32_e32 v35, v63, v35
; %bb.11782:                            ;   in Loop: Header=BB6_10858 Depth=3
	s_and_not1_saveexec_b32 s13, s13
; %bb.11783:                            ;   in Loop: Header=BB6_10858 Depth=3
	s_delay_alu instid0(VALU_DEP_1)
	v_bfe_u32 v27, v35, 23, 1
; %bb.11784:                            ;   in Loop: Header=BB6_10858 Depth=3
	s_or_b32 exec_lo, exec_lo, s13
	v_lshrrev_b32_e32 v35, 20, v35
	s_delay_alu instid0(VALU_DEP_2) | instskip(SKIP_2) | instid1(VALU_DEP_3)
	v_min_i32_e32 v63, 15, v27
	v_cmp_gt_i32_e32 vcc_lo, 16, v27
	v_lshrrev_b32_e32 v72, 24, v73
	v_lshlrev_b32_e32 v63, 3, v63
	s_delay_alu instid0(VALU_DEP_2) | instskip(NEXT) | instid1(VALU_DEP_2)
	v_dual_cndmask_b32 v35, 7, v35 :: v_dual_and_b32 v72, 0x80, v72
	v_and_b32_e32 v63, 0xf8, v63
	s_delay_alu instid0(VALU_DEP_2) | instskip(SKIP_1) | instid1(VALU_DEP_2)
	v_and_b32_e32 v73, 7, v35
	v_or_b32_e32 v27, v27, v35
	v_or3_b32 v63, v72, v63, v73
	s_delay_alu instid0(VALU_DEP_2) | instskip(NEXT) | instid1(VALU_DEP_2)
	v_cmp_ne_u32_e32 vcc_lo, 0, v27
	v_lshlrev_b32_e32 v35, 8, v63
	s_delay_alu instid0(VALU_DEP_1)
	v_cndmask_b32_e32 v27, 0, v35, vcc_lo
.LBB6_11785:                            ;   in Loop: Header=BB6_10858 Depth=3
	s_or_b32 exec_lo, exec_lo, s31
.LBB6_11786:                            ;   in Loop: Header=BB6_10858 Depth=3
	s_delay_alu instid0(SALU_CYCLE_1) | instskip(NEXT) | instid1(SALU_CYCLE_1)
	s_or_b32 exec_lo, exec_lo, s17
	s_and_not1_b32 vcc_lo, exec_lo, s16
	s_cbranch_vccnz .LBB6_11796
; %bb.11787:                            ;   in Loop: Header=BB6_10858 Depth=3
	v_and_b32_e32 v63, 0xff, v20
	s_mov_b32 s13, 0
	s_mov_b32 s31, exec_lo
                                        ; implicit-def: $sgpr17
	s_delay_alu instid0(VALU_DEP_1)
	v_cmpx_lt_i16_e32 0x7f, v63
	s_xor_b32 s31, exec_lo, s31
	s_cbranch_execnz .LBB6_13224
; %bb.11788:                            ;   in Loop: Header=BB6_10858 Depth=3
	s_or_saveexec_b32 s31, s31
	v_mov_b32_e32 v35, s17
	s_xor_b32 exec_lo, exec_lo, s31
	s_cbranch_execnz .LBB6_13227
.LBB6_11789:                            ;   in Loop: Header=BB6_10858 Depth=3
	s_or_b32 exec_lo, exec_lo, s31
	s_and_saveexec_b32 s17, s13
	s_cbranch_execz .LBB6_11791
.LBB6_11790:                            ;   in Loop: Header=BB6_10858 Depth=3
	v_and_b32_e32 v35, 7, v20
	v_bfe_u32 v73, v20, 3, 4
	v_lshlrev_b32_e32 v74, 24, v20
	s_delay_alu instid0(VALU_DEP_3) | instskip(NEXT) | instid1(VALU_DEP_3)
	v_clz_i32_u32_e32 v63, v35
	v_cmp_eq_u32_e32 vcc_lo, 0, v73
	s_delay_alu instid0(VALU_DEP_2) | instskip(NEXT) | instid1(VALU_DEP_1)
	v_min_u32_e32 v63, 32, v63
	v_subrev_nc_u32_e32 v72, 28, v63
	v_sub_nc_u32_e32 v63, 29, v63
	s_delay_alu instid0(VALU_DEP_1) | instskip(NEXT) | instid1(VALU_DEP_1)
	v_dual_cndmask_b32 v63, v73, v63 :: v_dual_lshlrev_b32 v72, v72, v20
	v_and_b32_e32 v72, 7, v72
	s_delay_alu instid0(VALU_DEP_2) | instskip(NEXT) | instid1(VALU_DEP_2)
	v_lshl_add_u32 v63, v63, 23, 0x3b800000
	v_dual_cndmask_b32 v35, v35, v72 :: v_dual_and_b32 v72, 0x80000000, v74
	s_delay_alu instid0(VALU_DEP_1) | instskip(NEXT) | instid1(VALU_DEP_1)
	v_lshlrev_b32_e32 v35, 20, v35
	v_or3_b32 v35, v72, v63, v35
.LBB6_11791:                            ;   in Loop: Header=BB6_10858 Depth=3
	s_or_b32 exec_lo, exec_lo, s17
	s_waitcnt vmcnt(1)
	v_and_b32_e32 v72, 0xff, v16
	s_mov_b32 s13, 0
	s_mov_b32 s31, exec_lo
                                        ; implicit-def: $sgpr17
	s_delay_alu instid0(VALU_DEP_1)
	v_cmpx_lt_i16_e32 0x7f, v72
	s_xor_b32 s31, exec_lo, s31
	s_cbranch_execnz .LBB6_13228
; %bb.11792:                            ;   in Loop: Header=BB6_10858 Depth=3
	s_or_saveexec_b32 s31, s31
	v_mov_b32_e32 v63, s17
	s_xor_b32 exec_lo, exec_lo, s31
	s_cbranch_execnz .LBB6_13231
.LBB6_11793:                            ;   in Loop: Header=BB6_10858 Depth=3
	s_or_b32 exec_lo, exec_lo, s31
	s_and_saveexec_b32 s17, s13
	s_cbranch_execz .LBB6_11795
.LBB6_11794:                            ;   in Loop: Header=BB6_10858 Depth=3
	v_and_b32_e32 v63, 7, v16
	v_bfe_u32 v74, v16, 3, 4
	v_lshlrev_b32_e32 v75, 24, v16
	s_delay_alu instid0(VALU_DEP_3) | instskip(NEXT) | instid1(VALU_DEP_3)
	v_clz_i32_u32_e32 v72, v63
	v_cmp_eq_u32_e32 vcc_lo, 0, v74
	s_delay_alu instid0(VALU_DEP_2) | instskip(NEXT) | instid1(VALU_DEP_1)
	v_min_u32_e32 v72, 32, v72
	v_subrev_nc_u32_e32 v73, 28, v72
	v_sub_nc_u32_e32 v72, 29, v72
	s_delay_alu instid0(VALU_DEP_2) | instskip(NEXT) | instid1(VALU_DEP_1)
	v_lshlrev_b32_e32 v73, v73, v16
	v_dual_cndmask_b32 v72, v74, v72 :: v_dual_and_b32 v73, 7, v73
	s_delay_alu instid0(VALU_DEP_1) | instskip(NEXT) | instid1(VALU_DEP_2)
	v_lshl_add_u32 v72, v72, 23, 0x3b800000
	v_cndmask_b32_e32 v63, v63, v73, vcc_lo
	v_and_b32_e32 v73, 0x80000000, v75
	s_delay_alu instid0(VALU_DEP_2) | instskip(NEXT) | instid1(VALU_DEP_1)
	v_lshlrev_b32_e32 v63, 20, v63
	v_or3_b32 v63, v73, v72, v63
.LBB6_11795:                            ;   in Loop: Header=BB6_10858 Depth=3
	s_or_b32 exec_lo, exec_lo, s17
	s_delay_alu instid0(VALU_DEP_1) | instskip(SKIP_2) | instid1(VALU_DEP_1)
	v_max_f32_e32 v63, v63, v63
	v_max_f32_e32 v35, v35, v35
	s_mov_b32 s13, 0
	v_max_f32_e32 v63, v35, v63
	s_branch .LBB6_11797
.LBB6_11796:                            ;   in Loop: Header=BB6_10858 Depth=3
	s_mov_b32 s13, -1
                                        ; implicit-def: $vgpr63
.LBB6_11797:                            ;   in Loop: Header=BB6_10858 Depth=3
	s_delay_alu instid0(SALU_CYCLE_1)
	s_and_b32 vcc_lo, exec_lo, s13
	s_cbranch_vccz .LBB6_11807
; %bb.11798:                            ;   in Loop: Header=BB6_10858 Depth=3
	v_and_b32_e32 v63, 0xff, v20
	s_mov_b32 s13, 0
	s_mov_b32 s31, exec_lo
                                        ; implicit-def: $sgpr17
	s_delay_alu instid0(VALU_DEP_1)
	v_cmpx_lt_i16_e32 0x7f, v63
	s_xor_b32 s31, exec_lo, s31
	s_cbranch_execnz .LBB6_13232
; %bb.11799:                            ;   in Loop: Header=BB6_10858 Depth=3
	s_or_saveexec_b32 s31, s31
	v_mov_b32_e32 v35, s17
	s_xor_b32 exec_lo, exec_lo, s31
	s_cbranch_execnz .LBB6_13235
.LBB6_11800:                            ;   in Loop: Header=BB6_10858 Depth=3
	s_or_b32 exec_lo, exec_lo, s31
	s_and_saveexec_b32 s17, s13
	s_cbranch_execz .LBB6_11802
.LBB6_11801:                            ;   in Loop: Header=BB6_10858 Depth=3
	v_and_b32_e32 v35, 7, v20
	v_bfe_u32 v73, v20, 3, 4
	v_lshlrev_b32_e32 v74, 24, v20
	s_delay_alu instid0(VALU_DEP_3) | instskip(NEXT) | instid1(VALU_DEP_3)
	v_clz_i32_u32_e32 v63, v35
	v_cmp_eq_u32_e32 vcc_lo, 0, v73
	s_delay_alu instid0(VALU_DEP_2) | instskip(NEXT) | instid1(VALU_DEP_1)
	v_min_u32_e32 v63, 32, v63
	v_subrev_nc_u32_e32 v72, 28, v63
	v_sub_nc_u32_e32 v63, 29, v63
	s_delay_alu instid0(VALU_DEP_1) | instskip(NEXT) | instid1(VALU_DEP_1)
	v_dual_cndmask_b32 v63, v73, v63 :: v_dual_lshlrev_b32 v72, v72, v20
	v_and_b32_e32 v72, 7, v72
	s_delay_alu instid0(VALU_DEP_2) | instskip(NEXT) | instid1(VALU_DEP_2)
	v_lshl_add_u32 v63, v63, 23, 0x3b800000
	v_dual_cndmask_b32 v35, v35, v72 :: v_dual_and_b32 v72, 0x80000000, v74
	s_delay_alu instid0(VALU_DEP_1) | instskip(NEXT) | instid1(VALU_DEP_1)
	v_lshlrev_b32_e32 v35, 20, v35
	v_or3_b32 v35, v72, v63, v35
.LBB6_11802:                            ;   in Loop: Header=BB6_10858 Depth=3
	s_or_b32 exec_lo, exec_lo, s17
	s_waitcnt vmcnt(1)
	v_and_b32_e32 v72, 0xff, v16
	s_mov_b32 s13, 0
	s_mov_b32 s31, exec_lo
                                        ; implicit-def: $sgpr17
	s_delay_alu instid0(VALU_DEP_1)
	v_cmpx_lt_i16_e32 0x7f, v72
	s_xor_b32 s31, exec_lo, s31
	s_cbranch_execnz .LBB6_13236
; %bb.11803:                            ;   in Loop: Header=BB6_10858 Depth=3
	s_or_saveexec_b32 s31, s31
	v_mov_b32_e32 v63, s17
	s_xor_b32 exec_lo, exec_lo, s31
	s_cbranch_execnz .LBB6_13239
.LBB6_11804:                            ;   in Loop: Header=BB6_10858 Depth=3
	s_or_b32 exec_lo, exec_lo, s31
	s_and_saveexec_b32 s17, s13
	s_cbranch_execz .LBB6_11806
.LBB6_11805:                            ;   in Loop: Header=BB6_10858 Depth=3
	v_and_b32_e32 v63, 7, v16
	v_bfe_u32 v74, v16, 3, 4
	v_lshlrev_b32_e32 v75, 24, v16
	s_delay_alu instid0(VALU_DEP_3) | instskip(NEXT) | instid1(VALU_DEP_3)
	v_clz_i32_u32_e32 v72, v63
	v_cmp_eq_u32_e32 vcc_lo, 0, v74
	s_delay_alu instid0(VALU_DEP_2) | instskip(NEXT) | instid1(VALU_DEP_1)
	v_min_u32_e32 v72, 32, v72
	v_subrev_nc_u32_e32 v73, 28, v72
	v_sub_nc_u32_e32 v72, 29, v72
	s_delay_alu instid0(VALU_DEP_2) | instskip(NEXT) | instid1(VALU_DEP_1)
	v_lshlrev_b32_e32 v73, v73, v16
	v_dual_cndmask_b32 v72, v74, v72 :: v_dual_and_b32 v73, 7, v73
	s_delay_alu instid0(VALU_DEP_1) | instskip(NEXT) | instid1(VALU_DEP_2)
	v_lshl_add_u32 v72, v72, 23, 0x3b800000
	v_cndmask_b32_e32 v63, v63, v73, vcc_lo
	v_and_b32_e32 v73, 0x80000000, v75
	s_delay_alu instid0(VALU_DEP_2) | instskip(NEXT) | instid1(VALU_DEP_1)
	v_lshlrev_b32_e32 v63, 20, v63
	v_or3_b32 v63, v73, v72, v63
.LBB6_11806:                            ;   in Loop: Header=BB6_10858 Depth=3
	s_or_b32 exec_lo, exec_lo, s17
	s_delay_alu instid0(VALU_DEP_1) | instskip(SKIP_1) | instid1(VALU_DEP_1)
	v_max_f32_e32 v63, v63, v63
	v_max_f32_e32 v35, v35, v35
	v_min_f32_e32 v63, v35, v63
.LBB6_11807:                            ;   in Loop: Header=BB6_10858 Depth=3
	s_delay_alu instid0(VALU_DEP_1) | instskip(NEXT) | instid1(VALU_DEP_1)
	v_and_b32_e32 v35, 0x7f800000, v63
	v_cmp_ne_u32_e32 vcc_lo, 0x7f800000, v35
	v_mov_b32_e32 v35, 0x80
	s_and_saveexec_b32 s17, vcc_lo
	s_cbranch_execz .LBB6_11815
; %bb.11808:                            ;   in Loop: Header=BB6_10858 Depth=3
	v_mov_b32_e32 v35, 0
	s_mov_b32 s31, exec_lo
	v_cmpx_ne_u32_e32 0, v63
	s_cbranch_execz .LBB6_11814
; %bb.11809:                            ;   in Loop: Header=BB6_10858 Depth=3
	v_bfe_u32 v35, v63, 23, 8
	s_delay_alu instid0(VALU_DEP_1) | instskip(SKIP_1) | instid1(VALU_DEP_2)
	v_sub_nc_u32_e32 v73, 0x78, v35
	v_cmp_gt_u32_e32 vcc_lo, 0x79, v35
	v_dual_cndmask_b32 v73, 0, v73 :: v_dual_and_b32 v72, 0x7fffff, v63
	s_delay_alu instid0(VALU_DEP_1) | instskip(SKIP_2) | instid1(VALU_DEP_4)
	v_or_b32_e32 v74, 0x800000, v72
	v_cmp_eq_u32_e32 vcc_lo, 0, v35
	v_add_nc_u32_e32 v35, 0xffffff89, v35
	v_cndmask_b32_e64 v73, v73, 0x77, vcc_lo
	s_delay_alu instid0(VALU_DEP_4) | instskip(NEXT) | instid1(VALU_DEP_3)
	v_cndmask_b32_e32 v72, v74, v72, vcc_lo
	v_cndmask_b32_e64 v35, v35, 0xffffff8a, vcc_lo
	s_delay_alu instid0(VALU_DEP_3) | instskip(NEXT) | instid1(VALU_DEP_3)
	v_lshl_add_u32 v74, 0x100000, v73, -1
	v_lshrrev_b32_e32 v75, v73, v72
	v_lshlrev_b32_e64 v77, v73, 0x80000
	s_delay_alu instid0(VALU_DEP_4) | instskip(NEXT) | instid1(VALU_DEP_4)
	v_add_nc_u32_e32 v73, v73, v35
	v_and_b32_e32 v72, v74, v72
	s_delay_alu instid0(VALU_DEP_4) | instskip(NEXT) | instid1(VALU_DEP_2)
	v_bfe_u32 v76, v75, 20, 1
	v_cmp_eq_u32_e64 s13, v72, v77
	s_delay_alu instid0(VALU_DEP_2) | instskip(NEXT) | instid1(VALU_DEP_1)
	v_add_nc_u32_e32 v74, -1, v76
	v_cndmask_b32_e64 v72, 0, v74, s13
	v_lshrrev_b32_e32 v74, 23, v75
	s_mov_b32 s13, exec_lo
	s_delay_alu instid0(VALU_DEP_2) | instskip(NEXT) | instid1(VALU_DEP_2)
	v_add_nc_u32_e32 v72, v72, v75
	v_xor_b32_e32 v74, 1, v74
	s_delay_alu instid0(VALU_DEP_2) | instskip(NEXT) | instid1(VALU_DEP_1)
	v_and_b32_e32 v35, 0xfffff, v72
	v_add_nc_u32_e32 v72, v35, v75
                                        ; implicit-def: $vgpr35
	s_delay_alu instid0(VALU_DEP_3)
	v_cmpx_ne_u32_e64 v73, v74
	s_xor_b32 s13, exec_lo, s13
; %bb.11810:                            ;   in Loop: Header=BB6_10858 Depth=3
	s_delay_alu instid0(VALU_DEP_2) | instskip(SKIP_2) | instid1(VALU_DEP_2)
	v_cmp_lt_u32_e32 vcc_lo, 0xffffff, v72
	v_sub_nc_u32_e32 v35, v73, v74
	v_cndmask_b32_e64 v73, 0, 1, vcc_lo
	v_add_co_ci_u32_e32 v35, vcc_lo, 0, v35, vcc_lo
	s_delay_alu instid0(VALU_DEP_2)
	v_lshrrev_b32_e32 v72, v73, v72
; %bb.11811:                            ;   in Loop: Header=BB6_10858 Depth=3
	s_and_not1_saveexec_b32 s13, s13
; %bb.11812:                            ;   in Loop: Header=BB6_10858 Depth=3
	s_delay_alu instid0(VALU_DEP_1)
	v_bfe_u32 v35, v72, 23, 1
; %bb.11813:                            ;   in Loop: Header=BB6_10858 Depth=3
	s_or_b32 exec_lo, exec_lo, s13
	v_lshrrev_b32_e32 v72, 20, v72
	s_delay_alu instid0(VALU_DEP_2) | instskip(SKIP_2) | instid1(VALU_DEP_2)
	v_cmp_gt_i32_e32 vcc_lo, 16, v35
	v_lshrrev_b32_e32 v63, 24, v63
	v_min_i32_e32 v73, 15, v35
	v_dual_cndmask_b32 v72, 7, v72 :: v_dual_and_b32 v63, 0x80, v63
	s_delay_alu instid0(VALU_DEP_2) | instskip(NEXT) | instid1(VALU_DEP_2)
	v_lshlrev_b32_e32 v73, 3, v73
	v_or_b32_e32 v35, v35, v72
	s_delay_alu instid0(VALU_DEP_1) | instskip(SKIP_1) | instid1(VALU_DEP_1)
	v_cmp_ne_u32_e32 vcc_lo, 0, v35
	v_and_b32_e32 v74, 7, v72
	v_or3_b32 v63, v73, v63, v74
	s_delay_alu instid0(VALU_DEP_1)
	v_cndmask_b32_e32 v35, 0, v63, vcc_lo
.LBB6_11814:                            ;   in Loop: Header=BB6_10858 Depth=3
	s_or_b32 exec_lo, exec_lo, s31
.LBB6_11815:                            ;   in Loop: Header=BB6_10858 Depth=3
	s_delay_alu instid0(SALU_CYCLE_1)
	s_or_b32 exec_lo, exec_lo, s17
	v_lshrrev_b16 v72, 8, v20
	s_waitcnt vmcnt(1)
	v_lshrrev_b16 v63, 8, v16
	s_and_not1_b32 vcc_lo, exec_lo, s16
	s_cbranch_vccnz .LBB6_11825
; %bb.11816:                            ;   in Loop: Header=BB6_10858 Depth=3
	s_mov_b32 s13, 0
	s_mov_b32 s31, exec_lo
                                        ; implicit-def: $sgpr17
	v_cmpx_lt_i16_e32 0x7f, v72
	s_xor_b32 s31, exec_lo, s31
	s_cbranch_execnz .LBB6_13240
; %bb.11817:                            ;   in Loop: Header=BB6_10858 Depth=3
	s_or_saveexec_b32 s31, s31
	v_mov_b32_e32 v73, s17
	s_xor_b32 exec_lo, exec_lo, s31
	s_cbranch_execnz .LBB6_13243
.LBB6_11818:                            ;   in Loop: Header=BB6_10858 Depth=3
	s_or_b32 exec_lo, exec_lo, s31
	s_and_saveexec_b32 s17, s13
	s_cbranch_execz .LBB6_11820
.LBB6_11819:                            ;   in Loop: Header=BB6_10858 Depth=3
	v_and_b32_e32 v73, 0xffff, v72
	v_lshlrev_b32_e32 v77, 16, v20
	s_delay_alu instid0(VALU_DEP_2) | instskip(NEXT) | instid1(VALU_DEP_1)
	v_and_b32_e32 v74, 7, v73
	v_clz_i32_u32_e32 v75, v74
	s_delay_alu instid0(VALU_DEP_1) | instskip(NEXT) | instid1(VALU_DEP_1)
	v_min_u32_e32 v75, 32, v75
	v_subrev_nc_u32_e32 v76, 28, v75
	v_sub_nc_u32_e32 v75, 29, v75
	s_delay_alu instid0(VALU_DEP_2) | instskip(SKIP_1) | instid1(VALU_DEP_2)
	v_lshlrev_b32_e32 v76, v76, v73
	v_bfe_u32 v73, v73, 3, 4
	v_and_b32_e32 v76, 7, v76
	s_delay_alu instid0(VALU_DEP_2) | instskip(NEXT) | instid1(VALU_DEP_2)
	v_cmp_eq_u32_e32 vcc_lo, 0, v73
	v_dual_cndmask_b32 v73, v73, v75 :: v_dual_cndmask_b32 v74, v74, v76
	v_and_b32_e32 v75, 0x80000000, v77
	s_delay_alu instid0(VALU_DEP_2) | instskip(NEXT) | instid1(VALU_DEP_3)
	v_lshl_add_u32 v73, v73, 23, 0x3b800000
	v_lshlrev_b32_e32 v74, 20, v74
	s_delay_alu instid0(VALU_DEP_1)
	v_or3_b32 v73, v75, v73, v74
.LBB6_11820:                            ;   in Loop: Header=BB6_10858 Depth=3
	s_or_b32 exec_lo, exec_lo, s17
	s_mov_b32 s13, 0
	s_mov_b32 s31, exec_lo
                                        ; implicit-def: $sgpr17
	v_cmpx_lt_i16_e32 0x7f, v63
	s_xor_b32 s31, exec_lo, s31
	s_cbranch_execnz .LBB6_13244
; %bb.11821:                            ;   in Loop: Header=BB6_10858 Depth=3
	s_or_saveexec_b32 s31, s31
	v_mov_b32_e32 v74, s17
	s_xor_b32 exec_lo, exec_lo, s31
	s_cbranch_execnz .LBB6_13247
.LBB6_11822:                            ;   in Loop: Header=BB6_10858 Depth=3
	s_or_b32 exec_lo, exec_lo, s31
	s_and_saveexec_b32 s17, s13
	s_cbranch_execz .LBB6_11824
.LBB6_11823:                            ;   in Loop: Header=BB6_10858 Depth=3
	v_and_b32_e32 v74, 0xffff, v63
	v_lshlrev_b32_e32 v78, 16, v16
	s_delay_alu instid0(VALU_DEP_2) | instskip(NEXT) | instid1(VALU_DEP_1)
	v_and_b32_e32 v75, 7, v74
	v_clz_i32_u32_e32 v76, v75
	s_delay_alu instid0(VALU_DEP_1) | instskip(NEXT) | instid1(VALU_DEP_1)
	v_min_u32_e32 v76, 32, v76
	v_subrev_nc_u32_e32 v77, 28, v76
	v_sub_nc_u32_e32 v76, 29, v76
	s_delay_alu instid0(VALU_DEP_2) | instskip(SKIP_1) | instid1(VALU_DEP_2)
	v_lshlrev_b32_e32 v77, v77, v74
	v_bfe_u32 v74, v74, 3, 4
	v_and_b32_e32 v77, 7, v77
	s_delay_alu instid0(VALU_DEP_2) | instskip(NEXT) | instid1(VALU_DEP_2)
	v_cmp_eq_u32_e32 vcc_lo, 0, v74
	v_dual_cndmask_b32 v74, v74, v76 :: v_dual_cndmask_b32 v75, v75, v77
	v_and_b32_e32 v76, 0x80000000, v78
	s_delay_alu instid0(VALU_DEP_2) | instskip(NEXT) | instid1(VALU_DEP_3)
	v_lshl_add_u32 v74, v74, 23, 0x3b800000
	v_lshlrev_b32_e32 v75, 20, v75
	s_delay_alu instid0(VALU_DEP_1)
	v_or3_b32 v74, v76, v74, v75
.LBB6_11824:                            ;   in Loop: Header=BB6_10858 Depth=3
	s_or_b32 exec_lo, exec_lo, s17
	s_delay_alu instid0(VALU_DEP_1) | instskip(SKIP_1) | instid1(VALU_DEP_1)
	v_dual_max_f32 v74, v74, v74 :: v_dual_max_f32 v73, v73, v73
	s_mov_b32 s13, 0
	v_max_f32_e32 v73, v73, v74
	s_branch .LBB6_11826
.LBB6_11825:                            ;   in Loop: Header=BB6_10858 Depth=3
	s_mov_b32 s13, -1
                                        ; implicit-def: $vgpr73
.LBB6_11826:                            ;   in Loop: Header=BB6_10858 Depth=3
	s_delay_alu instid0(SALU_CYCLE_1)
	s_and_b32 vcc_lo, exec_lo, s13
	s_cbranch_vccz .LBB6_11836
; %bb.11827:                            ;   in Loop: Header=BB6_10858 Depth=3
	s_mov_b32 s13, 0
	s_mov_b32 s31, exec_lo
                                        ; implicit-def: $sgpr17
	v_cmpx_lt_i16_e32 0x7f, v72
	s_xor_b32 s31, exec_lo, s31
	s_cbranch_execnz .LBB6_13248
; %bb.11828:                            ;   in Loop: Header=BB6_10858 Depth=3
	s_or_saveexec_b32 s31, s31
	v_mov_b32_e32 v73, s17
	s_xor_b32 exec_lo, exec_lo, s31
	s_cbranch_execnz .LBB6_13251
.LBB6_11829:                            ;   in Loop: Header=BB6_10858 Depth=3
	s_or_b32 exec_lo, exec_lo, s31
	s_and_saveexec_b32 s17, s13
	s_cbranch_execz .LBB6_11831
.LBB6_11830:                            ;   in Loop: Header=BB6_10858 Depth=3
	v_and_b32_e32 v72, 0xffff, v72
	v_lshlrev_b32_e32 v76, 16, v20
	s_delay_alu instid0(VALU_DEP_2) | instskip(NEXT) | instid1(VALU_DEP_1)
	v_and_b32_e32 v73, 7, v72
	v_clz_i32_u32_e32 v74, v73
	s_delay_alu instid0(VALU_DEP_1) | instskip(NEXT) | instid1(VALU_DEP_1)
	v_min_u32_e32 v74, 32, v74
	v_subrev_nc_u32_e32 v75, 28, v74
	v_sub_nc_u32_e32 v74, 29, v74
	s_delay_alu instid0(VALU_DEP_2) | instskip(SKIP_1) | instid1(VALU_DEP_2)
	v_lshlrev_b32_e32 v75, v75, v72
	v_bfe_u32 v72, v72, 3, 4
	v_and_b32_e32 v75, 7, v75
	s_delay_alu instid0(VALU_DEP_2) | instskip(NEXT) | instid1(VALU_DEP_2)
	v_cmp_eq_u32_e32 vcc_lo, 0, v72
	v_dual_cndmask_b32 v72, v72, v74 :: v_dual_cndmask_b32 v73, v73, v75
	v_and_b32_e32 v74, 0x80000000, v76
	s_delay_alu instid0(VALU_DEP_2) | instskip(NEXT) | instid1(VALU_DEP_3)
	v_lshl_add_u32 v72, v72, 23, 0x3b800000
	v_lshlrev_b32_e32 v73, 20, v73
	s_delay_alu instid0(VALU_DEP_1)
	v_or3_b32 v73, v74, v72, v73
.LBB6_11831:                            ;   in Loop: Header=BB6_10858 Depth=3
	s_or_b32 exec_lo, exec_lo, s17
	s_mov_b32 s13, 0
	s_mov_b32 s31, exec_lo
                                        ; implicit-def: $sgpr17
	v_cmpx_lt_i16_e32 0x7f, v63
	s_xor_b32 s31, exec_lo, s31
	s_cbranch_execnz .LBB6_13252
; %bb.11832:                            ;   in Loop: Header=BB6_10858 Depth=3
	s_or_saveexec_b32 s31, s31
	v_mov_b32_e32 v72, s17
	s_xor_b32 exec_lo, exec_lo, s31
	s_cbranch_execnz .LBB6_13255
.LBB6_11833:                            ;   in Loop: Header=BB6_10858 Depth=3
	s_or_b32 exec_lo, exec_lo, s31
	s_and_saveexec_b32 s17, s13
	s_cbranch_execz .LBB6_11835
.LBB6_11834:                            ;   in Loop: Header=BB6_10858 Depth=3
	v_and_b32_e32 v63, 0xffff, v63
	v_lshlrev_b32_e32 v76, 16, v16
	s_delay_alu instid0(VALU_DEP_2) | instskip(NEXT) | instid1(VALU_DEP_1)
	v_and_b32_e32 v72, 7, v63
	v_clz_i32_u32_e32 v74, v72
	s_delay_alu instid0(VALU_DEP_1) | instskip(NEXT) | instid1(VALU_DEP_1)
	v_min_u32_e32 v74, 32, v74
	v_subrev_nc_u32_e32 v75, 28, v74
	v_sub_nc_u32_e32 v74, 29, v74
	s_delay_alu instid0(VALU_DEP_2) | instskip(SKIP_1) | instid1(VALU_DEP_2)
	v_lshlrev_b32_e32 v75, v75, v63
	v_bfe_u32 v63, v63, 3, 4
	v_and_b32_e32 v75, 7, v75
	s_delay_alu instid0(VALU_DEP_2) | instskip(NEXT) | instid1(VALU_DEP_2)
	v_cmp_eq_u32_e32 vcc_lo, 0, v63
	v_dual_cndmask_b32 v63, v63, v74 :: v_dual_cndmask_b32 v72, v72, v75
	v_and_b32_e32 v74, 0x80000000, v76
	s_delay_alu instid0(VALU_DEP_2) | instskip(NEXT) | instid1(VALU_DEP_3)
	v_lshl_add_u32 v63, v63, 23, 0x3b800000
	v_lshlrev_b32_e32 v72, 20, v72
	s_delay_alu instid0(VALU_DEP_1)
	v_or3_b32 v72, v74, v63, v72
.LBB6_11835:                            ;   in Loop: Header=BB6_10858 Depth=3
	s_or_b32 exec_lo, exec_lo, s17
	s_delay_alu instid0(VALU_DEP_1) | instskip(NEXT) | instid1(VALU_DEP_1)
	v_dual_max_f32 v63, v72, v72 :: v_dual_max_f32 v72, v73, v73
	v_min_f32_e32 v73, v72, v63
.LBB6_11836:                            ;   in Loop: Header=BB6_10858 Depth=3
	s_delay_alu instid0(VALU_DEP_1) | instskip(NEXT) | instid1(VALU_DEP_1)
	v_and_b32_e32 v63, 0x7f800000, v73
	v_cmp_ne_u32_e32 vcc_lo, 0x7f800000, v63
	v_mov_b32_e32 v63, 0x80
	s_and_saveexec_b32 s17, vcc_lo
	s_cbranch_execz .LBB6_11844
; %bb.11837:                            ;   in Loop: Header=BB6_10858 Depth=3
	v_mov_b32_e32 v63, 0
	s_mov_b32 s31, exec_lo
	v_cmpx_ne_u32_e32 0, v73
	s_cbranch_execz .LBB6_11843
; %bb.11838:                            ;   in Loop: Header=BB6_10858 Depth=3
	v_bfe_u32 v63, v73, 23, 8
	v_and_b32_e32 v72, 0x7fffff, v73
	s_delay_alu instid0(VALU_DEP_2) | instskip(SKIP_1) | instid1(VALU_DEP_3)
	v_sub_nc_u32_e32 v74, 0x78, v63
	v_cmp_gt_u32_e32 vcc_lo, 0x79, v63
	v_or_b32_e32 v75, 0x800000, v72
	s_delay_alu instid0(VALU_DEP_3) | instskip(SKIP_2) | instid1(VALU_DEP_3)
	v_cndmask_b32_e32 v74, 0, v74, vcc_lo
	v_cmp_eq_u32_e32 vcc_lo, 0, v63
	v_add_nc_u32_e32 v63, 0xffffff89, v63
	v_cndmask_b32_e64 v74, v74, 0x77, vcc_lo
	v_cndmask_b32_e32 v72, v75, v72, vcc_lo
	s_delay_alu instid0(VALU_DEP_3) | instskip(NEXT) | instid1(VALU_DEP_3)
	v_cndmask_b32_e64 v63, v63, 0xffffff8a, vcc_lo
	v_lshl_add_u32 v75, 0x100000, v74, -1
	s_delay_alu instid0(VALU_DEP_3) | instskip(SKIP_1) | instid1(VALU_DEP_4)
	v_lshrrev_b32_e32 v76, v74, v72
	v_lshlrev_b32_e64 v78, v74, 0x80000
	v_add_nc_u32_e32 v74, v74, v63
	s_delay_alu instid0(VALU_DEP_4) | instskip(NEXT) | instid1(VALU_DEP_4)
	v_and_b32_e32 v72, v75, v72
	v_bfe_u32 v77, v76, 20, 1
	s_delay_alu instid0(VALU_DEP_2) | instskip(NEXT) | instid1(VALU_DEP_2)
	v_cmp_eq_u32_e64 s13, v72, v78
	v_add_nc_u32_e32 v75, -1, v77
	s_delay_alu instid0(VALU_DEP_1) | instskip(SKIP_2) | instid1(VALU_DEP_2)
	v_cndmask_b32_e64 v72, 0, v75, s13
	v_lshrrev_b32_e32 v75, 23, v76
	s_mov_b32 s13, exec_lo
	v_add_nc_u32_e32 v72, v72, v76
	s_delay_alu instid0(VALU_DEP_2) | instskip(NEXT) | instid1(VALU_DEP_2)
	v_xor_b32_e32 v75, 1, v75
	v_and_b32_e32 v63, 0xfffff, v72
	s_delay_alu instid0(VALU_DEP_1) | instskip(NEXT) | instid1(VALU_DEP_3)
	v_add_nc_u32_e32 v72, v63, v76
                                        ; implicit-def: $vgpr63
	v_cmpx_ne_u32_e64 v74, v75
	s_xor_b32 s13, exec_lo, s13
; %bb.11839:                            ;   in Loop: Header=BB6_10858 Depth=3
	s_delay_alu instid0(VALU_DEP_2) | instskip(SKIP_2) | instid1(VALU_DEP_2)
	v_cmp_lt_u32_e32 vcc_lo, 0xffffff, v72
	v_sub_nc_u32_e32 v63, v74, v75
	v_cndmask_b32_e64 v74, 0, 1, vcc_lo
	v_add_co_ci_u32_e32 v63, vcc_lo, 0, v63, vcc_lo
	s_delay_alu instid0(VALU_DEP_2)
	v_lshrrev_b32_e32 v72, v74, v72
; %bb.11840:                            ;   in Loop: Header=BB6_10858 Depth=3
	s_and_not1_saveexec_b32 s13, s13
; %bb.11841:                            ;   in Loop: Header=BB6_10858 Depth=3
	s_delay_alu instid0(VALU_DEP_1)
	v_bfe_u32 v63, v72, 23, 1
; %bb.11842:                            ;   in Loop: Header=BB6_10858 Depth=3
	s_or_b32 exec_lo, exec_lo, s13
	v_lshrrev_b32_e32 v72, 20, v72
	s_delay_alu instid0(VALU_DEP_2) | instskip(SKIP_2) | instid1(VALU_DEP_2)
	v_cmp_gt_i32_e32 vcc_lo, 16, v63
	v_lshrrev_b32_e32 v73, 24, v73
	v_min_i32_e32 v74, 15, v63
	v_dual_cndmask_b32 v72, 7, v72 :: v_dual_and_b32 v73, 0x80, v73
	s_delay_alu instid0(VALU_DEP_1) | instskip(SKIP_1) | instid1(VALU_DEP_2)
	v_or_b32_e32 v63, v63, v72
	v_and_b32_e32 v75, 7, v72
	v_cmp_ne_u32_e32 vcc_lo, 0, v63
	v_lshlrev_b32_e32 v74, 3, v74
	s_delay_alu instid0(VALU_DEP_1) | instskip(NEXT) | instid1(VALU_DEP_1)
	v_or3_b32 v72, v74, v73, v75
	v_cndmask_b32_e32 v63, 0, v72, vcc_lo
.LBB6_11843:                            ;   in Loop: Header=BB6_10858 Depth=3
	s_or_b32 exec_lo, exec_lo, s31
.LBB6_11844:                            ;   in Loop: Header=BB6_10858 Depth=3
	s_delay_alu instid0(SALU_CYCLE_1)
	s_or_b32 exec_lo, exec_lo, s17
	v_lshrrev_b32_e32 v73, 16, v20
	v_lshrrev_b32_e32 v72, 16, v16
	s_and_not1_b32 vcc_lo, exec_lo, s16
	s_cbranch_vccnz .LBB6_11854
; %bb.11845:                            ;   in Loop: Header=BB6_10858 Depth=3
	s_delay_alu instid0(VALU_DEP_2) | instskip(SKIP_2) | instid1(VALU_DEP_1)
	v_and_b32_e32 v75, 0xff, v73
	s_mov_b32 s13, 0
	s_mov_b32 s31, exec_lo
                                        ; implicit-def: $sgpr17
	v_cmpx_lt_i16_e32 0x7f, v75
	s_xor_b32 s31, exec_lo, s31
	s_cbranch_execnz .LBB6_13256
; %bb.11846:                            ;   in Loop: Header=BB6_10858 Depth=3
	s_or_saveexec_b32 s31, s31
	v_mov_b32_e32 v74, s17
	s_xor_b32 exec_lo, exec_lo, s31
	s_cbranch_execnz .LBB6_13259
.LBB6_11847:                            ;   in Loop: Header=BB6_10858 Depth=3
	s_or_b32 exec_lo, exec_lo, s31
	s_and_saveexec_b32 s17, s13
	s_cbranch_execz .LBB6_11849
.LBB6_11848:                            ;   in Loop: Header=BB6_10858 Depth=3
	v_bfe_u32 v74, v20, 16, 3
	v_bfe_u32 v77, v20, 19, 4
	v_lshlrev_b32_e32 v78, 24, v73
	s_delay_alu instid0(VALU_DEP_3) | instskip(NEXT) | instid1(VALU_DEP_3)
	v_clz_i32_u32_e32 v75, v74
	v_cmp_eq_u32_e32 vcc_lo, 0, v77
	s_delay_alu instid0(VALU_DEP_2) | instskip(NEXT) | instid1(VALU_DEP_1)
	v_min_u32_e32 v75, 32, v75
	v_subrev_nc_u32_e32 v76, 28, v75
	v_sub_nc_u32_e32 v75, 29, v75
	s_delay_alu instid0(VALU_DEP_1) | instskip(NEXT) | instid1(VALU_DEP_1)
	v_dual_cndmask_b32 v75, v77, v75 :: v_dual_lshlrev_b32 v76, v76, v73
	v_and_b32_e32 v76, 7, v76
	s_delay_alu instid0(VALU_DEP_2) | instskip(NEXT) | instid1(VALU_DEP_2)
	v_lshl_add_u32 v75, v75, 23, 0x3b800000
	v_cndmask_b32_e32 v74, v74, v76, vcc_lo
	v_and_b32_e32 v76, 0x80000000, v78
	s_delay_alu instid0(VALU_DEP_2) | instskip(NEXT) | instid1(VALU_DEP_1)
	v_lshlrev_b32_e32 v74, 20, v74
	v_or3_b32 v74, v76, v75, v74
.LBB6_11849:                            ;   in Loop: Header=BB6_10858 Depth=3
	s_or_b32 exec_lo, exec_lo, s17
	v_and_b32_e32 v76, 0xff, v72
	s_mov_b32 s13, 0
	s_mov_b32 s31, exec_lo
                                        ; implicit-def: $sgpr17
	s_delay_alu instid0(VALU_DEP_1)
	v_cmpx_lt_i16_e32 0x7f, v76
	s_xor_b32 s31, exec_lo, s31
	s_cbranch_execnz .LBB6_13260
; %bb.11850:                            ;   in Loop: Header=BB6_10858 Depth=3
	s_or_saveexec_b32 s31, s31
	v_mov_b32_e32 v75, s17
	s_xor_b32 exec_lo, exec_lo, s31
	s_cbranch_execnz .LBB6_13263
.LBB6_11851:                            ;   in Loop: Header=BB6_10858 Depth=3
	s_or_b32 exec_lo, exec_lo, s31
	s_and_saveexec_b32 s17, s13
	s_cbranch_execz .LBB6_11853
.LBB6_11852:                            ;   in Loop: Header=BB6_10858 Depth=3
	v_bfe_u32 v75, v16, 16, 3
	v_bfe_u32 v78, v16, 19, 4
	v_lshlrev_b32_e32 v79, 24, v72
	s_delay_alu instid0(VALU_DEP_3) | instskip(NEXT) | instid1(VALU_DEP_3)
	v_clz_i32_u32_e32 v76, v75
	v_cmp_eq_u32_e32 vcc_lo, 0, v78
	s_delay_alu instid0(VALU_DEP_2) | instskip(NEXT) | instid1(VALU_DEP_1)
	v_min_u32_e32 v76, 32, v76
	v_subrev_nc_u32_e32 v77, 28, v76
	v_sub_nc_u32_e32 v76, 29, v76
	s_delay_alu instid0(VALU_DEP_2) | instskip(NEXT) | instid1(VALU_DEP_1)
	v_lshlrev_b32_e32 v77, v77, v72
	v_dual_cndmask_b32 v76, v78, v76 :: v_dual_and_b32 v77, 7, v77
	s_delay_alu instid0(VALU_DEP_1) | instskip(NEXT) | instid1(VALU_DEP_2)
	v_lshl_add_u32 v76, v76, 23, 0x3b800000
	v_cndmask_b32_e32 v75, v75, v77, vcc_lo
	v_and_b32_e32 v77, 0x80000000, v79
	s_delay_alu instid0(VALU_DEP_2) | instskip(NEXT) | instid1(VALU_DEP_1)
	v_lshlrev_b32_e32 v75, 20, v75
	v_or3_b32 v75, v77, v76, v75
.LBB6_11853:                            ;   in Loop: Header=BB6_10858 Depth=3
	s_or_b32 exec_lo, exec_lo, s17
	s_delay_alu instid0(VALU_DEP_1) | instskip(SKIP_1) | instid1(VALU_DEP_1)
	v_dual_max_f32 v75, v75, v75 :: v_dual_max_f32 v74, v74, v74
	s_mov_b32 s13, 0
	v_max_f32_e32 v74, v74, v75
	s_branch .LBB6_11855
.LBB6_11854:                            ;   in Loop: Header=BB6_10858 Depth=3
	s_mov_b32 s13, -1
                                        ; implicit-def: $vgpr74
.LBB6_11855:                            ;   in Loop: Header=BB6_10858 Depth=3
	s_delay_alu instid0(SALU_CYCLE_1)
	s_and_b32 vcc_lo, exec_lo, s13
	s_cbranch_vccz .LBB6_11865
; %bb.11856:                            ;   in Loop: Header=BB6_10858 Depth=3
	v_and_b32_e32 v75, 0xff, v73
	s_mov_b32 s13, 0
	s_mov_b32 s31, exec_lo
                                        ; implicit-def: $sgpr17
	s_delay_alu instid0(VALU_DEP_1)
	v_cmpx_lt_i16_e32 0x7f, v75
	s_xor_b32 s31, exec_lo, s31
	s_cbranch_execnz .LBB6_13264
; %bb.11857:                            ;   in Loop: Header=BB6_10858 Depth=3
	s_or_saveexec_b32 s31, s31
	v_mov_b32_e32 v74, s17
	s_xor_b32 exec_lo, exec_lo, s31
	s_cbranch_execnz .LBB6_13267
.LBB6_11858:                            ;   in Loop: Header=BB6_10858 Depth=3
	s_or_b32 exec_lo, exec_lo, s31
	s_and_saveexec_b32 s17, s13
	s_cbranch_execz .LBB6_11860
.LBB6_11859:                            ;   in Loop: Header=BB6_10858 Depth=3
	v_bfe_u32 v74, v20, 16, 3
	v_bfe_u32 v77, v20, 19, 4
	s_delay_alu instid0(VALU_DEP_2) | instskip(NEXT) | instid1(VALU_DEP_2)
	v_clz_i32_u32_e32 v75, v74
	v_cmp_eq_u32_e32 vcc_lo, 0, v77
	s_delay_alu instid0(VALU_DEP_2) | instskip(NEXT) | instid1(VALU_DEP_1)
	v_min_u32_e32 v75, 32, v75
	v_subrev_nc_u32_e32 v76, 28, v75
	v_sub_nc_u32_e32 v75, 29, v75
	s_delay_alu instid0(VALU_DEP_1) | instskip(NEXT) | instid1(VALU_DEP_1)
	v_dual_cndmask_b32 v75, v77, v75 :: v_dual_lshlrev_b32 v76, v76, v73
	v_and_b32_e32 v76, 7, v76
	v_lshlrev_b32_e32 v73, 24, v73
	s_delay_alu instid0(VALU_DEP_3) | instskip(NEXT) | instid1(VALU_DEP_2)
	v_lshl_add_u32 v75, v75, 23, 0x3b800000
	v_dual_cndmask_b32 v74, v74, v76 :: v_dual_and_b32 v73, 0x80000000, v73
	s_delay_alu instid0(VALU_DEP_1) | instskip(NEXT) | instid1(VALU_DEP_1)
	v_lshlrev_b32_e32 v74, 20, v74
	v_or3_b32 v74, v73, v75, v74
.LBB6_11860:                            ;   in Loop: Header=BB6_10858 Depth=3
	s_or_b32 exec_lo, exec_lo, s17
	v_and_b32_e32 v75, 0xff, v72
	s_mov_b32 s13, 0
	s_mov_b32 s31, exec_lo
                                        ; implicit-def: $sgpr17
	s_delay_alu instid0(VALU_DEP_1)
	v_cmpx_lt_i16_e32 0x7f, v75
	s_xor_b32 s31, exec_lo, s31
	s_cbranch_execnz .LBB6_13268
; %bb.11861:                            ;   in Loop: Header=BB6_10858 Depth=3
	s_or_saveexec_b32 s31, s31
	v_mov_b32_e32 v73, s17
	s_xor_b32 exec_lo, exec_lo, s31
	s_cbranch_execnz .LBB6_13271
.LBB6_11862:                            ;   in Loop: Header=BB6_10858 Depth=3
	s_or_b32 exec_lo, exec_lo, s31
	s_and_saveexec_b32 s17, s13
	s_cbranch_execz .LBB6_11864
.LBB6_11863:                            ;   in Loop: Header=BB6_10858 Depth=3
	v_bfe_u32 v73, v16, 16, 3
	v_bfe_u32 v77, v16, 19, 4
	s_delay_alu instid0(VALU_DEP_2) | instskip(NEXT) | instid1(VALU_DEP_2)
	v_clz_i32_u32_e32 v75, v73
	v_cmp_eq_u32_e32 vcc_lo, 0, v77
	s_delay_alu instid0(VALU_DEP_2) | instskip(NEXT) | instid1(VALU_DEP_1)
	v_min_u32_e32 v75, 32, v75
	v_subrev_nc_u32_e32 v76, 28, v75
	v_sub_nc_u32_e32 v75, 29, v75
	s_delay_alu instid0(VALU_DEP_1) | instskip(SKIP_1) | instid1(VALU_DEP_2)
	v_dual_cndmask_b32 v75, v77, v75 :: v_dual_lshlrev_b32 v76, v76, v72
	v_lshlrev_b32_e32 v72, 24, v72
	v_and_b32_e32 v76, 7, v76
	s_delay_alu instid0(VALU_DEP_3) | instskip(NEXT) | instid1(VALU_DEP_3)
	v_lshl_add_u32 v75, v75, 23, 0x3b800000
	v_and_b32_e32 v72, 0x80000000, v72
	s_delay_alu instid0(VALU_DEP_3) | instskip(NEXT) | instid1(VALU_DEP_1)
	v_cndmask_b32_e32 v73, v73, v76, vcc_lo
	v_lshlrev_b32_e32 v73, 20, v73
	s_delay_alu instid0(VALU_DEP_1)
	v_or3_b32 v73, v72, v75, v73
.LBB6_11864:                            ;   in Loop: Header=BB6_10858 Depth=3
	s_or_b32 exec_lo, exec_lo, s17
	s_delay_alu instid0(VALU_DEP_1) | instskip(NEXT) | instid1(VALU_DEP_1)
	v_dual_max_f32 v72, v73, v73 :: v_dual_max_f32 v73, v74, v74
	v_min_f32_e32 v74, v73, v72
.LBB6_11865:                            ;   in Loop: Header=BB6_10858 Depth=3
	s_delay_alu instid0(VALU_DEP_1) | instskip(NEXT) | instid1(VALU_DEP_1)
	v_and_b32_e32 v72, 0x7f800000, v74
	v_cmp_ne_u32_e32 vcc_lo, 0x7f800000, v72
	v_mov_b32_e32 v72, 0x80
	s_and_saveexec_b32 s17, vcc_lo
	s_cbranch_execz .LBB6_11873
; %bb.11866:                            ;   in Loop: Header=BB6_10858 Depth=3
	v_mov_b32_e32 v72, 0
	s_mov_b32 s31, exec_lo
	v_cmpx_ne_u32_e32 0, v74
	s_cbranch_execz .LBB6_11872
; %bb.11867:                            ;   in Loop: Header=BB6_10858 Depth=3
	v_bfe_u32 v72, v74, 23, 8
	v_and_b32_e32 v73, 0x7fffff, v74
	s_delay_alu instid0(VALU_DEP_2) | instskip(SKIP_1) | instid1(VALU_DEP_3)
	v_sub_nc_u32_e32 v75, 0x78, v72
	v_cmp_gt_u32_e32 vcc_lo, 0x79, v72
	v_or_b32_e32 v76, 0x800000, v73
	s_delay_alu instid0(VALU_DEP_3) | instskip(SKIP_2) | instid1(VALU_DEP_3)
	v_cndmask_b32_e32 v75, 0, v75, vcc_lo
	v_cmp_eq_u32_e32 vcc_lo, 0, v72
	v_add_nc_u32_e32 v72, 0xffffff89, v72
	v_cndmask_b32_e64 v75, v75, 0x77, vcc_lo
	v_cndmask_b32_e32 v73, v76, v73, vcc_lo
	s_delay_alu instid0(VALU_DEP_3) | instskip(NEXT) | instid1(VALU_DEP_3)
	v_cndmask_b32_e64 v72, v72, 0xffffff8a, vcc_lo
	v_lshl_add_u32 v76, 0x100000, v75, -1
	s_delay_alu instid0(VALU_DEP_3) | instskip(SKIP_1) | instid1(VALU_DEP_4)
	v_lshrrev_b32_e32 v77, v75, v73
	v_lshlrev_b32_e64 v79, v75, 0x80000
	v_add_nc_u32_e32 v75, v75, v72
	s_delay_alu instid0(VALU_DEP_4) | instskip(NEXT) | instid1(VALU_DEP_4)
	v_and_b32_e32 v73, v76, v73
	v_bfe_u32 v78, v77, 20, 1
	s_delay_alu instid0(VALU_DEP_2) | instskip(NEXT) | instid1(VALU_DEP_2)
	v_cmp_eq_u32_e64 s13, v73, v79
	v_add_nc_u32_e32 v76, -1, v78
	s_delay_alu instid0(VALU_DEP_1) | instskip(SKIP_2) | instid1(VALU_DEP_2)
	v_cndmask_b32_e64 v73, 0, v76, s13
	v_lshrrev_b32_e32 v76, 23, v77
	s_mov_b32 s13, exec_lo
	v_add_nc_u32_e32 v73, v73, v77
	s_delay_alu instid0(VALU_DEP_2) | instskip(NEXT) | instid1(VALU_DEP_2)
	v_xor_b32_e32 v76, 1, v76
	v_and_b32_e32 v72, 0xfffff, v73
	s_delay_alu instid0(VALU_DEP_1) | instskip(NEXT) | instid1(VALU_DEP_3)
	v_add_nc_u32_e32 v73, v72, v77
                                        ; implicit-def: $vgpr72
	v_cmpx_ne_u32_e64 v75, v76
	s_xor_b32 s13, exec_lo, s13
; %bb.11868:                            ;   in Loop: Header=BB6_10858 Depth=3
	s_delay_alu instid0(VALU_DEP_2) | instskip(SKIP_2) | instid1(VALU_DEP_2)
	v_cmp_lt_u32_e32 vcc_lo, 0xffffff, v73
	v_sub_nc_u32_e32 v72, v75, v76
	v_cndmask_b32_e64 v75, 0, 1, vcc_lo
	v_add_co_ci_u32_e32 v72, vcc_lo, 0, v72, vcc_lo
	s_delay_alu instid0(VALU_DEP_2)
	v_lshrrev_b32_e32 v73, v75, v73
; %bb.11869:                            ;   in Loop: Header=BB6_10858 Depth=3
	s_and_not1_saveexec_b32 s13, s13
; %bb.11870:                            ;   in Loop: Header=BB6_10858 Depth=3
	s_delay_alu instid0(VALU_DEP_1)
	v_bfe_u32 v72, v73, 23, 1
; %bb.11871:                            ;   in Loop: Header=BB6_10858 Depth=3
	s_or_b32 exec_lo, exec_lo, s13
	v_lshrrev_b32_e32 v73, 20, v73
	s_delay_alu instid0(VALU_DEP_2) | instskip(SKIP_2) | instid1(VALU_DEP_2)
	v_cmp_gt_i32_e32 vcc_lo, 16, v72
	v_lshrrev_b32_e32 v74, 24, v74
	v_min_i32_e32 v75, 15, v72
	v_dual_cndmask_b32 v73, 7, v73 :: v_dual_and_b32 v74, 0x80, v74
	s_delay_alu instid0(VALU_DEP_1) | instskip(SKIP_1) | instid1(VALU_DEP_2)
	v_or_b32_e32 v72, v72, v73
	v_and_b32_e32 v76, 7, v73
	v_cmp_ne_u32_e32 vcc_lo, 0, v72
	v_lshlrev_b32_e32 v75, 3, v75
	s_delay_alu instid0(VALU_DEP_1) | instskip(NEXT) | instid1(VALU_DEP_1)
	v_or3_b32 v73, v75, v74, v76
	v_cndmask_b32_e32 v72, 0, v73, vcc_lo
.LBB6_11872:                            ;   in Loop: Header=BB6_10858 Depth=3
	s_or_b32 exec_lo, exec_lo, s31
.LBB6_11873:                            ;   in Loop: Header=BB6_10858 Depth=3
	s_delay_alu instid0(SALU_CYCLE_1)
	s_or_b32 exec_lo, exec_lo, s17
	v_lshrrev_b32_e32 v74, 24, v20
	v_lshrrev_b32_e32 v73, 24, v16
	s_and_not1_b32 vcc_lo, exec_lo, s16
	s_cbranch_vccnz .LBB6_11883
; %bb.11874:                            ;   in Loop: Header=BB6_10858 Depth=3
	s_mov_b32 s13, 0
	s_mov_b32 s31, exec_lo
                                        ; implicit-def: $sgpr17
	v_cmpx_lt_i16_e32 0x7f, v74
	s_xor_b32 s31, exec_lo, s31
	s_cbranch_execnz .LBB6_13272
; %bb.11875:                            ;   in Loop: Header=BB6_10858 Depth=3
	s_or_saveexec_b32 s31, s31
	v_mov_b32_e32 v75, s17
	s_xor_b32 exec_lo, exec_lo, s31
	s_cbranch_execnz .LBB6_13275
.LBB6_11876:                            ;   in Loop: Header=BB6_10858 Depth=3
	s_or_b32 exec_lo, exec_lo, s31
	s_and_saveexec_b32 s17, s13
	s_cbranch_execz .LBB6_11878
.LBB6_11877:                            ;   in Loop: Header=BB6_10858 Depth=3
	v_bfe_u32 v75, v20, 24, 3
	v_bfe_u32 v78, v20, 27, 4
	s_delay_alu instid0(VALU_DEP_2) | instskip(NEXT) | instid1(VALU_DEP_2)
	v_clz_i32_u32_e32 v76, v75
	v_cmp_eq_u32_e32 vcc_lo, 0, v78
	s_delay_alu instid0(VALU_DEP_2) | instskip(NEXT) | instid1(VALU_DEP_1)
	v_min_u32_e32 v76, 32, v76
	v_subrev_nc_u32_e32 v77, 28, v76
	v_sub_nc_u32_e32 v76, 29, v76
	s_delay_alu instid0(VALU_DEP_1) | instskip(NEXT) | instid1(VALU_DEP_1)
	v_dual_cndmask_b32 v76, v78, v76 :: v_dual_lshlrev_b32 v77, v77, v74
	v_and_b32_e32 v77, 7, v77
	s_delay_alu instid0(VALU_DEP_2) | instskip(NEXT) | instid1(VALU_DEP_2)
	v_lshl_add_u32 v76, v76, 23, 0x3b800000
	v_cndmask_b32_e32 v75, v75, v77, vcc_lo
	v_and_b32_e32 v77, 0x80000000, v20
	s_delay_alu instid0(VALU_DEP_2) | instskip(NEXT) | instid1(VALU_DEP_1)
	v_lshlrev_b32_e32 v75, 20, v75
	v_or3_b32 v75, v77, v76, v75
.LBB6_11878:                            ;   in Loop: Header=BB6_10858 Depth=3
	s_or_b32 exec_lo, exec_lo, s17
	s_mov_b32 s13, 0
	s_mov_b32 s31, exec_lo
                                        ; implicit-def: $sgpr17
	v_cmpx_lt_i16_e32 0x7f, v73
	s_xor_b32 s31, exec_lo, s31
	s_cbranch_execnz .LBB6_13276
; %bb.11879:                            ;   in Loop: Header=BB6_10858 Depth=3
	s_or_saveexec_b32 s31, s31
	v_mov_b32_e32 v76, s17
	s_xor_b32 exec_lo, exec_lo, s31
	s_cbranch_execnz .LBB6_13279
.LBB6_11880:                            ;   in Loop: Header=BB6_10858 Depth=3
	s_or_b32 exec_lo, exec_lo, s31
	s_and_saveexec_b32 s17, s13
	s_cbranch_execz .LBB6_11882
.LBB6_11881:                            ;   in Loop: Header=BB6_10858 Depth=3
	v_bfe_u32 v76, v16, 24, 3
	v_bfe_u32 v79, v16, 27, 4
	s_delay_alu instid0(VALU_DEP_2) | instskip(NEXT) | instid1(VALU_DEP_2)
	v_clz_i32_u32_e32 v77, v76
	v_cmp_eq_u32_e32 vcc_lo, 0, v79
	s_delay_alu instid0(VALU_DEP_2) | instskip(NEXT) | instid1(VALU_DEP_1)
	v_min_u32_e32 v77, 32, v77
	v_subrev_nc_u32_e32 v78, 28, v77
	v_sub_nc_u32_e32 v77, 29, v77
	s_delay_alu instid0(VALU_DEP_2) | instskip(NEXT) | instid1(VALU_DEP_1)
	v_lshlrev_b32_e32 v78, v78, v73
	v_dual_cndmask_b32 v77, v79, v77 :: v_dual_and_b32 v78, 7, v78
	s_delay_alu instid0(VALU_DEP_1) | instskip(NEXT) | instid1(VALU_DEP_2)
	v_lshl_add_u32 v77, v77, 23, 0x3b800000
	v_cndmask_b32_e32 v76, v76, v78, vcc_lo
	v_and_b32_e32 v78, 0x80000000, v16
	s_delay_alu instid0(VALU_DEP_2) | instskip(NEXT) | instid1(VALU_DEP_1)
	v_lshlrev_b32_e32 v76, 20, v76
	v_or3_b32 v76, v78, v77, v76
.LBB6_11882:                            ;   in Loop: Header=BB6_10858 Depth=3
	s_or_b32 exec_lo, exec_lo, s17
	s_delay_alu instid0(VALU_DEP_1) | instskip(SKIP_1) | instid1(VALU_DEP_1)
	v_dual_max_f32 v76, v76, v76 :: v_dual_max_f32 v75, v75, v75
	s_mov_b32 s13, 0
	v_max_f32_e32 v75, v75, v76
	s_branch .LBB6_11884
.LBB6_11883:                            ;   in Loop: Header=BB6_10858 Depth=3
	s_mov_b32 s13, -1
                                        ; implicit-def: $vgpr75
.LBB6_11884:                            ;   in Loop: Header=BB6_10858 Depth=3
	s_delay_alu instid0(SALU_CYCLE_1)
	s_and_b32 vcc_lo, exec_lo, s13
	s_cbranch_vccz .LBB6_11894
; %bb.11885:                            ;   in Loop: Header=BB6_10858 Depth=3
	s_mov_b32 s13, 0
	s_mov_b32 s31, exec_lo
                                        ; implicit-def: $sgpr17
	v_cmpx_lt_i16_e32 0x7f, v74
	s_xor_b32 s31, exec_lo, s31
	s_cbranch_execnz .LBB6_13280
; %bb.11886:                            ;   in Loop: Header=BB6_10858 Depth=3
	s_or_saveexec_b32 s31, s31
	v_mov_b32_e32 v75, s17
	s_xor_b32 exec_lo, exec_lo, s31
	s_cbranch_execnz .LBB6_13283
.LBB6_11887:                            ;   in Loop: Header=BB6_10858 Depth=3
	s_or_b32 exec_lo, exec_lo, s31
	s_and_saveexec_b32 s17, s13
	s_cbranch_execz .LBB6_11889
.LBB6_11888:                            ;   in Loop: Header=BB6_10858 Depth=3
	v_bfe_u32 v75, v20, 24, 3
	s_delay_alu instid0(VALU_DEP_1) | instskip(NEXT) | instid1(VALU_DEP_1)
	v_clz_i32_u32_e32 v76, v75
	v_min_u32_e32 v76, 32, v76
	s_delay_alu instid0(VALU_DEP_1) | instskip(SKIP_1) | instid1(VALU_DEP_2)
	v_subrev_nc_u32_e32 v77, 28, v76
	v_sub_nc_u32_e32 v76, 29, v76
	v_lshlrev_b32_e32 v74, v77, v74
	v_bfe_u32 v77, v20, 27, 4
	v_and_b32_e32 v20, 0x80000000, v20
	s_delay_alu instid0(VALU_DEP_3) | instskip(NEXT) | instid1(VALU_DEP_3)
	v_and_b32_e32 v74, 7, v74
	v_cmp_eq_u32_e32 vcc_lo, 0, v77
	v_cndmask_b32_e32 v76, v77, v76, vcc_lo
	s_delay_alu instid0(VALU_DEP_3) | instskip(NEXT) | instid1(VALU_DEP_2)
	v_cndmask_b32_e32 v74, v75, v74, vcc_lo
	v_lshl_add_u32 v75, v76, 23, 0x3b800000
	s_delay_alu instid0(VALU_DEP_2) | instskip(NEXT) | instid1(VALU_DEP_1)
	v_lshlrev_b32_e32 v74, 20, v74
	v_or3_b32 v75, v20, v75, v74
.LBB6_11889:                            ;   in Loop: Header=BB6_10858 Depth=3
	s_or_b32 exec_lo, exec_lo, s17
	s_mov_b32 s13, 0
	s_mov_b32 s31, exec_lo
                                        ; implicit-def: $sgpr17
	v_cmpx_lt_i16_e32 0x7f, v73
	s_xor_b32 s31, exec_lo, s31
	s_cbranch_execnz .LBB6_13284
; %bb.11890:                            ;   in Loop: Header=BB6_10858 Depth=3
	s_or_saveexec_b32 s31, s31
	v_mov_b32_e32 v20, s17
	s_xor_b32 exec_lo, exec_lo, s31
	s_cbranch_execnz .LBB6_13287
.LBB6_11891:                            ;   in Loop: Header=BB6_10858 Depth=3
	s_or_b32 exec_lo, exec_lo, s31
	s_and_saveexec_b32 s17, s13
	s_cbranch_execz .LBB6_11893
.LBB6_11892:                            ;   in Loop: Header=BB6_10858 Depth=3
	v_bfe_u32 v20, v16, 24, 3
	s_delay_alu instid0(VALU_DEP_1) | instskip(NEXT) | instid1(VALU_DEP_1)
	v_clz_i32_u32_e32 v74, v20
	v_min_u32_e32 v74, 32, v74
	s_delay_alu instid0(VALU_DEP_1) | instskip(SKIP_1) | instid1(VALU_DEP_2)
	v_subrev_nc_u32_e32 v76, 28, v74
	v_sub_nc_u32_e32 v74, 29, v74
	v_lshlrev_b32_e32 v73, v76, v73
	v_bfe_u32 v76, v16, 27, 4
	v_and_b32_e32 v16, 0x80000000, v16
	s_delay_alu instid0(VALU_DEP_2) | instskip(NEXT) | instid1(VALU_DEP_4)
	v_cmp_eq_u32_e32 vcc_lo, 0, v76
	v_dual_cndmask_b32 v74, v76, v74 :: v_dual_and_b32 v73, 7, v73
	s_delay_alu instid0(VALU_DEP_1) | instskip(NEXT) | instid1(VALU_DEP_2)
	v_cndmask_b32_e32 v20, v20, v73, vcc_lo
	v_lshl_add_u32 v73, v74, 23, 0x3b800000
	s_delay_alu instid0(VALU_DEP_2) | instskip(NEXT) | instid1(VALU_DEP_1)
	v_lshlrev_b32_e32 v20, 20, v20
	v_or3_b32 v20, v16, v73, v20
.LBB6_11893:                            ;   in Loop: Header=BB6_10858 Depth=3
	s_or_b32 exec_lo, exec_lo, s17
	s_delay_alu instid0(VALU_DEP_1) | instskip(SKIP_1) | instid1(VALU_DEP_1)
	v_max_f32_e32 v16, v20, v20
	v_max_f32_e32 v20, v75, v75
	v_min_f32_e32 v75, v20, v16
.LBB6_11894:                            ;   in Loop: Header=BB6_10858 Depth=3
	s_delay_alu instid0(VALU_DEP_1) | instskip(NEXT) | instid1(VALU_DEP_1)
	v_and_b32_e32 v16, 0x7f800000, v75
	v_cmp_ne_u32_e32 vcc_lo, 0x7f800000, v16
	v_mov_b32_e32 v16, 0x80
	s_and_saveexec_b32 s17, vcc_lo
	s_cbranch_execz .LBB6_11902
; %bb.11895:                            ;   in Loop: Header=BB6_10858 Depth=3
	v_mov_b32_e32 v16, 0
	s_mov_b32 s31, exec_lo
	v_cmpx_ne_u32_e32 0, v75
	s_cbranch_execz .LBB6_11901
; %bb.11896:                            ;   in Loop: Header=BB6_10858 Depth=3
	v_bfe_u32 v16, v75, 23, 8
	s_delay_alu instid0(VALU_DEP_1) | instskip(SKIP_1) | instid1(VALU_DEP_2)
	v_sub_nc_u32_e32 v73, 0x78, v16
	v_cmp_gt_u32_e32 vcc_lo, 0x79, v16
	v_dual_cndmask_b32 v73, 0, v73 :: v_dual_and_b32 v20, 0x7fffff, v75
	s_delay_alu instid0(VALU_DEP_1) | instskip(SKIP_2) | instid1(VALU_DEP_4)
	v_or_b32_e32 v74, 0x800000, v20
	v_cmp_eq_u32_e32 vcc_lo, 0, v16
	v_add_nc_u32_e32 v16, 0xffffff89, v16
	v_cndmask_b32_e64 v73, v73, 0x77, vcc_lo
	s_delay_alu instid0(VALU_DEP_4) | instskip(NEXT) | instid1(VALU_DEP_3)
	v_cndmask_b32_e32 v20, v74, v20, vcc_lo
	v_cndmask_b32_e64 v16, v16, 0xffffff8a, vcc_lo
	s_delay_alu instid0(VALU_DEP_3) | instskip(NEXT) | instid1(VALU_DEP_3)
	v_lshl_add_u32 v74, 0x100000, v73, -1
	v_lshrrev_b32_e32 v76, v73, v20
	v_lshlrev_b32_e64 v78, v73, 0x80000
	s_delay_alu instid0(VALU_DEP_4) | instskip(NEXT) | instid1(VALU_DEP_4)
	v_add_nc_u32_e32 v73, v73, v16
	v_and_b32_e32 v20, v74, v20
	s_delay_alu instid0(VALU_DEP_4) | instskip(NEXT) | instid1(VALU_DEP_2)
	v_bfe_u32 v77, v76, 20, 1
	v_cmp_eq_u32_e64 s13, v20, v78
	s_delay_alu instid0(VALU_DEP_2) | instskip(NEXT) | instid1(VALU_DEP_1)
	v_add_nc_u32_e32 v74, -1, v77
	v_cndmask_b32_e64 v20, 0, v74, s13
	v_lshrrev_b32_e32 v74, 23, v76
	s_mov_b32 s13, exec_lo
	s_delay_alu instid0(VALU_DEP_2) | instskip(NEXT) | instid1(VALU_DEP_2)
	v_add_nc_u32_e32 v20, v20, v76
	v_xor_b32_e32 v74, 1, v74
	s_delay_alu instid0(VALU_DEP_2) | instskip(NEXT) | instid1(VALU_DEP_1)
	v_and_b32_e32 v16, 0xfffff, v20
	v_add_nc_u32_e32 v20, v16, v76
                                        ; implicit-def: $vgpr16
	s_delay_alu instid0(VALU_DEP_3)
	v_cmpx_ne_u32_e64 v73, v74
	s_xor_b32 s13, exec_lo, s13
; %bb.11897:                            ;   in Loop: Header=BB6_10858 Depth=3
	s_delay_alu instid0(VALU_DEP_2) | instskip(SKIP_2) | instid1(VALU_DEP_2)
	v_cmp_lt_u32_e32 vcc_lo, 0xffffff, v20
	v_sub_nc_u32_e32 v16, v73, v74
	v_cndmask_b32_e64 v73, 0, 1, vcc_lo
	v_add_co_ci_u32_e32 v16, vcc_lo, 0, v16, vcc_lo
	s_delay_alu instid0(VALU_DEP_2)
	v_lshrrev_b32_e32 v20, v73, v20
; %bb.11898:                            ;   in Loop: Header=BB6_10858 Depth=3
	s_and_not1_saveexec_b32 s13, s13
; %bb.11899:                            ;   in Loop: Header=BB6_10858 Depth=3
	s_delay_alu instid0(VALU_DEP_1)
	v_bfe_u32 v16, v20, 23, 1
; %bb.11900:                            ;   in Loop: Header=BB6_10858 Depth=3
	s_or_b32 exec_lo, exec_lo, s13
	v_lshrrev_b32_e32 v20, 20, v20
	s_delay_alu instid0(VALU_DEP_2) | instskip(SKIP_2) | instid1(VALU_DEP_2)
	v_cmp_gt_i32_e32 vcc_lo, 16, v16
	v_lshrrev_b32_e32 v73, 24, v75
	v_min_i32_e32 v74, 15, v16
	v_dual_cndmask_b32 v20, 7, v20 :: v_dual_and_b32 v73, 0x80, v73
	s_delay_alu instid0(VALU_DEP_2) | instskip(NEXT) | instid1(VALU_DEP_2)
	v_lshlrev_b32_e32 v74, 3, v74
	v_and_b32_e32 v75, 7, v20
	v_or_b32_e32 v16, v16, v20
	s_delay_alu instid0(VALU_DEP_2) | instskip(NEXT) | instid1(VALU_DEP_2)
	v_or3_b32 v20, v74, v73, v75
	v_cmp_ne_u32_e32 vcc_lo, 0, v16
	s_delay_alu instid0(VALU_DEP_2)
	v_cndmask_b32_e32 v16, 0, v20, vcc_lo
.LBB6_11901:                            ;   in Loop: Header=BB6_10858 Depth=3
	s_or_b32 exec_lo, exec_lo, s31
.LBB6_11902:                            ;   in Loop: Header=BB6_10858 Depth=3
	s_delay_alu instid0(SALU_CYCLE_1) | instskip(NEXT) | instid1(SALU_CYCLE_1)
	s_or_b32 exec_lo, exec_lo, s17
	s_and_not1_b32 vcc_lo, exec_lo, s16
	s_cbranch_vccnz .LBB6_11912
; %bb.11903:                            ;   in Loop: Header=BB6_10858 Depth=3
	v_and_b32_e32 v73, 0xff, v21
	s_mov_b32 s13, 0
	s_mov_b32 s31, exec_lo
                                        ; implicit-def: $sgpr17
	s_delay_alu instid0(VALU_DEP_1)
	v_cmpx_lt_i16_e32 0x7f, v73
	s_xor_b32 s31, exec_lo, s31
	s_cbranch_execnz .LBB6_13288
; %bb.11904:                            ;   in Loop: Header=BB6_10858 Depth=3
	s_or_saveexec_b32 s31, s31
	v_mov_b32_e32 v20, s17
	s_xor_b32 exec_lo, exec_lo, s31
	s_cbranch_execnz .LBB6_13291
.LBB6_11905:                            ;   in Loop: Header=BB6_10858 Depth=3
	s_or_b32 exec_lo, exec_lo, s31
	s_and_saveexec_b32 s17, s13
	s_cbranch_execz .LBB6_11907
.LBB6_11906:                            ;   in Loop: Header=BB6_10858 Depth=3
	v_and_b32_e32 v20, 7, v21
	v_bfe_u32 v75, v21, 3, 4
	v_lshlrev_b32_e32 v76, 24, v21
	s_delay_alu instid0(VALU_DEP_3) | instskip(NEXT) | instid1(VALU_DEP_3)
	v_clz_i32_u32_e32 v73, v20
	v_cmp_eq_u32_e32 vcc_lo, 0, v75
	s_delay_alu instid0(VALU_DEP_2) | instskip(NEXT) | instid1(VALU_DEP_1)
	v_min_u32_e32 v73, 32, v73
	v_subrev_nc_u32_e32 v74, 28, v73
	v_sub_nc_u32_e32 v73, 29, v73
	s_delay_alu instid0(VALU_DEP_2) | instskip(NEXT) | instid1(VALU_DEP_1)
	v_lshlrev_b32_e32 v74, v74, v21
	v_dual_cndmask_b32 v73, v75, v73 :: v_dual_and_b32 v74, 7, v74
	s_delay_alu instid0(VALU_DEP_1) | instskip(NEXT) | instid1(VALU_DEP_2)
	v_lshl_add_u32 v73, v73, 23, 0x3b800000
	v_cndmask_b32_e32 v20, v20, v74, vcc_lo
	v_and_b32_e32 v74, 0x80000000, v76
	s_delay_alu instid0(VALU_DEP_2) | instskip(NEXT) | instid1(VALU_DEP_1)
	v_lshlrev_b32_e32 v20, 20, v20
	v_or3_b32 v20, v74, v73, v20
.LBB6_11907:                            ;   in Loop: Header=BB6_10858 Depth=3
	s_or_b32 exec_lo, exec_lo, s17
	v_and_b32_e32 v74, 0xff, v17
	s_mov_b32 s13, 0
	s_mov_b32 s31, exec_lo
                                        ; implicit-def: $sgpr17
	s_delay_alu instid0(VALU_DEP_1)
	v_cmpx_lt_i16_e32 0x7f, v74
	s_xor_b32 s31, exec_lo, s31
	s_cbranch_execnz .LBB6_13292
; %bb.11908:                            ;   in Loop: Header=BB6_10858 Depth=3
	s_or_saveexec_b32 s31, s31
	v_mov_b32_e32 v73, s17
	s_xor_b32 exec_lo, exec_lo, s31
	s_cbranch_execnz .LBB6_13295
.LBB6_11909:                            ;   in Loop: Header=BB6_10858 Depth=3
	s_or_b32 exec_lo, exec_lo, s31
	s_and_saveexec_b32 s17, s13
	s_cbranch_execz .LBB6_11911
.LBB6_11910:                            ;   in Loop: Header=BB6_10858 Depth=3
	v_bfe_u32 v76, v17, 3, 4
	v_lshlrev_b32_e32 v77, 24, v17
	s_delay_alu instid0(VALU_DEP_2) | instskip(SKIP_1) | instid1(VALU_DEP_1)
	v_cmp_eq_u32_e32 vcc_lo, 0, v76
	v_and_b32_e32 v73, 7, v17
	v_clz_i32_u32_e32 v74, v73
	s_delay_alu instid0(VALU_DEP_1) | instskip(NEXT) | instid1(VALU_DEP_1)
	v_min_u32_e32 v74, 32, v74
	v_subrev_nc_u32_e32 v75, 28, v74
	v_sub_nc_u32_e32 v74, 29, v74
	s_delay_alu instid0(VALU_DEP_1) | instskip(NEXT) | instid1(VALU_DEP_1)
	v_dual_cndmask_b32 v74, v76, v74 :: v_dual_lshlrev_b32 v75, v75, v17
	v_and_b32_e32 v75, 7, v75
	s_delay_alu instid0(VALU_DEP_2) | instskip(NEXT) | instid1(VALU_DEP_2)
	v_lshl_add_u32 v74, v74, 23, 0x3b800000
	v_cndmask_b32_e32 v73, v73, v75, vcc_lo
	v_and_b32_e32 v75, 0x80000000, v77
	s_delay_alu instid0(VALU_DEP_2) | instskip(NEXT) | instid1(VALU_DEP_1)
	v_lshlrev_b32_e32 v73, 20, v73
	v_or3_b32 v73, v75, v74, v73
.LBB6_11911:                            ;   in Loop: Header=BB6_10858 Depth=3
	s_or_b32 exec_lo, exec_lo, s17
	s_delay_alu instid0(VALU_DEP_1) | instskip(SKIP_1) | instid1(VALU_DEP_1)
	v_dual_max_f32 v73, v73, v73 :: v_dual_max_f32 v20, v20, v20
	s_mov_b32 s13, 0
	v_max_f32_e32 v73, v20, v73
	s_branch .LBB6_11913
.LBB6_11912:                            ;   in Loop: Header=BB6_10858 Depth=3
	s_mov_b32 s13, -1
                                        ; implicit-def: $vgpr73
.LBB6_11913:                            ;   in Loop: Header=BB6_10858 Depth=3
	s_delay_alu instid0(SALU_CYCLE_1)
	s_and_b32 vcc_lo, exec_lo, s13
	s_cbranch_vccz .LBB6_11923
; %bb.11914:                            ;   in Loop: Header=BB6_10858 Depth=3
	v_and_b32_e32 v73, 0xff, v21
	s_mov_b32 s13, 0
	s_mov_b32 s31, exec_lo
                                        ; implicit-def: $sgpr17
	s_delay_alu instid0(VALU_DEP_1)
	v_cmpx_lt_i16_e32 0x7f, v73
	s_xor_b32 s31, exec_lo, s31
	s_cbranch_execnz .LBB6_13296
; %bb.11915:                            ;   in Loop: Header=BB6_10858 Depth=3
	s_or_saveexec_b32 s31, s31
	v_mov_b32_e32 v20, s17
	s_xor_b32 exec_lo, exec_lo, s31
	s_cbranch_execnz .LBB6_13299
.LBB6_11916:                            ;   in Loop: Header=BB6_10858 Depth=3
	s_or_b32 exec_lo, exec_lo, s31
	s_and_saveexec_b32 s17, s13
	s_cbranch_execz .LBB6_11918
.LBB6_11917:                            ;   in Loop: Header=BB6_10858 Depth=3
	v_and_b32_e32 v20, 7, v21
	v_bfe_u32 v75, v21, 3, 4
	v_lshlrev_b32_e32 v76, 24, v21
	s_delay_alu instid0(VALU_DEP_3) | instskip(NEXT) | instid1(VALU_DEP_3)
	v_clz_i32_u32_e32 v73, v20
	v_cmp_eq_u32_e32 vcc_lo, 0, v75
	s_delay_alu instid0(VALU_DEP_2) | instskip(NEXT) | instid1(VALU_DEP_1)
	v_min_u32_e32 v73, 32, v73
	v_subrev_nc_u32_e32 v74, 28, v73
	v_sub_nc_u32_e32 v73, 29, v73
	s_delay_alu instid0(VALU_DEP_2) | instskip(NEXT) | instid1(VALU_DEP_1)
	v_lshlrev_b32_e32 v74, v74, v21
	v_dual_cndmask_b32 v73, v75, v73 :: v_dual_and_b32 v74, 7, v74
	s_delay_alu instid0(VALU_DEP_1) | instskip(NEXT) | instid1(VALU_DEP_2)
	v_lshl_add_u32 v73, v73, 23, 0x3b800000
	v_cndmask_b32_e32 v20, v20, v74, vcc_lo
	v_and_b32_e32 v74, 0x80000000, v76
	s_delay_alu instid0(VALU_DEP_2) | instskip(NEXT) | instid1(VALU_DEP_1)
	v_lshlrev_b32_e32 v20, 20, v20
	v_or3_b32 v20, v74, v73, v20
.LBB6_11918:                            ;   in Loop: Header=BB6_10858 Depth=3
	s_or_b32 exec_lo, exec_lo, s17
	v_and_b32_e32 v74, 0xff, v17
	s_mov_b32 s13, 0
	s_mov_b32 s31, exec_lo
                                        ; implicit-def: $sgpr17
	s_delay_alu instid0(VALU_DEP_1)
	v_cmpx_lt_i16_e32 0x7f, v74
	s_xor_b32 s31, exec_lo, s31
	s_cbranch_execnz .LBB6_13300
; %bb.11919:                            ;   in Loop: Header=BB6_10858 Depth=3
	s_or_saveexec_b32 s31, s31
	v_mov_b32_e32 v73, s17
	s_xor_b32 exec_lo, exec_lo, s31
	s_cbranch_execnz .LBB6_13303
.LBB6_11920:                            ;   in Loop: Header=BB6_10858 Depth=3
	s_or_b32 exec_lo, exec_lo, s31
	s_and_saveexec_b32 s17, s13
	s_cbranch_execz .LBB6_11922
.LBB6_11921:                            ;   in Loop: Header=BB6_10858 Depth=3
	v_bfe_u32 v76, v17, 3, 4
	v_lshlrev_b32_e32 v77, 24, v17
	s_delay_alu instid0(VALU_DEP_2) | instskip(SKIP_1) | instid1(VALU_DEP_1)
	v_cmp_eq_u32_e32 vcc_lo, 0, v76
	v_and_b32_e32 v73, 7, v17
	v_clz_i32_u32_e32 v74, v73
	s_delay_alu instid0(VALU_DEP_1) | instskip(NEXT) | instid1(VALU_DEP_1)
	v_min_u32_e32 v74, 32, v74
	v_subrev_nc_u32_e32 v75, 28, v74
	v_sub_nc_u32_e32 v74, 29, v74
	s_delay_alu instid0(VALU_DEP_1) | instskip(NEXT) | instid1(VALU_DEP_1)
	v_dual_cndmask_b32 v74, v76, v74 :: v_dual_lshlrev_b32 v75, v75, v17
	v_and_b32_e32 v75, 7, v75
	s_delay_alu instid0(VALU_DEP_2) | instskip(NEXT) | instid1(VALU_DEP_2)
	v_lshl_add_u32 v74, v74, 23, 0x3b800000
	v_cndmask_b32_e32 v73, v73, v75, vcc_lo
	v_and_b32_e32 v75, 0x80000000, v77
	s_delay_alu instid0(VALU_DEP_2) | instskip(NEXT) | instid1(VALU_DEP_1)
	v_lshlrev_b32_e32 v73, 20, v73
	v_or3_b32 v73, v75, v74, v73
.LBB6_11922:                            ;   in Loop: Header=BB6_10858 Depth=3
	s_or_b32 exec_lo, exec_lo, s17
	s_delay_alu instid0(VALU_DEP_1) | instskip(NEXT) | instid1(VALU_DEP_1)
	v_dual_max_f32 v73, v73, v73 :: v_dual_max_f32 v20, v20, v20
	v_min_f32_e32 v73, v20, v73
.LBB6_11923:                            ;   in Loop: Header=BB6_10858 Depth=3
	s_delay_alu instid0(VALU_DEP_1) | instskip(NEXT) | instid1(VALU_DEP_1)
	v_and_b32_e32 v20, 0x7f800000, v73
	v_cmp_ne_u32_e32 vcc_lo, 0x7f800000, v20
	v_mov_b32_e32 v20, 0x80
	s_and_saveexec_b32 s17, vcc_lo
	s_cbranch_execz .LBB6_11931
; %bb.11924:                            ;   in Loop: Header=BB6_10858 Depth=3
	v_mov_b32_e32 v20, 0
	s_mov_b32 s31, exec_lo
	v_cmpx_ne_u32_e32 0, v73
	s_cbranch_execz .LBB6_11930
; %bb.11925:                            ;   in Loop: Header=BB6_10858 Depth=3
	v_bfe_u32 v20, v73, 23, 8
	s_delay_alu instid0(VALU_DEP_1) | instskip(SKIP_1) | instid1(VALU_DEP_2)
	v_sub_nc_u32_e32 v75, 0x78, v20
	v_cmp_gt_u32_e32 vcc_lo, 0x79, v20
	v_dual_cndmask_b32 v75, 0, v75 :: v_dual_and_b32 v74, 0x7fffff, v73
	s_delay_alu instid0(VALU_DEP_1) | instskip(SKIP_2) | instid1(VALU_DEP_4)
	v_or_b32_e32 v76, 0x800000, v74
	v_cmp_eq_u32_e32 vcc_lo, 0, v20
	v_add_nc_u32_e32 v20, 0xffffff89, v20
	v_cndmask_b32_e64 v75, v75, 0x77, vcc_lo
	s_delay_alu instid0(VALU_DEP_2) | instskip(SKIP_1) | instid1(VALU_DEP_3)
	v_cndmask_b32_e64 v20, v20, 0xffffff8a, vcc_lo
	v_cndmask_b32_e32 v74, v76, v74, vcc_lo
	v_lshl_add_u32 v76, 0x100000, v75, -1
	v_lshlrev_b32_e64 v79, v75, 0x80000
	s_delay_alu instid0(VALU_DEP_3) | instskip(SKIP_1) | instid1(VALU_DEP_4)
	v_lshrrev_b32_e32 v77, v75, v74
	v_add_nc_u32_e32 v75, v75, v20
	v_and_b32_e32 v74, v76, v74
	s_delay_alu instid0(VALU_DEP_3) | instskip(NEXT) | instid1(VALU_DEP_2)
	v_bfe_u32 v78, v77, 20, 1
	v_cmp_eq_u32_e64 s13, v74, v79
	s_delay_alu instid0(VALU_DEP_2) | instskip(NEXT) | instid1(VALU_DEP_1)
	v_add_nc_u32_e32 v76, -1, v78
	v_cndmask_b32_e64 v74, 0, v76, s13
	v_lshrrev_b32_e32 v76, 23, v77
	s_mov_b32 s13, exec_lo
	s_delay_alu instid0(VALU_DEP_2) | instskip(NEXT) | instid1(VALU_DEP_2)
	v_add_nc_u32_e32 v74, v74, v77
	v_xor_b32_e32 v76, 1, v76
	s_delay_alu instid0(VALU_DEP_2) | instskip(NEXT) | instid1(VALU_DEP_1)
	v_and_b32_e32 v20, 0xfffff, v74
	v_add_nc_u32_e32 v74, v20, v77
                                        ; implicit-def: $vgpr20
	s_delay_alu instid0(VALU_DEP_3)
	v_cmpx_ne_u32_e64 v75, v76
	s_xor_b32 s13, exec_lo, s13
; %bb.11926:                            ;   in Loop: Header=BB6_10858 Depth=3
	s_delay_alu instid0(VALU_DEP_2) | instskip(SKIP_2) | instid1(VALU_DEP_2)
	v_cmp_lt_u32_e32 vcc_lo, 0xffffff, v74
	v_sub_nc_u32_e32 v20, v75, v76
	v_cndmask_b32_e64 v75, 0, 1, vcc_lo
	v_add_co_ci_u32_e32 v20, vcc_lo, 0, v20, vcc_lo
	s_delay_alu instid0(VALU_DEP_2)
	v_lshrrev_b32_e32 v74, v75, v74
; %bb.11927:                            ;   in Loop: Header=BB6_10858 Depth=3
	s_and_not1_saveexec_b32 s13, s13
; %bb.11928:                            ;   in Loop: Header=BB6_10858 Depth=3
	s_delay_alu instid0(VALU_DEP_1)
	v_bfe_u32 v20, v74, 23, 1
; %bb.11929:                            ;   in Loop: Header=BB6_10858 Depth=3
	s_or_b32 exec_lo, exec_lo, s13
	v_lshrrev_b32_e32 v74, 20, v74
	s_delay_alu instid0(VALU_DEP_2) | instskip(SKIP_2) | instid1(VALU_DEP_2)
	v_cmp_gt_i32_e32 vcc_lo, 16, v20
	v_lshrrev_b32_e32 v73, 24, v73
	v_min_i32_e32 v75, 15, v20
	v_dual_cndmask_b32 v74, 7, v74 :: v_dual_and_b32 v73, 0x80, v73
	s_delay_alu instid0(VALU_DEP_1) | instskip(SKIP_1) | instid1(VALU_DEP_2)
	v_or_b32_e32 v20, v20, v74
	v_and_b32_e32 v76, 7, v74
	v_cmp_ne_u32_e32 vcc_lo, 0, v20
	v_lshlrev_b32_e32 v75, 3, v75
	s_delay_alu instid0(VALU_DEP_1) | instskip(NEXT) | instid1(VALU_DEP_1)
	v_or3_b32 v73, v75, v73, v76
	v_cndmask_b32_e32 v20, 0, v73, vcc_lo
.LBB6_11930:                            ;   in Loop: Header=BB6_10858 Depth=3
	s_or_b32 exec_lo, exec_lo, s31
.LBB6_11931:                            ;   in Loop: Header=BB6_10858 Depth=3
	s_delay_alu instid0(SALU_CYCLE_1)
	s_or_b32 exec_lo, exec_lo, s17
	v_lshrrev_b16 v74, 8, v21
	v_lshrrev_b16 v73, 8, v17
	s_and_not1_b32 vcc_lo, exec_lo, s16
	s_cbranch_vccnz .LBB6_11941
; %bb.11932:                            ;   in Loop: Header=BB6_10858 Depth=3
	s_mov_b32 s13, 0
	s_mov_b32 s31, exec_lo
                                        ; implicit-def: $sgpr17
	v_cmpx_lt_i16_e32 0x7f, v74
	s_xor_b32 s31, exec_lo, s31
	s_cbranch_execnz .LBB6_13304
; %bb.11933:                            ;   in Loop: Header=BB6_10858 Depth=3
	s_or_saveexec_b32 s31, s31
	v_mov_b32_e32 v75, s17
	s_xor_b32 exec_lo, exec_lo, s31
	s_cbranch_execnz .LBB6_13307
.LBB6_11934:                            ;   in Loop: Header=BB6_10858 Depth=3
	s_or_b32 exec_lo, exec_lo, s31
	s_and_saveexec_b32 s17, s13
	s_cbranch_execz .LBB6_11936
.LBB6_11935:                            ;   in Loop: Header=BB6_10858 Depth=3
	v_and_b32_e32 v75, 0xffff, v74
	s_delay_alu instid0(VALU_DEP_1) | instskip(NEXT) | instid1(VALU_DEP_1)
	v_and_b32_e32 v76, 7, v75
	v_clz_i32_u32_e32 v77, v76
	s_delay_alu instid0(VALU_DEP_1) | instskip(NEXT) | instid1(VALU_DEP_1)
	v_min_u32_e32 v77, 32, v77
	v_subrev_nc_u32_e32 v78, 28, v77
	v_sub_nc_u32_e32 v77, 29, v77
	s_delay_alu instid0(VALU_DEP_2) | instskip(SKIP_1) | instid1(VALU_DEP_2)
	v_lshlrev_b32_e32 v78, v78, v75
	v_bfe_u32 v75, v75, 3, 4
	v_and_b32_e32 v78, 7, v78
	s_delay_alu instid0(VALU_DEP_2) | instskip(SKIP_1) | instid1(VALU_DEP_3)
	v_cmp_eq_u32_e32 vcc_lo, 0, v75
	v_cndmask_b32_e32 v75, v75, v77, vcc_lo
	v_dual_cndmask_b32 v76, v76, v78 :: v_dual_lshlrev_b32 v79, 16, v21
	s_delay_alu instid0(VALU_DEP_2) | instskip(NEXT) | instid1(VALU_DEP_2)
	v_lshl_add_u32 v75, v75, 23, 0x3b800000
	v_and_b32_e32 v77, 0x80000000, v79
	s_delay_alu instid0(VALU_DEP_3) | instskip(NEXT) | instid1(VALU_DEP_1)
	v_lshlrev_b32_e32 v76, 20, v76
	v_or3_b32 v75, v77, v75, v76
.LBB6_11936:                            ;   in Loop: Header=BB6_10858 Depth=3
	s_or_b32 exec_lo, exec_lo, s17
	s_mov_b32 s13, 0
	s_mov_b32 s31, exec_lo
                                        ; implicit-def: $sgpr17
	v_cmpx_lt_i16_e32 0x7f, v73
	s_xor_b32 s31, exec_lo, s31
	s_cbranch_execnz .LBB6_13308
; %bb.11937:                            ;   in Loop: Header=BB6_10858 Depth=3
	s_or_saveexec_b32 s31, s31
	v_mov_b32_e32 v76, s17
	s_xor_b32 exec_lo, exec_lo, s31
	s_cbranch_execnz .LBB6_13311
.LBB6_11938:                            ;   in Loop: Header=BB6_10858 Depth=3
	s_or_b32 exec_lo, exec_lo, s31
	s_and_saveexec_b32 s17, s13
	s_cbranch_execz .LBB6_11940
.LBB6_11939:                            ;   in Loop: Header=BB6_10858 Depth=3
	v_and_b32_e32 v76, 0xffff, v73
	v_lshlrev_b32_e32 v88, 16, v17
	s_delay_alu instid0(VALU_DEP_2) | instskip(NEXT) | instid1(VALU_DEP_1)
	v_and_b32_e32 v77, 7, v76
	v_clz_i32_u32_e32 v78, v77
	s_delay_alu instid0(VALU_DEP_1) | instskip(NEXT) | instid1(VALU_DEP_1)
	v_min_u32_e32 v78, 32, v78
	v_subrev_nc_u32_e32 v79, 28, v78
	v_sub_nc_u32_e32 v78, 29, v78
	s_delay_alu instid0(VALU_DEP_2) | instskip(SKIP_1) | instid1(VALU_DEP_2)
	v_lshlrev_b32_e32 v79, v79, v76
	v_bfe_u32 v76, v76, 3, 4
	v_and_b32_e32 v79, 7, v79
	s_delay_alu instid0(VALU_DEP_2) | instskip(NEXT) | instid1(VALU_DEP_2)
	v_cmp_eq_u32_e32 vcc_lo, 0, v76
	v_dual_cndmask_b32 v76, v76, v78 :: v_dual_cndmask_b32 v77, v77, v79
	v_and_b32_e32 v78, 0x80000000, v88
	s_delay_alu instid0(VALU_DEP_2) | instskip(NEXT) | instid1(VALU_DEP_3)
	v_lshl_add_u32 v76, v76, 23, 0x3b800000
	v_lshlrev_b32_e32 v77, 20, v77
	s_delay_alu instid0(VALU_DEP_1)
	v_or3_b32 v76, v78, v76, v77
.LBB6_11940:                            ;   in Loop: Header=BB6_10858 Depth=3
	s_or_b32 exec_lo, exec_lo, s17
	s_delay_alu instid0(VALU_DEP_1) | instskip(SKIP_1) | instid1(VALU_DEP_1)
	v_dual_max_f32 v76, v76, v76 :: v_dual_max_f32 v75, v75, v75
	s_mov_b32 s13, 0
	v_max_f32_e32 v75, v75, v76
	s_branch .LBB6_11942
.LBB6_11941:                            ;   in Loop: Header=BB6_10858 Depth=3
	s_mov_b32 s13, -1
                                        ; implicit-def: $vgpr75
.LBB6_11942:                            ;   in Loop: Header=BB6_10858 Depth=3
	s_delay_alu instid0(SALU_CYCLE_1)
	s_and_b32 vcc_lo, exec_lo, s13
	s_cbranch_vccz .LBB6_11952
; %bb.11943:                            ;   in Loop: Header=BB6_10858 Depth=3
	s_mov_b32 s13, 0
	s_mov_b32 s31, exec_lo
                                        ; implicit-def: $sgpr17
	v_cmpx_lt_i16_e32 0x7f, v74
	s_xor_b32 s31, exec_lo, s31
	s_cbranch_execnz .LBB6_13312
; %bb.11944:                            ;   in Loop: Header=BB6_10858 Depth=3
	s_or_saveexec_b32 s31, s31
	v_mov_b32_e32 v75, s17
	s_xor_b32 exec_lo, exec_lo, s31
	s_cbranch_execnz .LBB6_13315
.LBB6_11945:                            ;   in Loop: Header=BB6_10858 Depth=3
	s_or_b32 exec_lo, exec_lo, s31
	s_and_saveexec_b32 s17, s13
	s_cbranch_execz .LBB6_11947
.LBB6_11946:                            ;   in Loop: Header=BB6_10858 Depth=3
	v_and_b32_e32 v74, 0xffff, v74
	v_lshlrev_b32_e32 v78, 16, v21
	s_delay_alu instid0(VALU_DEP_2) | instskip(NEXT) | instid1(VALU_DEP_1)
	v_and_b32_e32 v75, 7, v74
	v_clz_i32_u32_e32 v76, v75
	s_delay_alu instid0(VALU_DEP_1) | instskip(NEXT) | instid1(VALU_DEP_1)
	v_min_u32_e32 v76, 32, v76
	v_subrev_nc_u32_e32 v77, 28, v76
	v_sub_nc_u32_e32 v76, 29, v76
	s_delay_alu instid0(VALU_DEP_2) | instskip(SKIP_1) | instid1(VALU_DEP_2)
	v_lshlrev_b32_e32 v77, v77, v74
	v_bfe_u32 v74, v74, 3, 4
	v_and_b32_e32 v77, 7, v77
	s_delay_alu instid0(VALU_DEP_2) | instskip(NEXT) | instid1(VALU_DEP_2)
	v_cmp_eq_u32_e32 vcc_lo, 0, v74
	v_dual_cndmask_b32 v74, v74, v76 :: v_dual_cndmask_b32 v75, v75, v77
	v_and_b32_e32 v76, 0x80000000, v78
	s_delay_alu instid0(VALU_DEP_2) | instskip(NEXT) | instid1(VALU_DEP_3)
	v_lshl_add_u32 v74, v74, 23, 0x3b800000
	v_lshlrev_b32_e32 v75, 20, v75
	s_delay_alu instid0(VALU_DEP_1)
	v_or3_b32 v75, v76, v74, v75
.LBB6_11947:                            ;   in Loop: Header=BB6_10858 Depth=3
	s_or_b32 exec_lo, exec_lo, s17
	s_mov_b32 s13, 0
	s_mov_b32 s31, exec_lo
                                        ; implicit-def: $sgpr17
	v_cmpx_lt_i16_e32 0x7f, v73
	s_xor_b32 s31, exec_lo, s31
	s_cbranch_execnz .LBB6_13316
; %bb.11948:                            ;   in Loop: Header=BB6_10858 Depth=3
	s_or_saveexec_b32 s31, s31
	v_mov_b32_e32 v74, s17
	s_xor_b32 exec_lo, exec_lo, s31
	s_cbranch_execnz .LBB6_13319
.LBB6_11949:                            ;   in Loop: Header=BB6_10858 Depth=3
	s_or_b32 exec_lo, exec_lo, s31
	s_and_saveexec_b32 s17, s13
	s_cbranch_execz .LBB6_11951
.LBB6_11950:                            ;   in Loop: Header=BB6_10858 Depth=3
	v_and_b32_e32 v73, 0xffff, v73
	v_lshlrev_b32_e32 v78, 16, v17
	s_delay_alu instid0(VALU_DEP_2) | instskip(NEXT) | instid1(VALU_DEP_1)
	v_and_b32_e32 v74, 7, v73
	v_clz_i32_u32_e32 v76, v74
	s_delay_alu instid0(VALU_DEP_1) | instskip(NEXT) | instid1(VALU_DEP_1)
	v_min_u32_e32 v76, 32, v76
	v_subrev_nc_u32_e32 v77, 28, v76
	v_sub_nc_u32_e32 v76, 29, v76
	s_delay_alu instid0(VALU_DEP_2) | instskip(SKIP_1) | instid1(VALU_DEP_2)
	v_lshlrev_b32_e32 v77, v77, v73
	v_bfe_u32 v73, v73, 3, 4
	v_and_b32_e32 v77, 7, v77
	s_delay_alu instid0(VALU_DEP_2) | instskip(NEXT) | instid1(VALU_DEP_2)
	v_cmp_eq_u32_e32 vcc_lo, 0, v73
	v_dual_cndmask_b32 v73, v73, v76 :: v_dual_cndmask_b32 v74, v74, v77
	v_and_b32_e32 v76, 0x80000000, v78
	s_delay_alu instid0(VALU_DEP_2) | instskip(NEXT) | instid1(VALU_DEP_3)
	v_lshl_add_u32 v73, v73, 23, 0x3b800000
	v_lshlrev_b32_e32 v74, 20, v74
	s_delay_alu instid0(VALU_DEP_1)
	v_or3_b32 v74, v76, v73, v74
.LBB6_11951:                            ;   in Loop: Header=BB6_10858 Depth=3
	s_or_b32 exec_lo, exec_lo, s17
	s_delay_alu instid0(VALU_DEP_1) | instskip(NEXT) | instid1(VALU_DEP_1)
	v_dual_max_f32 v73, v74, v74 :: v_dual_max_f32 v74, v75, v75
	v_min_f32_e32 v75, v74, v73
.LBB6_11952:                            ;   in Loop: Header=BB6_10858 Depth=3
	s_delay_alu instid0(VALU_DEP_1) | instskip(NEXT) | instid1(VALU_DEP_1)
	v_and_b32_e32 v73, 0x7f800000, v75
	v_cmp_ne_u32_e32 vcc_lo, 0x7f800000, v73
	v_mov_b32_e32 v73, 0x80
	s_and_saveexec_b32 s17, vcc_lo
	s_cbranch_execz .LBB6_11960
; %bb.11953:                            ;   in Loop: Header=BB6_10858 Depth=3
	v_mov_b32_e32 v73, 0
	s_mov_b32 s31, exec_lo
	v_cmpx_ne_u32_e32 0, v75
	s_cbranch_execz .LBB6_11959
; %bb.11954:                            ;   in Loop: Header=BB6_10858 Depth=3
	v_bfe_u32 v73, v75, 23, 8
	v_and_b32_e32 v74, 0x7fffff, v75
	s_delay_alu instid0(VALU_DEP_2) | instskip(SKIP_1) | instid1(VALU_DEP_3)
	v_sub_nc_u32_e32 v76, 0x78, v73
	v_cmp_gt_u32_e32 vcc_lo, 0x79, v73
	v_or_b32_e32 v77, 0x800000, v74
	s_delay_alu instid0(VALU_DEP_3) | instskip(SKIP_2) | instid1(VALU_DEP_3)
	v_cndmask_b32_e32 v76, 0, v76, vcc_lo
	v_cmp_eq_u32_e32 vcc_lo, 0, v73
	v_add_nc_u32_e32 v73, 0xffffff89, v73
	v_cndmask_b32_e64 v76, v76, 0x77, vcc_lo
	v_cndmask_b32_e32 v74, v77, v74, vcc_lo
	s_delay_alu instid0(VALU_DEP_3) | instskip(NEXT) | instid1(VALU_DEP_3)
	v_cndmask_b32_e64 v73, v73, 0xffffff8a, vcc_lo
	v_lshl_add_u32 v77, 0x100000, v76, -1
	s_delay_alu instid0(VALU_DEP_3) | instskip(SKIP_1) | instid1(VALU_DEP_4)
	v_lshrrev_b32_e32 v78, v76, v74
	v_lshlrev_b32_e64 v88, v76, 0x80000
	v_add_nc_u32_e32 v76, v76, v73
	s_delay_alu instid0(VALU_DEP_4) | instskip(NEXT) | instid1(VALU_DEP_4)
	v_and_b32_e32 v74, v77, v74
	v_bfe_u32 v79, v78, 20, 1
	s_delay_alu instid0(VALU_DEP_2) | instskip(NEXT) | instid1(VALU_DEP_2)
	v_cmp_eq_u32_e64 s13, v74, v88
	v_add_nc_u32_e32 v77, -1, v79
	s_delay_alu instid0(VALU_DEP_1) | instskip(SKIP_2) | instid1(VALU_DEP_2)
	v_cndmask_b32_e64 v74, 0, v77, s13
	v_lshrrev_b32_e32 v77, 23, v78
	s_mov_b32 s13, exec_lo
	v_add_nc_u32_e32 v74, v74, v78
	s_delay_alu instid0(VALU_DEP_2) | instskip(NEXT) | instid1(VALU_DEP_2)
	v_xor_b32_e32 v77, 1, v77
	v_and_b32_e32 v73, 0xfffff, v74
	s_delay_alu instid0(VALU_DEP_1) | instskip(NEXT) | instid1(VALU_DEP_3)
	v_add_nc_u32_e32 v74, v73, v78
                                        ; implicit-def: $vgpr73
	v_cmpx_ne_u32_e64 v76, v77
	s_xor_b32 s13, exec_lo, s13
; %bb.11955:                            ;   in Loop: Header=BB6_10858 Depth=3
	s_delay_alu instid0(VALU_DEP_2) | instskip(SKIP_2) | instid1(VALU_DEP_2)
	v_cmp_lt_u32_e32 vcc_lo, 0xffffff, v74
	v_sub_nc_u32_e32 v73, v76, v77
	v_cndmask_b32_e64 v76, 0, 1, vcc_lo
	v_add_co_ci_u32_e32 v73, vcc_lo, 0, v73, vcc_lo
	s_delay_alu instid0(VALU_DEP_2)
	v_lshrrev_b32_e32 v74, v76, v74
; %bb.11956:                            ;   in Loop: Header=BB6_10858 Depth=3
	s_and_not1_saveexec_b32 s13, s13
; %bb.11957:                            ;   in Loop: Header=BB6_10858 Depth=3
	s_delay_alu instid0(VALU_DEP_1)
	v_bfe_u32 v73, v74, 23, 1
; %bb.11958:                            ;   in Loop: Header=BB6_10858 Depth=3
	s_or_b32 exec_lo, exec_lo, s13
	v_lshrrev_b32_e32 v74, 20, v74
	s_delay_alu instid0(VALU_DEP_2) | instskip(SKIP_2) | instid1(VALU_DEP_2)
	v_cmp_gt_i32_e32 vcc_lo, 16, v73
	v_lshrrev_b32_e32 v75, 24, v75
	v_min_i32_e32 v76, 15, v73
	v_dual_cndmask_b32 v74, 7, v74 :: v_dual_and_b32 v75, 0x80, v75
	s_delay_alu instid0(VALU_DEP_1) | instskip(SKIP_1) | instid1(VALU_DEP_2)
	v_or_b32_e32 v73, v73, v74
	v_and_b32_e32 v77, 7, v74
	v_cmp_ne_u32_e32 vcc_lo, 0, v73
	v_lshlrev_b32_e32 v76, 3, v76
	s_delay_alu instid0(VALU_DEP_1) | instskip(NEXT) | instid1(VALU_DEP_1)
	v_or3_b32 v74, v76, v75, v77
	v_cndmask_b32_e32 v73, 0, v74, vcc_lo
.LBB6_11959:                            ;   in Loop: Header=BB6_10858 Depth=3
	s_or_b32 exec_lo, exec_lo, s31
.LBB6_11960:                            ;   in Loop: Header=BB6_10858 Depth=3
	s_delay_alu instid0(SALU_CYCLE_1)
	s_or_b32 exec_lo, exec_lo, s17
	v_lshrrev_b32_e32 v75, 16, v21
	v_lshrrev_b32_e32 v74, 16, v17
	s_and_not1_b32 vcc_lo, exec_lo, s16
	s_cbranch_vccnz .LBB6_11970
; %bb.11961:                            ;   in Loop: Header=BB6_10858 Depth=3
	s_delay_alu instid0(VALU_DEP_2) | instskip(SKIP_2) | instid1(VALU_DEP_1)
	v_and_b32_e32 v77, 0xff, v75
	s_mov_b32 s13, 0
	s_mov_b32 s31, exec_lo
                                        ; implicit-def: $sgpr17
	v_cmpx_lt_i16_e32 0x7f, v77
	s_xor_b32 s31, exec_lo, s31
	s_cbranch_execnz .LBB6_13320
; %bb.11962:                            ;   in Loop: Header=BB6_10858 Depth=3
	s_or_saveexec_b32 s31, s31
	v_mov_b32_e32 v76, s17
	s_xor_b32 exec_lo, exec_lo, s31
	s_cbranch_execnz .LBB6_13323
.LBB6_11963:                            ;   in Loop: Header=BB6_10858 Depth=3
	s_or_b32 exec_lo, exec_lo, s31
	s_and_saveexec_b32 s17, s13
	s_cbranch_execz .LBB6_11965
.LBB6_11964:                            ;   in Loop: Header=BB6_10858 Depth=3
	v_bfe_u32 v76, v21, 16, 3
	v_bfe_u32 v79, v21, 19, 4
	v_lshlrev_b32_e32 v88, 24, v75
	s_delay_alu instid0(VALU_DEP_3) | instskip(NEXT) | instid1(VALU_DEP_3)
	v_clz_i32_u32_e32 v77, v76
	v_cmp_eq_u32_e32 vcc_lo, 0, v79
	s_delay_alu instid0(VALU_DEP_2) | instskip(NEXT) | instid1(VALU_DEP_1)
	v_min_u32_e32 v77, 32, v77
	v_subrev_nc_u32_e32 v78, 28, v77
	v_sub_nc_u32_e32 v77, 29, v77
	s_delay_alu instid0(VALU_DEP_1) | instskip(NEXT) | instid1(VALU_DEP_1)
	v_dual_cndmask_b32 v77, v79, v77 :: v_dual_lshlrev_b32 v78, v78, v75
	v_and_b32_e32 v78, 7, v78
	s_delay_alu instid0(VALU_DEP_2) | instskip(NEXT) | instid1(VALU_DEP_2)
	v_lshl_add_u32 v77, v77, 23, 0x3b800000
	v_cndmask_b32_e32 v76, v76, v78, vcc_lo
	v_and_b32_e32 v78, 0x80000000, v88
	s_delay_alu instid0(VALU_DEP_2) | instskip(NEXT) | instid1(VALU_DEP_1)
	v_lshlrev_b32_e32 v76, 20, v76
	v_or3_b32 v76, v78, v77, v76
.LBB6_11965:                            ;   in Loop: Header=BB6_10858 Depth=3
	s_or_b32 exec_lo, exec_lo, s17
	v_and_b32_e32 v78, 0xff, v74
	s_mov_b32 s13, 0
	s_mov_b32 s31, exec_lo
                                        ; implicit-def: $sgpr17
	s_delay_alu instid0(VALU_DEP_1)
	v_cmpx_lt_i16_e32 0x7f, v78
	s_xor_b32 s31, exec_lo, s31
	s_cbranch_execnz .LBB6_13324
; %bb.11966:                            ;   in Loop: Header=BB6_10858 Depth=3
	s_or_saveexec_b32 s31, s31
	v_mov_b32_e32 v77, s17
	s_xor_b32 exec_lo, exec_lo, s31
	s_cbranch_execnz .LBB6_13327
.LBB6_11967:                            ;   in Loop: Header=BB6_10858 Depth=3
	s_or_b32 exec_lo, exec_lo, s31
	s_and_saveexec_b32 s17, s13
	s_cbranch_execz .LBB6_11969
.LBB6_11968:                            ;   in Loop: Header=BB6_10858 Depth=3
	v_bfe_u32 v77, v17, 16, 3
	v_bfe_u32 v88, v17, 19, 4
	v_lshlrev_b32_e32 v89, 24, v74
	s_delay_alu instid0(VALU_DEP_3) | instskip(NEXT) | instid1(VALU_DEP_3)
	v_clz_i32_u32_e32 v78, v77
	v_cmp_eq_u32_e32 vcc_lo, 0, v88
	s_delay_alu instid0(VALU_DEP_2) | instskip(NEXT) | instid1(VALU_DEP_1)
	v_min_u32_e32 v78, 32, v78
	v_subrev_nc_u32_e32 v79, 28, v78
	v_sub_nc_u32_e32 v78, 29, v78
	s_delay_alu instid0(VALU_DEP_2) | instskip(NEXT) | instid1(VALU_DEP_1)
	v_lshlrev_b32_e32 v79, v79, v74
	v_dual_cndmask_b32 v78, v88, v78 :: v_dual_and_b32 v79, 7, v79
	s_delay_alu instid0(VALU_DEP_1) | instskip(NEXT) | instid1(VALU_DEP_2)
	v_lshl_add_u32 v78, v78, 23, 0x3b800000
	v_cndmask_b32_e32 v77, v77, v79, vcc_lo
	v_and_b32_e32 v79, 0x80000000, v89
	s_delay_alu instid0(VALU_DEP_2) | instskip(NEXT) | instid1(VALU_DEP_1)
	v_lshlrev_b32_e32 v77, 20, v77
	v_or3_b32 v77, v79, v78, v77
.LBB6_11969:                            ;   in Loop: Header=BB6_10858 Depth=3
	s_or_b32 exec_lo, exec_lo, s17
	s_delay_alu instid0(VALU_DEP_1) | instskip(SKIP_1) | instid1(VALU_DEP_1)
	v_dual_max_f32 v77, v77, v77 :: v_dual_max_f32 v76, v76, v76
	s_mov_b32 s13, 0
	v_max_f32_e32 v76, v76, v77
	s_branch .LBB6_11971
.LBB6_11970:                            ;   in Loop: Header=BB6_10858 Depth=3
	s_mov_b32 s13, -1
                                        ; implicit-def: $vgpr76
.LBB6_11971:                            ;   in Loop: Header=BB6_10858 Depth=3
	s_delay_alu instid0(SALU_CYCLE_1)
	s_and_b32 vcc_lo, exec_lo, s13
	s_cbranch_vccz .LBB6_11981
; %bb.11972:                            ;   in Loop: Header=BB6_10858 Depth=3
	v_and_b32_e32 v77, 0xff, v75
	s_mov_b32 s13, 0
	s_mov_b32 s31, exec_lo
                                        ; implicit-def: $sgpr17
	s_delay_alu instid0(VALU_DEP_1)
	v_cmpx_lt_i16_e32 0x7f, v77
	s_xor_b32 s31, exec_lo, s31
	s_cbranch_execnz .LBB6_13328
; %bb.11973:                            ;   in Loop: Header=BB6_10858 Depth=3
	s_or_saveexec_b32 s31, s31
	v_mov_b32_e32 v76, s17
	s_xor_b32 exec_lo, exec_lo, s31
	s_cbranch_execnz .LBB6_13331
.LBB6_11974:                            ;   in Loop: Header=BB6_10858 Depth=3
	s_or_b32 exec_lo, exec_lo, s31
	s_and_saveexec_b32 s17, s13
	s_cbranch_execz .LBB6_11976
.LBB6_11975:                            ;   in Loop: Header=BB6_10858 Depth=3
	v_bfe_u32 v76, v21, 16, 3
	v_bfe_u32 v79, v21, 19, 4
	s_delay_alu instid0(VALU_DEP_2) | instskip(NEXT) | instid1(VALU_DEP_2)
	v_clz_i32_u32_e32 v77, v76
	v_cmp_eq_u32_e32 vcc_lo, 0, v79
	s_delay_alu instid0(VALU_DEP_2) | instskip(NEXT) | instid1(VALU_DEP_1)
	v_min_u32_e32 v77, 32, v77
	v_subrev_nc_u32_e32 v78, 28, v77
	v_sub_nc_u32_e32 v77, 29, v77
	s_delay_alu instid0(VALU_DEP_1) | instskip(NEXT) | instid1(VALU_DEP_1)
	v_dual_cndmask_b32 v77, v79, v77 :: v_dual_lshlrev_b32 v78, v78, v75
	v_and_b32_e32 v78, 7, v78
	v_lshlrev_b32_e32 v75, 24, v75
	s_delay_alu instid0(VALU_DEP_3) | instskip(NEXT) | instid1(VALU_DEP_2)
	v_lshl_add_u32 v77, v77, 23, 0x3b800000
	v_dual_cndmask_b32 v76, v76, v78 :: v_dual_and_b32 v75, 0x80000000, v75
	s_delay_alu instid0(VALU_DEP_1) | instskip(NEXT) | instid1(VALU_DEP_1)
	v_lshlrev_b32_e32 v76, 20, v76
	v_or3_b32 v76, v75, v77, v76
.LBB6_11976:                            ;   in Loop: Header=BB6_10858 Depth=3
	s_or_b32 exec_lo, exec_lo, s17
	v_and_b32_e32 v77, 0xff, v74
	s_mov_b32 s13, 0
	s_mov_b32 s31, exec_lo
                                        ; implicit-def: $sgpr17
	s_delay_alu instid0(VALU_DEP_1)
	v_cmpx_lt_i16_e32 0x7f, v77
	s_xor_b32 s31, exec_lo, s31
	s_cbranch_execnz .LBB6_13332
; %bb.11977:                            ;   in Loop: Header=BB6_10858 Depth=3
	s_or_saveexec_b32 s31, s31
	v_mov_b32_e32 v75, s17
	s_xor_b32 exec_lo, exec_lo, s31
	s_cbranch_execnz .LBB6_13335
.LBB6_11978:                            ;   in Loop: Header=BB6_10858 Depth=3
	s_or_b32 exec_lo, exec_lo, s31
	s_and_saveexec_b32 s17, s13
	s_cbranch_execz .LBB6_11980
.LBB6_11979:                            ;   in Loop: Header=BB6_10858 Depth=3
	v_bfe_u32 v75, v17, 16, 3
	v_bfe_u32 v79, v17, 19, 4
	s_delay_alu instid0(VALU_DEP_2) | instskip(NEXT) | instid1(VALU_DEP_2)
	v_clz_i32_u32_e32 v77, v75
	v_cmp_eq_u32_e32 vcc_lo, 0, v79
	s_delay_alu instid0(VALU_DEP_2) | instskip(NEXT) | instid1(VALU_DEP_1)
	v_min_u32_e32 v77, 32, v77
	v_subrev_nc_u32_e32 v78, 28, v77
	v_sub_nc_u32_e32 v77, 29, v77
	s_delay_alu instid0(VALU_DEP_1) | instskip(SKIP_1) | instid1(VALU_DEP_2)
	v_dual_cndmask_b32 v77, v79, v77 :: v_dual_lshlrev_b32 v78, v78, v74
	v_lshlrev_b32_e32 v74, 24, v74
	v_and_b32_e32 v78, 7, v78
	s_delay_alu instid0(VALU_DEP_3) | instskip(NEXT) | instid1(VALU_DEP_3)
	v_lshl_add_u32 v77, v77, 23, 0x3b800000
	v_and_b32_e32 v74, 0x80000000, v74
	s_delay_alu instid0(VALU_DEP_3) | instskip(NEXT) | instid1(VALU_DEP_1)
	v_cndmask_b32_e32 v75, v75, v78, vcc_lo
	v_lshlrev_b32_e32 v75, 20, v75
	s_delay_alu instid0(VALU_DEP_1)
	v_or3_b32 v75, v74, v77, v75
.LBB6_11980:                            ;   in Loop: Header=BB6_10858 Depth=3
	s_or_b32 exec_lo, exec_lo, s17
	s_delay_alu instid0(VALU_DEP_1) | instskip(NEXT) | instid1(VALU_DEP_1)
	v_dual_max_f32 v74, v75, v75 :: v_dual_max_f32 v75, v76, v76
	v_min_f32_e32 v76, v75, v74
.LBB6_11981:                            ;   in Loop: Header=BB6_10858 Depth=3
	s_delay_alu instid0(VALU_DEP_1) | instskip(NEXT) | instid1(VALU_DEP_1)
	v_and_b32_e32 v74, 0x7f800000, v76
	v_cmp_ne_u32_e32 vcc_lo, 0x7f800000, v74
	v_mov_b32_e32 v74, 0x80
	s_and_saveexec_b32 s17, vcc_lo
	s_cbranch_execz .LBB6_11989
; %bb.11982:                            ;   in Loop: Header=BB6_10858 Depth=3
	v_mov_b32_e32 v74, 0
	s_mov_b32 s31, exec_lo
	v_cmpx_ne_u32_e32 0, v76
	s_cbranch_execz .LBB6_11988
; %bb.11983:                            ;   in Loop: Header=BB6_10858 Depth=3
	v_bfe_u32 v74, v76, 23, 8
	v_and_b32_e32 v75, 0x7fffff, v76
	s_delay_alu instid0(VALU_DEP_2) | instskip(SKIP_1) | instid1(VALU_DEP_3)
	v_sub_nc_u32_e32 v77, 0x78, v74
	v_cmp_gt_u32_e32 vcc_lo, 0x79, v74
	v_or_b32_e32 v78, 0x800000, v75
	s_delay_alu instid0(VALU_DEP_3) | instskip(SKIP_2) | instid1(VALU_DEP_3)
	v_cndmask_b32_e32 v77, 0, v77, vcc_lo
	v_cmp_eq_u32_e32 vcc_lo, 0, v74
	v_add_nc_u32_e32 v74, 0xffffff89, v74
	v_cndmask_b32_e64 v77, v77, 0x77, vcc_lo
	v_cndmask_b32_e32 v75, v78, v75, vcc_lo
	s_delay_alu instid0(VALU_DEP_3) | instskip(NEXT) | instid1(VALU_DEP_3)
	v_cndmask_b32_e64 v74, v74, 0xffffff8a, vcc_lo
	v_lshl_add_u32 v78, 0x100000, v77, -1
	s_delay_alu instid0(VALU_DEP_3) | instskip(SKIP_1) | instid1(VALU_DEP_4)
	v_lshrrev_b32_e32 v79, v77, v75
	v_lshlrev_b32_e64 v89, v77, 0x80000
	v_add_nc_u32_e32 v77, v77, v74
	s_delay_alu instid0(VALU_DEP_4) | instskip(NEXT) | instid1(VALU_DEP_4)
	v_and_b32_e32 v75, v78, v75
	v_bfe_u32 v88, v79, 20, 1
	s_delay_alu instid0(VALU_DEP_2) | instskip(NEXT) | instid1(VALU_DEP_2)
	v_cmp_eq_u32_e64 s13, v75, v89
	v_add_nc_u32_e32 v78, -1, v88
	s_delay_alu instid0(VALU_DEP_1) | instskip(SKIP_2) | instid1(VALU_DEP_2)
	v_cndmask_b32_e64 v75, 0, v78, s13
	v_lshrrev_b32_e32 v78, 23, v79
	s_mov_b32 s13, exec_lo
	v_add_nc_u32_e32 v75, v75, v79
	s_delay_alu instid0(VALU_DEP_2) | instskip(NEXT) | instid1(VALU_DEP_2)
	v_xor_b32_e32 v78, 1, v78
	v_and_b32_e32 v74, 0xfffff, v75
	s_delay_alu instid0(VALU_DEP_1) | instskip(NEXT) | instid1(VALU_DEP_3)
	v_add_nc_u32_e32 v75, v74, v79
                                        ; implicit-def: $vgpr74
	v_cmpx_ne_u32_e64 v77, v78
	s_xor_b32 s13, exec_lo, s13
; %bb.11984:                            ;   in Loop: Header=BB6_10858 Depth=3
	s_delay_alu instid0(VALU_DEP_2) | instskip(SKIP_2) | instid1(VALU_DEP_2)
	v_cmp_lt_u32_e32 vcc_lo, 0xffffff, v75
	v_sub_nc_u32_e32 v74, v77, v78
	v_cndmask_b32_e64 v77, 0, 1, vcc_lo
	v_add_co_ci_u32_e32 v74, vcc_lo, 0, v74, vcc_lo
	s_delay_alu instid0(VALU_DEP_2)
	v_lshrrev_b32_e32 v75, v77, v75
; %bb.11985:                            ;   in Loop: Header=BB6_10858 Depth=3
	s_and_not1_saveexec_b32 s13, s13
; %bb.11986:                            ;   in Loop: Header=BB6_10858 Depth=3
	s_delay_alu instid0(VALU_DEP_1)
	v_bfe_u32 v74, v75, 23, 1
; %bb.11987:                            ;   in Loop: Header=BB6_10858 Depth=3
	s_or_b32 exec_lo, exec_lo, s13
	v_lshrrev_b32_e32 v75, 20, v75
	s_delay_alu instid0(VALU_DEP_2) | instskip(SKIP_2) | instid1(VALU_DEP_2)
	v_cmp_gt_i32_e32 vcc_lo, 16, v74
	v_lshrrev_b32_e32 v76, 24, v76
	v_min_i32_e32 v77, 15, v74
	v_dual_cndmask_b32 v75, 7, v75 :: v_dual_and_b32 v76, 0x80, v76
	s_delay_alu instid0(VALU_DEP_1) | instskip(SKIP_1) | instid1(VALU_DEP_2)
	v_or_b32_e32 v74, v74, v75
	v_and_b32_e32 v78, 7, v75
	v_cmp_ne_u32_e32 vcc_lo, 0, v74
	v_lshlrev_b32_e32 v77, 3, v77
	s_delay_alu instid0(VALU_DEP_1) | instskip(NEXT) | instid1(VALU_DEP_1)
	v_and_b32_e32 v77, 0xf8, v77
	v_or3_b32 v75, v77, v76, v78
	s_delay_alu instid0(VALU_DEP_1)
	v_cndmask_b32_e32 v74, 0, v75, vcc_lo
.LBB6_11988:                            ;   in Loop: Header=BB6_10858 Depth=3
	s_or_b32 exec_lo, exec_lo, s31
.LBB6_11989:                            ;   in Loop: Header=BB6_10858 Depth=3
	s_delay_alu instid0(SALU_CYCLE_1)
	s_or_b32 exec_lo, exec_lo, s17
	v_lshrrev_b32_e32 v76, 24, v21
	v_lshrrev_b32_e32 v75, 24, v17
	s_and_not1_b32 vcc_lo, exec_lo, s16
	s_cbranch_vccnz .LBB6_11999
; %bb.11990:                            ;   in Loop: Header=BB6_10858 Depth=3
	s_mov_b32 s13, 0
	s_mov_b32 s31, exec_lo
                                        ; implicit-def: $sgpr17
	v_cmpx_lt_i16_e32 0x7f, v76
	s_xor_b32 s31, exec_lo, s31
	s_cbranch_execnz .LBB6_13336
; %bb.11991:                            ;   in Loop: Header=BB6_10858 Depth=3
	s_or_saveexec_b32 s31, s31
	v_mov_b32_e32 v77, s17
	s_xor_b32 exec_lo, exec_lo, s31
	s_cbranch_execnz .LBB6_13339
.LBB6_11992:                            ;   in Loop: Header=BB6_10858 Depth=3
	s_or_b32 exec_lo, exec_lo, s31
	s_and_saveexec_b32 s17, s13
	s_cbranch_execz .LBB6_11994
.LBB6_11993:                            ;   in Loop: Header=BB6_10858 Depth=3
	v_bfe_u32 v77, v21, 24, 3
	v_bfe_u32 v88, v21, 27, 4
	s_delay_alu instid0(VALU_DEP_2) | instskip(NEXT) | instid1(VALU_DEP_2)
	v_clz_i32_u32_e32 v78, v77
	v_cmp_eq_u32_e32 vcc_lo, 0, v88
	s_delay_alu instid0(VALU_DEP_2) | instskip(NEXT) | instid1(VALU_DEP_1)
	v_min_u32_e32 v78, 32, v78
	v_subrev_nc_u32_e32 v79, 28, v78
	v_sub_nc_u32_e32 v78, 29, v78
	s_delay_alu instid0(VALU_DEP_1) | instskip(NEXT) | instid1(VALU_DEP_1)
	v_dual_cndmask_b32 v78, v88, v78 :: v_dual_lshlrev_b32 v79, v79, v76
	v_and_b32_e32 v79, 7, v79
	s_delay_alu instid0(VALU_DEP_2) | instskip(NEXT) | instid1(VALU_DEP_2)
	v_lshl_add_u32 v78, v78, 23, 0x3b800000
	v_cndmask_b32_e32 v77, v77, v79, vcc_lo
	v_and_b32_e32 v79, 0x80000000, v21
	s_delay_alu instid0(VALU_DEP_2) | instskip(NEXT) | instid1(VALU_DEP_1)
	v_lshlrev_b32_e32 v77, 20, v77
	v_or3_b32 v77, v79, v78, v77
.LBB6_11994:                            ;   in Loop: Header=BB6_10858 Depth=3
	s_or_b32 exec_lo, exec_lo, s17
	s_mov_b32 s13, 0
	s_mov_b32 s31, exec_lo
                                        ; implicit-def: $sgpr17
	v_cmpx_lt_i16_e32 0x7f, v75
	s_xor_b32 s31, exec_lo, s31
	s_cbranch_execnz .LBB6_13340
; %bb.11995:                            ;   in Loop: Header=BB6_10858 Depth=3
	s_or_saveexec_b32 s31, s31
	v_mov_b32_e32 v78, s17
	s_xor_b32 exec_lo, exec_lo, s31
	s_cbranch_execnz .LBB6_13343
.LBB6_11996:                            ;   in Loop: Header=BB6_10858 Depth=3
	s_or_b32 exec_lo, exec_lo, s31
	s_and_saveexec_b32 s17, s13
	s_cbranch_execz .LBB6_11998
.LBB6_11997:                            ;   in Loop: Header=BB6_10858 Depth=3
	v_bfe_u32 v78, v17, 24, 3
	v_bfe_u32 v89, v17, 27, 4
	s_delay_alu instid0(VALU_DEP_2) | instskip(NEXT) | instid1(VALU_DEP_2)
	v_clz_i32_u32_e32 v79, v78
	v_cmp_eq_u32_e32 vcc_lo, 0, v89
	s_delay_alu instid0(VALU_DEP_2) | instskip(NEXT) | instid1(VALU_DEP_1)
	v_min_u32_e32 v79, 32, v79
	v_subrev_nc_u32_e32 v88, 28, v79
	v_sub_nc_u32_e32 v79, 29, v79
	s_delay_alu instid0(VALU_DEP_2) | instskip(NEXT) | instid1(VALU_DEP_1)
	v_lshlrev_b32_e32 v88, v88, v75
	v_dual_cndmask_b32 v79, v89, v79 :: v_dual_and_b32 v88, 7, v88
	s_delay_alu instid0(VALU_DEP_1) | instskip(NEXT) | instid1(VALU_DEP_2)
	v_lshl_add_u32 v79, v79, 23, 0x3b800000
	v_cndmask_b32_e32 v78, v78, v88, vcc_lo
	v_and_b32_e32 v88, 0x80000000, v17
	s_delay_alu instid0(VALU_DEP_2) | instskip(NEXT) | instid1(VALU_DEP_1)
	v_lshlrev_b32_e32 v78, 20, v78
	v_or3_b32 v78, v88, v79, v78
.LBB6_11998:                            ;   in Loop: Header=BB6_10858 Depth=3
	s_or_b32 exec_lo, exec_lo, s17
	s_delay_alu instid0(VALU_DEP_1) | instskip(SKIP_1) | instid1(VALU_DEP_1)
	v_dual_max_f32 v78, v78, v78 :: v_dual_max_f32 v77, v77, v77
	s_mov_b32 s13, 0
	v_max_f32_e32 v77, v77, v78
	s_branch .LBB6_12000
.LBB6_11999:                            ;   in Loop: Header=BB6_10858 Depth=3
	s_mov_b32 s13, -1
                                        ; implicit-def: $vgpr77
.LBB6_12000:                            ;   in Loop: Header=BB6_10858 Depth=3
	s_delay_alu instid0(SALU_CYCLE_1)
	s_and_b32 vcc_lo, exec_lo, s13
	s_cbranch_vccz .LBB6_12010
; %bb.12001:                            ;   in Loop: Header=BB6_10858 Depth=3
	s_mov_b32 s13, 0
	s_mov_b32 s31, exec_lo
                                        ; implicit-def: $sgpr17
	v_cmpx_lt_i16_e32 0x7f, v76
	s_xor_b32 s31, exec_lo, s31
	s_cbranch_execnz .LBB6_13344
; %bb.12002:                            ;   in Loop: Header=BB6_10858 Depth=3
	s_or_saveexec_b32 s31, s31
	v_mov_b32_e32 v77, s17
	s_xor_b32 exec_lo, exec_lo, s31
	s_cbranch_execnz .LBB6_13347
.LBB6_12003:                            ;   in Loop: Header=BB6_10858 Depth=3
	s_or_b32 exec_lo, exec_lo, s31
	s_and_saveexec_b32 s17, s13
	s_cbranch_execz .LBB6_12005
.LBB6_12004:                            ;   in Loop: Header=BB6_10858 Depth=3
	v_bfe_u32 v77, v21, 24, 3
	s_delay_alu instid0(VALU_DEP_1) | instskip(NEXT) | instid1(VALU_DEP_1)
	v_clz_i32_u32_e32 v78, v77
	v_min_u32_e32 v78, 32, v78
	s_delay_alu instid0(VALU_DEP_1) | instskip(SKIP_1) | instid1(VALU_DEP_2)
	v_subrev_nc_u32_e32 v79, 28, v78
	v_sub_nc_u32_e32 v78, 29, v78
	v_lshlrev_b32_e32 v76, v79, v76
	v_bfe_u32 v79, v21, 27, 4
	v_and_b32_e32 v21, 0x80000000, v21
	s_delay_alu instid0(VALU_DEP_3) | instskip(NEXT) | instid1(VALU_DEP_3)
	v_and_b32_e32 v76, 7, v76
	v_cmp_eq_u32_e32 vcc_lo, 0, v79
	v_cndmask_b32_e32 v78, v79, v78, vcc_lo
	s_delay_alu instid0(VALU_DEP_3) | instskip(NEXT) | instid1(VALU_DEP_2)
	v_cndmask_b32_e32 v76, v77, v76, vcc_lo
	v_lshl_add_u32 v77, v78, 23, 0x3b800000
	s_delay_alu instid0(VALU_DEP_2) | instskip(NEXT) | instid1(VALU_DEP_1)
	v_lshlrev_b32_e32 v76, 20, v76
	v_or3_b32 v77, v21, v77, v76
.LBB6_12005:                            ;   in Loop: Header=BB6_10858 Depth=3
	s_or_b32 exec_lo, exec_lo, s17
	s_mov_b32 s13, 0
	s_mov_b32 s31, exec_lo
                                        ; implicit-def: $sgpr17
	v_cmpx_lt_i16_e32 0x7f, v75
	s_xor_b32 s31, exec_lo, s31
	s_cbranch_execnz .LBB6_13348
; %bb.12006:                            ;   in Loop: Header=BB6_10858 Depth=3
	s_or_saveexec_b32 s31, s31
	v_mov_b32_e32 v21, s17
	s_xor_b32 exec_lo, exec_lo, s31
	s_cbranch_execnz .LBB6_13351
.LBB6_12007:                            ;   in Loop: Header=BB6_10858 Depth=3
	s_or_b32 exec_lo, exec_lo, s31
	s_and_saveexec_b32 s17, s13
	s_cbranch_execz .LBB6_12009
.LBB6_12008:                            ;   in Loop: Header=BB6_10858 Depth=3
	v_bfe_u32 v21, v17, 24, 3
	s_delay_alu instid0(VALU_DEP_1) | instskip(NEXT) | instid1(VALU_DEP_1)
	v_clz_i32_u32_e32 v76, v21
	v_min_u32_e32 v76, 32, v76
	s_delay_alu instid0(VALU_DEP_1) | instskip(SKIP_1) | instid1(VALU_DEP_2)
	v_subrev_nc_u32_e32 v78, 28, v76
	v_sub_nc_u32_e32 v76, 29, v76
	v_lshlrev_b32_e32 v75, v78, v75
	v_bfe_u32 v78, v17, 27, 4
	v_and_b32_e32 v17, 0x80000000, v17
	s_delay_alu instid0(VALU_DEP_2) | instskip(NEXT) | instid1(VALU_DEP_4)
	v_cmp_eq_u32_e32 vcc_lo, 0, v78
	v_dual_cndmask_b32 v76, v78, v76 :: v_dual_and_b32 v75, 7, v75
	s_delay_alu instid0(VALU_DEP_1) | instskip(NEXT) | instid1(VALU_DEP_2)
	v_cndmask_b32_e32 v21, v21, v75, vcc_lo
	v_lshl_add_u32 v75, v76, 23, 0x3b800000
	s_delay_alu instid0(VALU_DEP_2) | instskip(NEXT) | instid1(VALU_DEP_1)
	v_lshlrev_b32_e32 v21, 20, v21
	v_or3_b32 v21, v17, v75, v21
.LBB6_12009:                            ;   in Loop: Header=BB6_10858 Depth=3
	s_or_b32 exec_lo, exec_lo, s17
	s_delay_alu instid0(VALU_DEP_1) | instskip(SKIP_1) | instid1(VALU_DEP_1)
	v_max_f32_e32 v17, v21, v21
	v_max_f32_e32 v21, v77, v77
	v_min_f32_e32 v77, v21, v17
.LBB6_12010:                            ;   in Loop: Header=BB6_10858 Depth=3
	s_delay_alu instid0(VALU_DEP_1) | instskip(NEXT) | instid1(VALU_DEP_1)
	v_and_b32_e32 v17, 0x7f800000, v77
	v_cmp_ne_u32_e32 vcc_lo, 0x7f800000, v17
	v_mov_b32_e32 v17, 0x8000
	s_and_saveexec_b32 s17, vcc_lo
	s_cbranch_execz .LBB6_12018
; %bb.12011:                            ;   in Loop: Header=BB6_10858 Depth=3
	v_mov_b32_e32 v17, 0
	s_mov_b32 s31, exec_lo
	v_cmpx_ne_u32_e32 0, v77
	s_cbranch_execz .LBB6_12017
; %bb.12012:                            ;   in Loop: Header=BB6_10858 Depth=3
	v_bfe_u32 v17, v77, 23, 8
	v_and_b32_e32 v21, 0x7fffff, v77
	s_delay_alu instid0(VALU_DEP_2) | instskip(SKIP_1) | instid1(VALU_DEP_3)
	v_sub_nc_u32_e32 v75, 0x78, v17
	v_cmp_gt_u32_e32 vcc_lo, 0x79, v17
	v_or_b32_e32 v76, 0x800000, v21
	s_delay_alu instid0(VALU_DEP_3) | instskip(SKIP_2) | instid1(VALU_DEP_3)
	v_cndmask_b32_e32 v75, 0, v75, vcc_lo
	v_cmp_eq_u32_e32 vcc_lo, 0, v17
	v_add_nc_u32_e32 v17, 0xffffff89, v17
	v_cndmask_b32_e64 v75, v75, 0x77, vcc_lo
	v_cndmask_b32_e32 v21, v76, v21, vcc_lo
	s_delay_alu instid0(VALU_DEP_3) | instskip(NEXT) | instid1(VALU_DEP_3)
	v_cndmask_b32_e64 v17, v17, 0xffffff8a, vcc_lo
	v_lshl_add_u32 v76, 0x100000, v75, -1
	s_delay_alu instid0(VALU_DEP_3) | instskip(SKIP_1) | instid1(VALU_DEP_4)
	v_lshrrev_b32_e32 v78, v75, v21
	v_lshlrev_b32_e64 v88, v75, 0x80000
	v_add_nc_u32_e32 v75, v75, v17
	s_delay_alu instid0(VALU_DEP_4) | instskip(NEXT) | instid1(VALU_DEP_4)
	v_and_b32_e32 v21, v76, v21
	v_bfe_u32 v79, v78, 20, 1
	s_delay_alu instid0(VALU_DEP_2) | instskip(NEXT) | instid1(VALU_DEP_2)
	v_cmp_eq_u32_e64 s13, v21, v88
	v_add_nc_u32_e32 v76, -1, v79
	s_delay_alu instid0(VALU_DEP_1) | instskip(SKIP_2) | instid1(VALU_DEP_2)
	v_cndmask_b32_e64 v21, 0, v76, s13
	v_lshrrev_b32_e32 v76, 23, v78
	s_mov_b32 s13, exec_lo
	v_add_nc_u32_e32 v21, v21, v78
	s_delay_alu instid0(VALU_DEP_2) | instskip(NEXT) | instid1(VALU_DEP_2)
	v_xor_b32_e32 v76, 1, v76
	v_and_b32_e32 v17, 0xfffff, v21
	s_delay_alu instid0(VALU_DEP_1) | instskip(NEXT) | instid1(VALU_DEP_3)
	v_add_nc_u32_e32 v21, v17, v78
                                        ; implicit-def: $vgpr17
	v_cmpx_ne_u32_e64 v75, v76
	s_xor_b32 s13, exec_lo, s13
; %bb.12013:                            ;   in Loop: Header=BB6_10858 Depth=3
	s_delay_alu instid0(VALU_DEP_2) | instskip(SKIP_2) | instid1(VALU_DEP_2)
	v_cmp_lt_u32_e32 vcc_lo, 0xffffff, v21
	v_sub_nc_u32_e32 v17, v75, v76
	v_cndmask_b32_e64 v75, 0, 1, vcc_lo
	v_add_co_ci_u32_e32 v17, vcc_lo, 0, v17, vcc_lo
	s_delay_alu instid0(VALU_DEP_2)
	v_lshrrev_b32_e32 v21, v75, v21
; %bb.12014:                            ;   in Loop: Header=BB6_10858 Depth=3
	s_and_not1_saveexec_b32 s13, s13
; %bb.12015:                            ;   in Loop: Header=BB6_10858 Depth=3
	s_delay_alu instid0(VALU_DEP_1)
	v_bfe_u32 v17, v21, 23, 1
; %bb.12016:                            ;   in Loop: Header=BB6_10858 Depth=3
	s_or_b32 exec_lo, exec_lo, s13
	v_lshrrev_b32_e32 v21, 20, v21
	s_delay_alu instid0(VALU_DEP_2) | instskip(SKIP_2) | instid1(VALU_DEP_3)
	v_min_i32_e32 v75, 15, v17
	v_cmp_gt_i32_e32 vcc_lo, 16, v17
	v_lshrrev_b32_e32 v76, 24, v77
	v_lshlrev_b32_e32 v75, 3, v75
	s_delay_alu instid0(VALU_DEP_2) | instskip(NEXT) | instid1(VALU_DEP_2)
	v_dual_cndmask_b32 v21, 7, v21 :: v_dual_and_b32 v76, 0x80, v76
	v_and_b32_e32 v75, 0xf8, v75
	s_delay_alu instid0(VALU_DEP_2) | instskip(SKIP_1) | instid1(VALU_DEP_2)
	v_and_b32_e32 v77, 7, v21
	v_or_b32_e32 v17, v17, v21
	v_or3_b32 v75, v76, v75, v77
	s_delay_alu instid0(VALU_DEP_2) | instskip(NEXT) | instid1(VALU_DEP_2)
	v_cmp_ne_u32_e32 vcc_lo, 0, v17
	v_lshlrev_b32_e32 v21, 8, v75
	s_delay_alu instid0(VALU_DEP_1)
	v_cndmask_b32_e32 v17, 0, v21, vcc_lo
.LBB6_12017:                            ;   in Loop: Header=BB6_10858 Depth=3
	s_or_b32 exec_lo, exec_lo, s31
.LBB6_12018:                            ;   in Loop: Header=BB6_10858 Depth=3
	s_delay_alu instid0(SALU_CYCLE_1) | instskip(NEXT) | instid1(SALU_CYCLE_1)
	s_or_b32 exec_lo, exec_lo, s17
	s_and_not1_b32 vcc_lo, exec_lo, s16
	s_cbranch_vccnz .LBB6_12028
; %bb.12019:                            ;   in Loop: Header=BB6_10858 Depth=3
	v_and_b32_e32 v75, 0xff, v22
	s_mov_b32 s13, 0
	s_mov_b32 s31, exec_lo
                                        ; implicit-def: $sgpr17
	s_delay_alu instid0(VALU_DEP_1)
	v_cmpx_lt_i16_e32 0x7f, v75
	s_xor_b32 s31, exec_lo, s31
	s_cbranch_execnz .LBB6_13352
; %bb.12020:                            ;   in Loop: Header=BB6_10858 Depth=3
	s_or_saveexec_b32 s31, s31
	v_mov_b32_e32 v21, s17
	s_xor_b32 exec_lo, exec_lo, s31
	s_cbranch_execnz .LBB6_13355
.LBB6_12021:                            ;   in Loop: Header=BB6_10858 Depth=3
	s_or_b32 exec_lo, exec_lo, s31
	s_and_saveexec_b32 s17, s13
	s_cbranch_execz .LBB6_12023
.LBB6_12022:                            ;   in Loop: Header=BB6_10858 Depth=3
	v_and_b32_e32 v21, 7, v22
	v_bfe_u32 v77, v22, 3, 4
	s_delay_alu instid0(VALU_DEP_2) | instskip(NEXT) | instid1(VALU_DEP_2)
	v_clz_i32_u32_e32 v75, v21
	v_cmp_eq_u32_e32 vcc_lo, 0, v77
	s_delay_alu instid0(VALU_DEP_2) | instskip(NEXT) | instid1(VALU_DEP_1)
	v_min_u32_e32 v75, 32, v75
	v_subrev_nc_u32_e32 v76, 28, v75
	v_sub_nc_u32_e32 v75, 29, v75
	s_delay_alu instid0(VALU_DEP_1) | instskip(NEXT) | instid1(VALU_DEP_1)
	v_dual_cndmask_b32 v75, v77, v75 :: v_dual_lshlrev_b32 v76, v76, v22
	v_and_b32_e32 v76, 7, v76
	v_lshlrev_b32_e32 v78, 24, v22
	s_delay_alu instid0(VALU_DEP_3) | instskip(NEXT) | instid1(VALU_DEP_2)
	v_lshl_add_u32 v75, v75, 23, 0x3b800000
	v_dual_cndmask_b32 v21, v21, v76 :: v_dual_and_b32 v76, 0x80000000, v78
	s_delay_alu instid0(VALU_DEP_1) | instskip(NEXT) | instid1(VALU_DEP_1)
	v_lshlrev_b32_e32 v21, 20, v21
	v_or3_b32 v21, v76, v75, v21
.LBB6_12023:                            ;   in Loop: Header=BB6_10858 Depth=3
	s_or_b32 exec_lo, exec_lo, s17
	v_and_b32_e32 v76, 0xff, v18
	s_mov_b32 s13, 0
	s_mov_b32 s31, exec_lo
                                        ; implicit-def: $sgpr17
	s_delay_alu instid0(VALU_DEP_1)
	v_cmpx_lt_i16_e32 0x7f, v76
	s_xor_b32 s31, exec_lo, s31
	s_cbranch_execnz .LBB6_13356
; %bb.12024:                            ;   in Loop: Header=BB6_10858 Depth=3
	s_or_saveexec_b32 s31, s31
	v_mov_b32_e32 v75, s17
	s_xor_b32 exec_lo, exec_lo, s31
	s_cbranch_execnz .LBB6_13359
.LBB6_12025:                            ;   in Loop: Header=BB6_10858 Depth=3
	s_or_b32 exec_lo, exec_lo, s31
	s_and_saveexec_b32 s17, s13
	s_cbranch_execz .LBB6_12027
.LBB6_12026:                            ;   in Loop: Header=BB6_10858 Depth=3
	v_bfe_u32 v78, v18, 3, 4
	v_lshlrev_b32_e32 v79, 24, v18
	s_delay_alu instid0(VALU_DEP_2) | instskip(SKIP_1) | instid1(VALU_DEP_1)
	v_cmp_eq_u32_e32 vcc_lo, 0, v78
	v_and_b32_e32 v75, 7, v18
	v_clz_i32_u32_e32 v76, v75
	s_delay_alu instid0(VALU_DEP_1) | instskip(NEXT) | instid1(VALU_DEP_1)
	v_min_u32_e32 v76, 32, v76
	v_subrev_nc_u32_e32 v77, 28, v76
	v_sub_nc_u32_e32 v76, 29, v76
	s_delay_alu instid0(VALU_DEP_1) | instskip(NEXT) | instid1(VALU_DEP_1)
	v_dual_cndmask_b32 v76, v78, v76 :: v_dual_lshlrev_b32 v77, v77, v18
	v_and_b32_e32 v77, 7, v77
	s_delay_alu instid0(VALU_DEP_2) | instskip(NEXT) | instid1(VALU_DEP_2)
	v_lshl_add_u32 v76, v76, 23, 0x3b800000
	v_cndmask_b32_e32 v75, v75, v77, vcc_lo
	v_and_b32_e32 v77, 0x80000000, v79
	s_delay_alu instid0(VALU_DEP_2) | instskip(NEXT) | instid1(VALU_DEP_1)
	v_lshlrev_b32_e32 v75, 20, v75
	v_or3_b32 v75, v77, v76, v75
.LBB6_12027:                            ;   in Loop: Header=BB6_10858 Depth=3
	s_or_b32 exec_lo, exec_lo, s17
	s_delay_alu instid0(VALU_DEP_1) | instskip(SKIP_2) | instid1(VALU_DEP_1)
	v_max_f32_e32 v75, v75, v75
	v_max_f32_e32 v21, v21, v21
	s_mov_b32 s13, 0
	v_max_f32_e32 v75, v21, v75
	s_branch .LBB6_12029
.LBB6_12028:                            ;   in Loop: Header=BB6_10858 Depth=3
	s_mov_b32 s13, -1
                                        ; implicit-def: $vgpr75
.LBB6_12029:                            ;   in Loop: Header=BB6_10858 Depth=3
	s_delay_alu instid0(SALU_CYCLE_1)
	s_and_b32 vcc_lo, exec_lo, s13
	s_cbranch_vccz .LBB6_12039
; %bb.12030:                            ;   in Loop: Header=BB6_10858 Depth=3
	v_and_b32_e32 v75, 0xff, v22
	s_mov_b32 s13, 0
	s_mov_b32 s31, exec_lo
                                        ; implicit-def: $sgpr17
	s_delay_alu instid0(VALU_DEP_1)
	v_cmpx_lt_i16_e32 0x7f, v75
	s_xor_b32 s31, exec_lo, s31
	s_cbranch_execnz .LBB6_13360
; %bb.12031:                            ;   in Loop: Header=BB6_10858 Depth=3
	s_or_saveexec_b32 s31, s31
	v_mov_b32_e32 v21, s17
	s_xor_b32 exec_lo, exec_lo, s31
	s_cbranch_execnz .LBB6_13363
.LBB6_12032:                            ;   in Loop: Header=BB6_10858 Depth=3
	s_or_b32 exec_lo, exec_lo, s31
	s_and_saveexec_b32 s17, s13
	s_cbranch_execz .LBB6_12034
.LBB6_12033:                            ;   in Loop: Header=BB6_10858 Depth=3
	v_and_b32_e32 v21, 7, v22
	v_bfe_u32 v77, v22, 3, 4
	s_delay_alu instid0(VALU_DEP_2) | instskip(NEXT) | instid1(VALU_DEP_2)
	v_clz_i32_u32_e32 v75, v21
	v_cmp_eq_u32_e32 vcc_lo, 0, v77
	s_delay_alu instid0(VALU_DEP_2) | instskip(NEXT) | instid1(VALU_DEP_1)
	v_min_u32_e32 v75, 32, v75
	v_subrev_nc_u32_e32 v76, 28, v75
	v_sub_nc_u32_e32 v75, 29, v75
	s_delay_alu instid0(VALU_DEP_1) | instskip(NEXT) | instid1(VALU_DEP_1)
	v_dual_cndmask_b32 v75, v77, v75 :: v_dual_lshlrev_b32 v76, v76, v22
	v_and_b32_e32 v76, 7, v76
	v_lshlrev_b32_e32 v78, 24, v22
	s_delay_alu instid0(VALU_DEP_3) | instskip(NEXT) | instid1(VALU_DEP_2)
	v_lshl_add_u32 v75, v75, 23, 0x3b800000
	v_dual_cndmask_b32 v21, v21, v76 :: v_dual_and_b32 v76, 0x80000000, v78
	s_delay_alu instid0(VALU_DEP_1) | instskip(NEXT) | instid1(VALU_DEP_1)
	v_lshlrev_b32_e32 v21, 20, v21
	v_or3_b32 v21, v76, v75, v21
.LBB6_12034:                            ;   in Loop: Header=BB6_10858 Depth=3
	s_or_b32 exec_lo, exec_lo, s17
	v_and_b32_e32 v76, 0xff, v18
	s_mov_b32 s13, 0
	s_mov_b32 s31, exec_lo
                                        ; implicit-def: $sgpr17
	s_delay_alu instid0(VALU_DEP_1)
	v_cmpx_lt_i16_e32 0x7f, v76
	s_xor_b32 s31, exec_lo, s31
	s_cbranch_execnz .LBB6_13364
; %bb.12035:                            ;   in Loop: Header=BB6_10858 Depth=3
	s_or_saveexec_b32 s31, s31
	v_mov_b32_e32 v75, s17
	s_xor_b32 exec_lo, exec_lo, s31
	s_cbranch_execnz .LBB6_13367
.LBB6_12036:                            ;   in Loop: Header=BB6_10858 Depth=3
	s_or_b32 exec_lo, exec_lo, s31
	s_and_saveexec_b32 s17, s13
	s_cbranch_execz .LBB6_12038
.LBB6_12037:                            ;   in Loop: Header=BB6_10858 Depth=3
	v_bfe_u32 v78, v18, 3, 4
	v_lshlrev_b32_e32 v79, 24, v18
	s_delay_alu instid0(VALU_DEP_2) | instskip(SKIP_1) | instid1(VALU_DEP_1)
	v_cmp_eq_u32_e32 vcc_lo, 0, v78
	v_and_b32_e32 v75, 7, v18
	v_clz_i32_u32_e32 v76, v75
	s_delay_alu instid0(VALU_DEP_1) | instskip(NEXT) | instid1(VALU_DEP_1)
	v_min_u32_e32 v76, 32, v76
	v_subrev_nc_u32_e32 v77, 28, v76
	v_sub_nc_u32_e32 v76, 29, v76
	s_delay_alu instid0(VALU_DEP_1) | instskip(NEXT) | instid1(VALU_DEP_1)
	v_dual_cndmask_b32 v76, v78, v76 :: v_dual_lshlrev_b32 v77, v77, v18
	v_and_b32_e32 v77, 7, v77
	s_delay_alu instid0(VALU_DEP_2) | instskip(NEXT) | instid1(VALU_DEP_2)
	v_lshl_add_u32 v76, v76, 23, 0x3b800000
	v_cndmask_b32_e32 v75, v75, v77, vcc_lo
	v_and_b32_e32 v77, 0x80000000, v79
	s_delay_alu instid0(VALU_DEP_2) | instskip(NEXT) | instid1(VALU_DEP_1)
	v_lshlrev_b32_e32 v75, 20, v75
	v_or3_b32 v75, v77, v76, v75
.LBB6_12038:                            ;   in Loop: Header=BB6_10858 Depth=3
	s_or_b32 exec_lo, exec_lo, s17
	s_delay_alu instid0(VALU_DEP_1) | instskip(SKIP_1) | instid1(VALU_DEP_1)
	v_max_f32_e32 v75, v75, v75
	v_max_f32_e32 v21, v21, v21
	v_min_f32_e32 v75, v21, v75
.LBB6_12039:                            ;   in Loop: Header=BB6_10858 Depth=3
	s_delay_alu instid0(VALU_DEP_1) | instskip(NEXT) | instid1(VALU_DEP_1)
	v_and_b32_e32 v21, 0x7f800000, v75
	v_cmp_ne_u32_e32 vcc_lo, 0x7f800000, v21
	v_mov_b32_e32 v21, 0x80
	s_and_saveexec_b32 s17, vcc_lo
	s_cbranch_execz .LBB6_12047
; %bb.12040:                            ;   in Loop: Header=BB6_10858 Depth=3
	v_mov_b32_e32 v21, 0
	s_mov_b32 s31, exec_lo
	v_cmpx_ne_u32_e32 0, v75
	s_cbranch_execz .LBB6_12046
; %bb.12041:                            ;   in Loop: Header=BB6_10858 Depth=3
	v_bfe_u32 v21, v75, 23, 8
	s_delay_alu instid0(VALU_DEP_1) | instskip(SKIP_1) | instid1(VALU_DEP_2)
	v_sub_nc_u32_e32 v77, 0x78, v21
	v_cmp_gt_u32_e32 vcc_lo, 0x79, v21
	v_dual_cndmask_b32 v77, 0, v77 :: v_dual_and_b32 v76, 0x7fffff, v75
	s_delay_alu instid0(VALU_DEP_1) | instskip(SKIP_2) | instid1(VALU_DEP_4)
	v_or_b32_e32 v78, 0x800000, v76
	v_cmp_eq_u32_e32 vcc_lo, 0, v21
	v_add_nc_u32_e32 v21, 0xffffff89, v21
	v_cndmask_b32_e64 v77, v77, 0x77, vcc_lo
	s_delay_alu instid0(VALU_DEP_4) | instskip(NEXT) | instid1(VALU_DEP_3)
	v_cndmask_b32_e32 v76, v78, v76, vcc_lo
	v_cndmask_b32_e64 v21, v21, 0xffffff8a, vcc_lo
	s_delay_alu instid0(VALU_DEP_3) | instskip(NEXT) | instid1(VALU_DEP_3)
	v_lshl_add_u32 v78, 0x100000, v77, -1
	v_lshrrev_b32_e32 v79, v77, v76
	v_lshlrev_b32_e64 v89, v77, 0x80000
	s_delay_alu instid0(VALU_DEP_4) | instskip(NEXT) | instid1(VALU_DEP_4)
	v_add_nc_u32_e32 v77, v77, v21
	v_and_b32_e32 v76, v78, v76
	s_delay_alu instid0(VALU_DEP_4) | instskip(NEXT) | instid1(VALU_DEP_2)
	v_bfe_u32 v88, v79, 20, 1
	v_cmp_eq_u32_e64 s13, v76, v89
	s_delay_alu instid0(VALU_DEP_2) | instskip(NEXT) | instid1(VALU_DEP_1)
	v_add_nc_u32_e32 v78, -1, v88
	v_cndmask_b32_e64 v76, 0, v78, s13
	v_lshrrev_b32_e32 v78, 23, v79
	s_mov_b32 s13, exec_lo
	s_delay_alu instid0(VALU_DEP_2) | instskip(NEXT) | instid1(VALU_DEP_2)
	v_add_nc_u32_e32 v76, v76, v79
	v_xor_b32_e32 v78, 1, v78
	s_delay_alu instid0(VALU_DEP_2) | instskip(NEXT) | instid1(VALU_DEP_1)
	v_and_b32_e32 v21, 0xfffff, v76
	v_add_nc_u32_e32 v76, v21, v79
                                        ; implicit-def: $vgpr21
	s_delay_alu instid0(VALU_DEP_3)
	v_cmpx_ne_u32_e64 v77, v78
	s_xor_b32 s13, exec_lo, s13
; %bb.12042:                            ;   in Loop: Header=BB6_10858 Depth=3
	s_delay_alu instid0(VALU_DEP_2) | instskip(SKIP_2) | instid1(VALU_DEP_2)
	v_cmp_lt_u32_e32 vcc_lo, 0xffffff, v76
	v_sub_nc_u32_e32 v21, v77, v78
	v_cndmask_b32_e64 v77, 0, 1, vcc_lo
	v_add_co_ci_u32_e32 v21, vcc_lo, 0, v21, vcc_lo
	s_delay_alu instid0(VALU_DEP_2)
	v_lshrrev_b32_e32 v76, v77, v76
; %bb.12043:                            ;   in Loop: Header=BB6_10858 Depth=3
	s_and_not1_saveexec_b32 s13, s13
; %bb.12044:                            ;   in Loop: Header=BB6_10858 Depth=3
	s_delay_alu instid0(VALU_DEP_1)
	v_bfe_u32 v21, v76, 23, 1
; %bb.12045:                            ;   in Loop: Header=BB6_10858 Depth=3
	s_or_b32 exec_lo, exec_lo, s13
	v_lshrrev_b32_e32 v76, 20, v76
	s_delay_alu instid0(VALU_DEP_2) | instskip(SKIP_2) | instid1(VALU_DEP_2)
	v_cmp_gt_i32_e32 vcc_lo, 16, v21
	v_lshrrev_b32_e32 v75, 24, v75
	v_min_i32_e32 v77, 15, v21
	v_dual_cndmask_b32 v76, 7, v76 :: v_dual_and_b32 v75, 0x80, v75
	s_delay_alu instid0(VALU_DEP_2) | instskip(NEXT) | instid1(VALU_DEP_2)
	v_lshlrev_b32_e32 v77, 3, v77
	v_or_b32_e32 v21, v21, v76
	s_delay_alu instid0(VALU_DEP_1) | instskip(SKIP_1) | instid1(VALU_DEP_1)
	v_cmp_ne_u32_e32 vcc_lo, 0, v21
	v_and_b32_e32 v78, 7, v76
	v_or3_b32 v75, v77, v75, v78
	s_delay_alu instid0(VALU_DEP_1)
	v_cndmask_b32_e32 v21, 0, v75, vcc_lo
.LBB6_12046:                            ;   in Loop: Header=BB6_10858 Depth=3
	s_or_b32 exec_lo, exec_lo, s31
.LBB6_12047:                            ;   in Loop: Header=BB6_10858 Depth=3
	s_delay_alu instid0(SALU_CYCLE_1)
	s_or_b32 exec_lo, exec_lo, s17
	v_lshrrev_b16 v76, 8, v22
	v_lshrrev_b16 v75, 8, v18
	s_and_not1_b32 vcc_lo, exec_lo, s16
	s_cbranch_vccnz .LBB6_12057
; %bb.12048:                            ;   in Loop: Header=BB6_10858 Depth=3
	s_mov_b32 s13, 0
	s_mov_b32 s31, exec_lo
                                        ; implicit-def: $sgpr17
	v_cmpx_lt_i16_e32 0x7f, v76
	s_xor_b32 s31, exec_lo, s31
	s_cbranch_execnz .LBB6_13368
; %bb.12049:                            ;   in Loop: Header=BB6_10858 Depth=3
	s_or_saveexec_b32 s31, s31
	v_mov_b32_e32 v77, s17
	s_xor_b32 exec_lo, exec_lo, s31
	s_cbranch_execnz .LBB6_13371
.LBB6_12050:                            ;   in Loop: Header=BB6_10858 Depth=3
	s_or_b32 exec_lo, exec_lo, s31
	s_and_saveexec_b32 s17, s13
	s_cbranch_execz .LBB6_12052
.LBB6_12051:                            ;   in Loop: Header=BB6_10858 Depth=3
	v_and_b32_e32 v77, 0xffff, v76
	s_delay_alu instid0(VALU_DEP_1) | instskip(NEXT) | instid1(VALU_DEP_1)
	v_and_b32_e32 v78, 7, v77
	v_clz_i32_u32_e32 v79, v78
	s_delay_alu instid0(VALU_DEP_1) | instskip(NEXT) | instid1(VALU_DEP_1)
	v_min_u32_e32 v79, 32, v79
	v_subrev_nc_u32_e32 v88, 28, v79
	v_sub_nc_u32_e32 v79, 29, v79
	s_delay_alu instid0(VALU_DEP_2) | instskip(SKIP_1) | instid1(VALU_DEP_2)
	v_lshlrev_b32_e32 v88, v88, v77
	v_bfe_u32 v77, v77, 3, 4
	v_and_b32_e32 v88, 7, v88
	s_delay_alu instid0(VALU_DEP_2) | instskip(SKIP_1) | instid1(VALU_DEP_3)
	v_cmp_eq_u32_e32 vcc_lo, 0, v77
	v_cndmask_b32_e32 v77, v77, v79, vcc_lo
	v_dual_cndmask_b32 v78, v78, v88 :: v_dual_lshlrev_b32 v89, 16, v22
	s_delay_alu instid0(VALU_DEP_2) | instskip(NEXT) | instid1(VALU_DEP_2)
	v_lshl_add_u32 v77, v77, 23, 0x3b800000
	v_and_b32_e32 v79, 0x80000000, v89
	s_delay_alu instid0(VALU_DEP_3) | instskip(NEXT) | instid1(VALU_DEP_1)
	v_lshlrev_b32_e32 v78, 20, v78
	v_or3_b32 v77, v79, v77, v78
.LBB6_12052:                            ;   in Loop: Header=BB6_10858 Depth=3
	s_or_b32 exec_lo, exec_lo, s17
	s_mov_b32 s13, 0
	s_mov_b32 s31, exec_lo
                                        ; implicit-def: $sgpr17
	v_cmpx_lt_i16_e32 0x7f, v75
	s_xor_b32 s31, exec_lo, s31
	s_cbranch_execnz .LBB6_13372
; %bb.12053:                            ;   in Loop: Header=BB6_10858 Depth=3
	s_or_saveexec_b32 s31, s31
	v_mov_b32_e32 v78, s17
	s_xor_b32 exec_lo, exec_lo, s31
	s_cbranch_execnz .LBB6_13375
.LBB6_12054:                            ;   in Loop: Header=BB6_10858 Depth=3
	s_or_b32 exec_lo, exec_lo, s31
	s_and_saveexec_b32 s17, s13
	s_cbranch_execz .LBB6_12056
.LBB6_12055:                            ;   in Loop: Header=BB6_10858 Depth=3
	v_and_b32_e32 v78, 0xffff, v75
	v_lshlrev_b32_e32 v90, 16, v18
	s_delay_alu instid0(VALU_DEP_2) | instskip(NEXT) | instid1(VALU_DEP_1)
	v_and_b32_e32 v79, 7, v78
	v_clz_i32_u32_e32 v88, v79
	s_delay_alu instid0(VALU_DEP_1) | instskip(NEXT) | instid1(VALU_DEP_1)
	v_min_u32_e32 v88, 32, v88
	v_subrev_nc_u32_e32 v89, 28, v88
	v_sub_nc_u32_e32 v88, 29, v88
	s_delay_alu instid0(VALU_DEP_2) | instskip(SKIP_1) | instid1(VALU_DEP_2)
	v_lshlrev_b32_e32 v89, v89, v78
	v_bfe_u32 v78, v78, 3, 4
	v_and_b32_e32 v89, 7, v89
	s_delay_alu instid0(VALU_DEP_2) | instskip(NEXT) | instid1(VALU_DEP_2)
	v_cmp_eq_u32_e32 vcc_lo, 0, v78
	v_dual_cndmask_b32 v78, v78, v88 :: v_dual_cndmask_b32 v79, v79, v89
	v_and_b32_e32 v88, 0x80000000, v90
	s_delay_alu instid0(VALU_DEP_2) | instskip(NEXT) | instid1(VALU_DEP_3)
	v_lshl_add_u32 v78, v78, 23, 0x3b800000
	v_lshlrev_b32_e32 v79, 20, v79
	s_delay_alu instid0(VALU_DEP_1)
	v_or3_b32 v78, v88, v78, v79
.LBB6_12056:                            ;   in Loop: Header=BB6_10858 Depth=3
	s_or_b32 exec_lo, exec_lo, s17
	s_delay_alu instid0(VALU_DEP_1) | instskip(SKIP_1) | instid1(VALU_DEP_1)
	v_dual_max_f32 v78, v78, v78 :: v_dual_max_f32 v77, v77, v77
	s_mov_b32 s13, 0
	v_max_f32_e32 v77, v77, v78
	s_branch .LBB6_12058
.LBB6_12057:                            ;   in Loop: Header=BB6_10858 Depth=3
	s_mov_b32 s13, -1
                                        ; implicit-def: $vgpr77
.LBB6_12058:                            ;   in Loop: Header=BB6_10858 Depth=3
	s_delay_alu instid0(SALU_CYCLE_1)
	s_and_b32 vcc_lo, exec_lo, s13
	s_cbranch_vccz .LBB6_12068
; %bb.12059:                            ;   in Loop: Header=BB6_10858 Depth=3
	s_mov_b32 s13, 0
	s_mov_b32 s31, exec_lo
                                        ; implicit-def: $sgpr17
	v_cmpx_lt_i16_e32 0x7f, v76
	s_xor_b32 s31, exec_lo, s31
	s_cbranch_execnz .LBB6_13376
; %bb.12060:                            ;   in Loop: Header=BB6_10858 Depth=3
	s_or_saveexec_b32 s31, s31
	v_mov_b32_e32 v77, s17
	s_xor_b32 exec_lo, exec_lo, s31
	s_cbranch_execnz .LBB6_13379
.LBB6_12061:                            ;   in Loop: Header=BB6_10858 Depth=3
	s_or_b32 exec_lo, exec_lo, s31
	s_and_saveexec_b32 s17, s13
	s_cbranch_execz .LBB6_12063
.LBB6_12062:                            ;   in Loop: Header=BB6_10858 Depth=3
	v_and_b32_e32 v76, 0xffff, v76
	v_lshlrev_b32_e32 v88, 16, v22
	s_delay_alu instid0(VALU_DEP_2) | instskip(NEXT) | instid1(VALU_DEP_1)
	v_and_b32_e32 v77, 7, v76
	v_clz_i32_u32_e32 v78, v77
	s_delay_alu instid0(VALU_DEP_1) | instskip(NEXT) | instid1(VALU_DEP_1)
	v_min_u32_e32 v78, 32, v78
	v_subrev_nc_u32_e32 v79, 28, v78
	v_sub_nc_u32_e32 v78, 29, v78
	s_delay_alu instid0(VALU_DEP_2) | instskip(SKIP_1) | instid1(VALU_DEP_2)
	v_lshlrev_b32_e32 v79, v79, v76
	v_bfe_u32 v76, v76, 3, 4
	v_and_b32_e32 v79, 7, v79
	s_delay_alu instid0(VALU_DEP_2) | instskip(NEXT) | instid1(VALU_DEP_2)
	v_cmp_eq_u32_e32 vcc_lo, 0, v76
	v_dual_cndmask_b32 v76, v76, v78 :: v_dual_cndmask_b32 v77, v77, v79
	v_and_b32_e32 v78, 0x80000000, v88
	s_delay_alu instid0(VALU_DEP_2) | instskip(NEXT) | instid1(VALU_DEP_3)
	v_lshl_add_u32 v76, v76, 23, 0x3b800000
	v_lshlrev_b32_e32 v77, 20, v77
	s_delay_alu instid0(VALU_DEP_1)
	v_or3_b32 v77, v78, v76, v77
.LBB6_12063:                            ;   in Loop: Header=BB6_10858 Depth=3
	s_or_b32 exec_lo, exec_lo, s17
	s_mov_b32 s13, 0
	s_mov_b32 s31, exec_lo
                                        ; implicit-def: $sgpr17
	v_cmpx_lt_i16_e32 0x7f, v75
	s_xor_b32 s31, exec_lo, s31
	s_cbranch_execnz .LBB6_13380
; %bb.12064:                            ;   in Loop: Header=BB6_10858 Depth=3
	s_or_saveexec_b32 s31, s31
	v_mov_b32_e32 v76, s17
	s_xor_b32 exec_lo, exec_lo, s31
	s_cbranch_execnz .LBB6_13383
.LBB6_12065:                            ;   in Loop: Header=BB6_10858 Depth=3
	s_or_b32 exec_lo, exec_lo, s31
	s_and_saveexec_b32 s17, s13
	s_cbranch_execz .LBB6_12067
.LBB6_12066:                            ;   in Loop: Header=BB6_10858 Depth=3
	v_and_b32_e32 v75, 0xffff, v75
	v_lshlrev_b32_e32 v88, 16, v18
	s_delay_alu instid0(VALU_DEP_2) | instskip(NEXT) | instid1(VALU_DEP_1)
	v_and_b32_e32 v76, 7, v75
	v_clz_i32_u32_e32 v78, v76
	s_delay_alu instid0(VALU_DEP_1) | instskip(NEXT) | instid1(VALU_DEP_1)
	v_min_u32_e32 v78, 32, v78
	v_subrev_nc_u32_e32 v79, 28, v78
	v_sub_nc_u32_e32 v78, 29, v78
	s_delay_alu instid0(VALU_DEP_2) | instskip(SKIP_1) | instid1(VALU_DEP_2)
	v_lshlrev_b32_e32 v79, v79, v75
	v_bfe_u32 v75, v75, 3, 4
	v_and_b32_e32 v79, 7, v79
	s_delay_alu instid0(VALU_DEP_2) | instskip(NEXT) | instid1(VALU_DEP_2)
	v_cmp_eq_u32_e32 vcc_lo, 0, v75
	v_dual_cndmask_b32 v75, v75, v78 :: v_dual_cndmask_b32 v76, v76, v79
	v_and_b32_e32 v78, 0x80000000, v88
	s_delay_alu instid0(VALU_DEP_2) | instskip(NEXT) | instid1(VALU_DEP_3)
	v_lshl_add_u32 v75, v75, 23, 0x3b800000
	v_lshlrev_b32_e32 v76, 20, v76
	s_delay_alu instid0(VALU_DEP_1)
	v_or3_b32 v76, v78, v75, v76
.LBB6_12067:                            ;   in Loop: Header=BB6_10858 Depth=3
	s_or_b32 exec_lo, exec_lo, s17
	s_delay_alu instid0(VALU_DEP_1) | instskip(NEXT) | instid1(VALU_DEP_1)
	v_dual_max_f32 v75, v76, v76 :: v_dual_max_f32 v76, v77, v77
	v_min_f32_e32 v77, v76, v75
.LBB6_12068:                            ;   in Loop: Header=BB6_10858 Depth=3
	s_delay_alu instid0(VALU_DEP_1) | instskip(NEXT) | instid1(VALU_DEP_1)
	v_and_b32_e32 v75, 0x7f800000, v77
	v_cmp_ne_u32_e32 vcc_lo, 0x7f800000, v75
	v_mov_b32_e32 v75, 0x80
	s_and_saveexec_b32 s17, vcc_lo
	s_cbranch_execz .LBB6_12076
; %bb.12069:                            ;   in Loop: Header=BB6_10858 Depth=3
	v_mov_b32_e32 v75, 0
	s_mov_b32 s31, exec_lo
	v_cmpx_ne_u32_e32 0, v77
	s_cbranch_execz .LBB6_12075
; %bb.12070:                            ;   in Loop: Header=BB6_10858 Depth=3
	v_bfe_u32 v75, v77, 23, 8
	v_and_b32_e32 v76, 0x7fffff, v77
	s_delay_alu instid0(VALU_DEP_2) | instskip(SKIP_1) | instid1(VALU_DEP_3)
	v_sub_nc_u32_e32 v78, 0x78, v75
	v_cmp_gt_u32_e32 vcc_lo, 0x79, v75
	v_or_b32_e32 v79, 0x800000, v76
	s_delay_alu instid0(VALU_DEP_3) | instskip(SKIP_2) | instid1(VALU_DEP_3)
	v_cndmask_b32_e32 v78, 0, v78, vcc_lo
	v_cmp_eq_u32_e32 vcc_lo, 0, v75
	v_add_nc_u32_e32 v75, 0xffffff89, v75
	v_cndmask_b32_e64 v78, v78, 0x77, vcc_lo
	v_cndmask_b32_e32 v76, v79, v76, vcc_lo
	s_delay_alu instid0(VALU_DEP_3) | instskip(NEXT) | instid1(VALU_DEP_3)
	v_cndmask_b32_e64 v75, v75, 0xffffff8a, vcc_lo
	v_lshl_add_u32 v79, 0x100000, v78, -1
	s_delay_alu instid0(VALU_DEP_3) | instskip(SKIP_1) | instid1(VALU_DEP_4)
	v_lshrrev_b32_e32 v88, v78, v76
	v_lshlrev_b32_e64 v90, v78, 0x80000
	v_add_nc_u32_e32 v78, v78, v75
	s_delay_alu instid0(VALU_DEP_4) | instskip(NEXT) | instid1(VALU_DEP_4)
	v_and_b32_e32 v76, v79, v76
	v_bfe_u32 v89, v88, 20, 1
	s_delay_alu instid0(VALU_DEP_2) | instskip(NEXT) | instid1(VALU_DEP_2)
	v_cmp_eq_u32_e64 s13, v76, v90
	v_add_nc_u32_e32 v79, -1, v89
	s_delay_alu instid0(VALU_DEP_1) | instskip(SKIP_2) | instid1(VALU_DEP_2)
	v_cndmask_b32_e64 v76, 0, v79, s13
	v_lshrrev_b32_e32 v79, 23, v88
	s_mov_b32 s13, exec_lo
	v_add_nc_u32_e32 v76, v76, v88
	s_delay_alu instid0(VALU_DEP_2) | instskip(NEXT) | instid1(VALU_DEP_2)
	v_xor_b32_e32 v79, 1, v79
	v_and_b32_e32 v75, 0xfffff, v76
	s_delay_alu instid0(VALU_DEP_1) | instskip(NEXT) | instid1(VALU_DEP_3)
	v_add_nc_u32_e32 v76, v75, v88
                                        ; implicit-def: $vgpr75
	v_cmpx_ne_u32_e64 v78, v79
	s_xor_b32 s13, exec_lo, s13
; %bb.12071:                            ;   in Loop: Header=BB6_10858 Depth=3
	s_delay_alu instid0(VALU_DEP_2) | instskip(SKIP_2) | instid1(VALU_DEP_2)
	v_cmp_lt_u32_e32 vcc_lo, 0xffffff, v76
	v_sub_nc_u32_e32 v75, v78, v79
	v_cndmask_b32_e64 v78, 0, 1, vcc_lo
	v_add_co_ci_u32_e32 v75, vcc_lo, 0, v75, vcc_lo
	s_delay_alu instid0(VALU_DEP_2)
	v_lshrrev_b32_e32 v76, v78, v76
; %bb.12072:                            ;   in Loop: Header=BB6_10858 Depth=3
	s_and_not1_saveexec_b32 s13, s13
; %bb.12073:                            ;   in Loop: Header=BB6_10858 Depth=3
	s_delay_alu instid0(VALU_DEP_1)
	v_bfe_u32 v75, v76, 23, 1
; %bb.12074:                            ;   in Loop: Header=BB6_10858 Depth=3
	s_or_b32 exec_lo, exec_lo, s13
	v_lshrrev_b32_e32 v76, 20, v76
	s_delay_alu instid0(VALU_DEP_2) | instskip(SKIP_2) | instid1(VALU_DEP_2)
	v_cmp_gt_i32_e32 vcc_lo, 16, v75
	v_lshrrev_b32_e32 v77, 24, v77
	v_min_i32_e32 v78, 15, v75
	v_dual_cndmask_b32 v76, 7, v76 :: v_dual_and_b32 v77, 0x80, v77
	s_delay_alu instid0(VALU_DEP_1) | instskip(SKIP_1) | instid1(VALU_DEP_2)
	v_or_b32_e32 v75, v75, v76
	v_and_b32_e32 v79, 7, v76
	v_cmp_ne_u32_e32 vcc_lo, 0, v75
	v_lshlrev_b32_e32 v78, 3, v78
	s_delay_alu instid0(VALU_DEP_1) | instskip(NEXT) | instid1(VALU_DEP_1)
	v_or3_b32 v76, v78, v77, v79
	v_cndmask_b32_e32 v75, 0, v76, vcc_lo
.LBB6_12075:                            ;   in Loop: Header=BB6_10858 Depth=3
	s_or_b32 exec_lo, exec_lo, s31
.LBB6_12076:                            ;   in Loop: Header=BB6_10858 Depth=3
	s_delay_alu instid0(SALU_CYCLE_1)
	s_or_b32 exec_lo, exec_lo, s17
	v_lshrrev_b32_e32 v77, 16, v22
	v_lshrrev_b32_e32 v76, 16, v18
	s_and_not1_b32 vcc_lo, exec_lo, s16
	s_cbranch_vccnz .LBB6_12086
; %bb.12077:                            ;   in Loop: Header=BB6_10858 Depth=3
	s_delay_alu instid0(VALU_DEP_2) | instskip(SKIP_2) | instid1(VALU_DEP_1)
	v_and_b32_e32 v79, 0xff, v77
	s_mov_b32 s13, 0
	s_mov_b32 s31, exec_lo
                                        ; implicit-def: $sgpr17
	v_cmpx_lt_i16_e32 0x7f, v79
	s_xor_b32 s31, exec_lo, s31
	s_cbranch_execnz .LBB6_13384
; %bb.12078:                            ;   in Loop: Header=BB6_10858 Depth=3
	s_or_saveexec_b32 s31, s31
	v_mov_b32_e32 v78, s17
	s_xor_b32 exec_lo, exec_lo, s31
	s_cbranch_execnz .LBB6_13387
.LBB6_12079:                            ;   in Loop: Header=BB6_10858 Depth=3
	s_or_b32 exec_lo, exec_lo, s31
	s_and_saveexec_b32 s17, s13
	s_cbranch_execz .LBB6_12081
.LBB6_12080:                            ;   in Loop: Header=BB6_10858 Depth=3
	v_bfe_u32 v78, v22, 16, 3
	v_bfe_u32 v89, v22, 19, 4
	v_lshlrev_b32_e32 v90, 24, v77
	s_delay_alu instid0(VALU_DEP_3) | instskip(NEXT) | instid1(VALU_DEP_3)
	v_clz_i32_u32_e32 v79, v78
	v_cmp_eq_u32_e32 vcc_lo, 0, v89
	s_delay_alu instid0(VALU_DEP_2) | instskip(NEXT) | instid1(VALU_DEP_1)
	v_min_u32_e32 v79, 32, v79
	v_subrev_nc_u32_e32 v88, 28, v79
	v_sub_nc_u32_e32 v79, 29, v79
	s_delay_alu instid0(VALU_DEP_1) | instskip(NEXT) | instid1(VALU_DEP_1)
	v_dual_cndmask_b32 v79, v89, v79 :: v_dual_lshlrev_b32 v88, v88, v77
	v_and_b32_e32 v88, 7, v88
	s_delay_alu instid0(VALU_DEP_2) | instskip(NEXT) | instid1(VALU_DEP_2)
	v_lshl_add_u32 v79, v79, 23, 0x3b800000
	v_cndmask_b32_e32 v78, v78, v88, vcc_lo
	v_and_b32_e32 v88, 0x80000000, v90
	s_delay_alu instid0(VALU_DEP_2) | instskip(NEXT) | instid1(VALU_DEP_1)
	v_lshlrev_b32_e32 v78, 20, v78
	v_or3_b32 v78, v88, v79, v78
.LBB6_12081:                            ;   in Loop: Header=BB6_10858 Depth=3
	s_or_b32 exec_lo, exec_lo, s17
	v_and_b32_e32 v88, 0xff, v76
	s_mov_b32 s13, 0
	s_mov_b32 s31, exec_lo
                                        ; implicit-def: $sgpr17
	s_delay_alu instid0(VALU_DEP_1)
	v_cmpx_lt_i16_e32 0x7f, v88
	s_xor_b32 s31, exec_lo, s31
	s_cbranch_execnz .LBB6_13388
; %bb.12082:                            ;   in Loop: Header=BB6_10858 Depth=3
	s_or_saveexec_b32 s31, s31
	v_mov_b32_e32 v79, s17
	s_xor_b32 exec_lo, exec_lo, s31
	s_cbranch_execnz .LBB6_13391
.LBB6_12083:                            ;   in Loop: Header=BB6_10858 Depth=3
	s_or_b32 exec_lo, exec_lo, s31
	s_and_saveexec_b32 s17, s13
	s_cbranch_execz .LBB6_12085
.LBB6_12084:                            ;   in Loop: Header=BB6_10858 Depth=3
	v_bfe_u32 v79, v18, 16, 3
	v_bfe_u32 v90, v18, 19, 4
	v_lshlrev_b32_e32 v91, 24, v76
	s_delay_alu instid0(VALU_DEP_3) | instskip(NEXT) | instid1(VALU_DEP_3)
	v_clz_i32_u32_e32 v88, v79
	v_cmp_eq_u32_e32 vcc_lo, 0, v90
	s_delay_alu instid0(VALU_DEP_2) | instskip(NEXT) | instid1(VALU_DEP_1)
	v_min_u32_e32 v88, 32, v88
	v_subrev_nc_u32_e32 v89, 28, v88
	v_sub_nc_u32_e32 v88, 29, v88
	s_delay_alu instid0(VALU_DEP_2) | instskip(NEXT) | instid1(VALU_DEP_1)
	v_lshlrev_b32_e32 v89, v89, v76
	v_dual_cndmask_b32 v88, v90, v88 :: v_dual_and_b32 v89, 7, v89
	s_delay_alu instid0(VALU_DEP_1) | instskip(NEXT) | instid1(VALU_DEP_2)
	v_lshl_add_u32 v88, v88, 23, 0x3b800000
	v_cndmask_b32_e32 v79, v79, v89, vcc_lo
	v_and_b32_e32 v89, 0x80000000, v91
	s_delay_alu instid0(VALU_DEP_2) | instskip(NEXT) | instid1(VALU_DEP_1)
	v_lshlrev_b32_e32 v79, 20, v79
	v_or3_b32 v79, v89, v88, v79
.LBB6_12085:                            ;   in Loop: Header=BB6_10858 Depth=3
	s_or_b32 exec_lo, exec_lo, s17
	s_delay_alu instid0(VALU_DEP_1) | instskip(SKIP_1) | instid1(VALU_DEP_1)
	v_dual_max_f32 v79, v79, v79 :: v_dual_max_f32 v78, v78, v78
	s_mov_b32 s13, 0
	v_max_f32_e32 v78, v78, v79
	s_branch .LBB6_12087
.LBB6_12086:                            ;   in Loop: Header=BB6_10858 Depth=3
	s_mov_b32 s13, -1
                                        ; implicit-def: $vgpr78
.LBB6_12087:                            ;   in Loop: Header=BB6_10858 Depth=3
	s_delay_alu instid0(SALU_CYCLE_1)
	s_and_b32 vcc_lo, exec_lo, s13
	s_cbranch_vccz .LBB6_12097
; %bb.12088:                            ;   in Loop: Header=BB6_10858 Depth=3
	v_and_b32_e32 v79, 0xff, v77
	s_mov_b32 s13, 0
	s_mov_b32 s31, exec_lo
                                        ; implicit-def: $sgpr17
	s_delay_alu instid0(VALU_DEP_1)
	v_cmpx_lt_i16_e32 0x7f, v79
	s_xor_b32 s31, exec_lo, s31
	s_cbranch_execnz .LBB6_13392
; %bb.12089:                            ;   in Loop: Header=BB6_10858 Depth=3
	s_or_saveexec_b32 s31, s31
	v_mov_b32_e32 v78, s17
	s_xor_b32 exec_lo, exec_lo, s31
	s_cbranch_execnz .LBB6_13395
.LBB6_12090:                            ;   in Loop: Header=BB6_10858 Depth=3
	s_or_b32 exec_lo, exec_lo, s31
	s_and_saveexec_b32 s17, s13
	s_cbranch_execz .LBB6_12092
.LBB6_12091:                            ;   in Loop: Header=BB6_10858 Depth=3
	v_bfe_u32 v78, v22, 16, 3
	v_bfe_u32 v89, v22, 19, 4
	s_delay_alu instid0(VALU_DEP_2) | instskip(NEXT) | instid1(VALU_DEP_2)
	v_clz_i32_u32_e32 v79, v78
	v_cmp_eq_u32_e32 vcc_lo, 0, v89
	s_delay_alu instid0(VALU_DEP_2) | instskip(NEXT) | instid1(VALU_DEP_1)
	v_min_u32_e32 v79, 32, v79
	v_subrev_nc_u32_e32 v88, 28, v79
	v_sub_nc_u32_e32 v79, 29, v79
	s_delay_alu instid0(VALU_DEP_1) | instskip(NEXT) | instid1(VALU_DEP_1)
	v_dual_cndmask_b32 v79, v89, v79 :: v_dual_lshlrev_b32 v88, v88, v77
	v_and_b32_e32 v88, 7, v88
	v_lshlrev_b32_e32 v77, 24, v77
	s_delay_alu instid0(VALU_DEP_3) | instskip(NEXT) | instid1(VALU_DEP_2)
	v_lshl_add_u32 v79, v79, 23, 0x3b800000
	v_dual_cndmask_b32 v78, v78, v88 :: v_dual_and_b32 v77, 0x80000000, v77
	s_delay_alu instid0(VALU_DEP_1) | instskip(NEXT) | instid1(VALU_DEP_1)
	v_lshlrev_b32_e32 v78, 20, v78
	v_or3_b32 v78, v77, v79, v78
.LBB6_12092:                            ;   in Loop: Header=BB6_10858 Depth=3
	s_or_b32 exec_lo, exec_lo, s17
	v_and_b32_e32 v79, 0xff, v76
	s_mov_b32 s13, 0
	s_mov_b32 s31, exec_lo
                                        ; implicit-def: $sgpr17
	s_delay_alu instid0(VALU_DEP_1)
	v_cmpx_lt_i16_e32 0x7f, v79
	s_xor_b32 s31, exec_lo, s31
	s_cbranch_execnz .LBB6_13396
; %bb.12093:                            ;   in Loop: Header=BB6_10858 Depth=3
	s_or_saveexec_b32 s31, s31
	v_mov_b32_e32 v77, s17
	s_xor_b32 exec_lo, exec_lo, s31
	s_cbranch_execnz .LBB6_13399
.LBB6_12094:                            ;   in Loop: Header=BB6_10858 Depth=3
	s_or_b32 exec_lo, exec_lo, s31
	s_and_saveexec_b32 s17, s13
	s_cbranch_execz .LBB6_12096
.LBB6_12095:                            ;   in Loop: Header=BB6_10858 Depth=3
	v_bfe_u32 v77, v18, 16, 3
	v_bfe_u32 v89, v18, 19, 4
	s_delay_alu instid0(VALU_DEP_2) | instskip(NEXT) | instid1(VALU_DEP_2)
	v_clz_i32_u32_e32 v79, v77
	v_cmp_eq_u32_e32 vcc_lo, 0, v89
	s_delay_alu instid0(VALU_DEP_2) | instskip(NEXT) | instid1(VALU_DEP_1)
	v_min_u32_e32 v79, 32, v79
	v_subrev_nc_u32_e32 v88, 28, v79
	v_sub_nc_u32_e32 v79, 29, v79
	s_delay_alu instid0(VALU_DEP_1) | instskip(SKIP_1) | instid1(VALU_DEP_2)
	v_dual_cndmask_b32 v79, v89, v79 :: v_dual_lshlrev_b32 v88, v88, v76
	v_lshlrev_b32_e32 v76, 24, v76
	v_and_b32_e32 v88, 7, v88
	s_delay_alu instid0(VALU_DEP_3) | instskip(NEXT) | instid1(VALU_DEP_3)
	v_lshl_add_u32 v79, v79, 23, 0x3b800000
	v_and_b32_e32 v76, 0x80000000, v76
	s_delay_alu instid0(VALU_DEP_3) | instskip(NEXT) | instid1(VALU_DEP_1)
	v_cndmask_b32_e32 v77, v77, v88, vcc_lo
	v_lshlrev_b32_e32 v77, 20, v77
	s_delay_alu instid0(VALU_DEP_1)
	v_or3_b32 v77, v76, v79, v77
.LBB6_12096:                            ;   in Loop: Header=BB6_10858 Depth=3
	s_or_b32 exec_lo, exec_lo, s17
	s_delay_alu instid0(VALU_DEP_1) | instskip(NEXT) | instid1(VALU_DEP_1)
	v_dual_max_f32 v76, v77, v77 :: v_dual_max_f32 v77, v78, v78
	v_min_f32_e32 v78, v77, v76
.LBB6_12097:                            ;   in Loop: Header=BB6_10858 Depth=3
	s_delay_alu instid0(VALU_DEP_1) | instskip(NEXT) | instid1(VALU_DEP_1)
	v_and_b32_e32 v76, 0x7f800000, v78
	v_cmp_ne_u32_e32 vcc_lo, 0x7f800000, v76
	v_mov_b32_e32 v76, 0x80
	s_and_saveexec_b32 s17, vcc_lo
	s_cbranch_execz .LBB6_12105
; %bb.12098:                            ;   in Loop: Header=BB6_10858 Depth=3
	v_mov_b32_e32 v76, 0
	s_mov_b32 s31, exec_lo
	v_cmpx_ne_u32_e32 0, v78
	s_cbranch_execz .LBB6_12104
; %bb.12099:                            ;   in Loop: Header=BB6_10858 Depth=3
	v_bfe_u32 v76, v78, 23, 8
	v_and_b32_e32 v77, 0x7fffff, v78
	s_delay_alu instid0(VALU_DEP_2) | instskip(SKIP_1) | instid1(VALU_DEP_3)
	v_sub_nc_u32_e32 v79, 0x78, v76
	v_cmp_gt_u32_e32 vcc_lo, 0x79, v76
	v_or_b32_e32 v88, 0x800000, v77
	s_delay_alu instid0(VALU_DEP_3) | instskip(SKIP_2) | instid1(VALU_DEP_3)
	v_cndmask_b32_e32 v79, 0, v79, vcc_lo
	v_cmp_eq_u32_e32 vcc_lo, 0, v76
	v_add_nc_u32_e32 v76, 0xffffff89, v76
	v_cndmask_b32_e64 v79, v79, 0x77, vcc_lo
	v_cndmask_b32_e32 v77, v88, v77, vcc_lo
	s_delay_alu instid0(VALU_DEP_3) | instskip(NEXT) | instid1(VALU_DEP_3)
	v_cndmask_b32_e64 v76, v76, 0xffffff8a, vcc_lo
	v_lshl_add_u32 v88, 0x100000, v79, -1
	s_delay_alu instid0(VALU_DEP_3) | instskip(SKIP_1) | instid1(VALU_DEP_4)
	v_lshrrev_b32_e32 v89, v79, v77
	v_lshlrev_b32_e64 v91, v79, 0x80000
	v_add_nc_u32_e32 v79, v79, v76
	s_delay_alu instid0(VALU_DEP_4) | instskip(NEXT) | instid1(VALU_DEP_4)
	v_and_b32_e32 v77, v88, v77
	v_bfe_u32 v90, v89, 20, 1
	s_delay_alu instid0(VALU_DEP_2) | instskip(NEXT) | instid1(VALU_DEP_2)
	v_cmp_eq_u32_e64 s13, v77, v91
	v_add_nc_u32_e32 v88, -1, v90
	s_delay_alu instid0(VALU_DEP_1) | instskip(SKIP_2) | instid1(VALU_DEP_2)
	v_cndmask_b32_e64 v77, 0, v88, s13
	v_lshrrev_b32_e32 v88, 23, v89
	s_mov_b32 s13, exec_lo
	v_add_nc_u32_e32 v77, v77, v89
	s_delay_alu instid0(VALU_DEP_2) | instskip(NEXT) | instid1(VALU_DEP_2)
	v_xor_b32_e32 v88, 1, v88
	v_and_b32_e32 v76, 0xfffff, v77
	s_delay_alu instid0(VALU_DEP_1) | instskip(NEXT) | instid1(VALU_DEP_3)
	v_add_nc_u32_e32 v77, v76, v89
                                        ; implicit-def: $vgpr76
	v_cmpx_ne_u32_e64 v79, v88
	s_xor_b32 s13, exec_lo, s13
; %bb.12100:                            ;   in Loop: Header=BB6_10858 Depth=3
	s_delay_alu instid0(VALU_DEP_2) | instskip(SKIP_2) | instid1(VALU_DEP_2)
	v_cmp_lt_u32_e32 vcc_lo, 0xffffff, v77
	v_sub_nc_u32_e32 v76, v79, v88
	v_cndmask_b32_e64 v79, 0, 1, vcc_lo
	v_add_co_ci_u32_e32 v76, vcc_lo, 0, v76, vcc_lo
	s_delay_alu instid0(VALU_DEP_2)
	v_lshrrev_b32_e32 v77, v79, v77
; %bb.12101:                            ;   in Loop: Header=BB6_10858 Depth=3
	s_and_not1_saveexec_b32 s13, s13
; %bb.12102:                            ;   in Loop: Header=BB6_10858 Depth=3
	s_delay_alu instid0(VALU_DEP_1)
	v_bfe_u32 v76, v77, 23, 1
; %bb.12103:                            ;   in Loop: Header=BB6_10858 Depth=3
	s_or_b32 exec_lo, exec_lo, s13
	v_lshrrev_b32_e32 v77, 20, v77
	s_delay_alu instid0(VALU_DEP_2) | instskip(SKIP_2) | instid1(VALU_DEP_2)
	v_cmp_gt_i32_e32 vcc_lo, 16, v76
	v_lshrrev_b32_e32 v78, 24, v78
	v_min_i32_e32 v79, 15, v76
	v_dual_cndmask_b32 v77, 7, v77 :: v_dual_and_b32 v78, 0x80, v78
	s_delay_alu instid0(VALU_DEP_1) | instskip(SKIP_1) | instid1(VALU_DEP_2)
	v_or_b32_e32 v76, v76, v77
	v_and_b32_e32 v88, 7, v77
	v_cmp_ne_u32_e32 vcc_lo, 0, v76
	v_lshlrev_b32_e32 v79, 3, v79
	s_delay_alu instid0(VALU_DEP_1) | instskip(NEXT) | instid1(VALU_DEP_1)
	v_or3_b32 v77, v79, v78, v88
	v_cndmask_b32_e32 v76, 0, v77, vcc_lo
.LBB6_12104:                            ;   in Loop: Header=BB6_10858 Depth=3
	s_or_b32 exec_lo, exec_lo, s31
.LBB6_12105:                            ;   in Loop: Header=BB6_10858 Depth=3
	s_delay_alu instid0(SALU_CYCLE_1)
	s_or_b32 exec_lo, exec_lo, s17
	v_lshrrev_b32_e32 v78, 24, v22
	v_lshrrev_b32_e32 v77, 24, v18
	s_and_not1_b32 vcc_lo, exec_lo, s16
	s_cbranch_vccnz .LBB6_12115
; %bb.12106:                            ;   in Loop: Header=BB6_10858 Depth=3
	s_mov_b32 s13, 0
	s_mov_b32 s31, exec_lo
                                        ; implicit-def: $sgpr17
	v_cmpx_lt_i16_e32 0x7f, v78
	s_xor_b32 s31, exec_lo, s31
	s_cbranch_execnz .LBB6_13400
; %bb.12107:                            ;   in Loop: Header=BB6_10858 Depth=3
	s_or_saveexec_b32 s31, s31
	v_mov_b32_e32 v79, s17
	s_xor_b32 exec_lo, exec_lo, s31
	s_cbranch_execnz .LBB6_13403
.LBB6_12108:                            ;   in Loop: Header=BB6_10858 Depth=3
	s_or_b32 exec_lo, exec_lo, s31
	s_and_saveexec_b32 s17, s13
	s_cbranch_execz .LBB6_12110
.LBB6_12109:                            ;   in Loop: Header=BB6_10858 Depth=3
	v_bfe_u32 v79, v22, 24, 3
	v_bfe_u32 v90, v22, 27, 4
	s_delay_alu instid0(VALU_DEP_2) | instskip(NEXT) | instid1(VALU_DEP_2)
	v_clz_i32_u32_e32 v88, v79
	v_cmp_eq_u32_e32 vcc_lo, 0, v90
	s_delay_alu instid0(VALU_DEP_2) | instskip(NEXT) | instid1(VALU_DEP_1)
	v_min_u32_e32 v88, 32, v88
	v_subrev_nc_u32_e32 v89, 28, v88
	v_sub_nc_u32_e32 v88, 29, v88
	s_delay_alu instid0(VALU_DEP_1) | instskip(NEXT) | instid1(VALU_DEP_1)
	v_dual_cndmask_b32 v88, v90, v88 :: v_dual_lshlrev_b32 v89, v89, v78
	v_and_b32_e32 v89, 7, v89
	s_delay_alu instid0(VALU_DEP_2) | instskip(NEXT) | instid1(VALU_DEP_2)
	v_lshl_add_u32 v88, v88, 23, 0x3b800000
	v_cndmask_b32_e32 v79, v79, v89, vcc_lo
	v_and_b32_e32 v89, 0x80000000, v22
	s_delay_alu instid0(VALU_DEP_2) | instskip(NEXT) | instid1(VALU_DEP_1)
	v_lshlrev_b32_e32 v79, 20, v79
	v_or3_b32 v79, v89, v88, v79
.LBB6_12110:                            ;   in Loop: Header=BB6_10858 Depth=3
	s_or_b32 exec_lo, exec_lo, s17
	s_mov_b32 s13, 0
	s_mov_b32 s31, exec_lo
                                        ; implicit-def: $sgpr17
	v_cmpx_lt_i16_e32 0x7f, v77
	s_xor_b32 s31, exec_lo, s31
	s_cbranch_execnz .LBB6_13404
; %bb.12111:                            ;   in Loop: Header=BB6_10858 Depth=3
	s_or_saveexec_b32 s31, s31
	v_mov_b32_e32 v88, s17
	s_xor_b32 exec_lo, exec_lo, s31
	s_cbranch_execnz .LBB6_13407
.LBB6_12112:                            ;   in Loop: Header=BB6_10858 Depth=3
	s_or_b32 exec_lo, exec_lo, s31
	s_and_saveexec_b32 s17, s13
	s_cbranch_execz .LBB6_12114
.LBB6_12113:                            ;   in Loop: Header=BB6_10858 Depth=3
	v_bfe_u32 v88, v18, 24, 3
	v_bfe_u32 v91, v18, 27, 4
	s_delay_alu instid0(VALU_DEP_2) | instskip(NEXT) | instid1(VALU_DEP_2)
	v_clz_i32_u32_e32 v89, v88
	v_cmp_eq_u32_e32 vcc_lo, 0, v91
	s_delay_alu instid0(VALU_DEP_2) | instskip(NEXT) | instid1(VALU_DEP_1)
	v_min_u32_e32 v89, 32, v89
	v_subrev_nc_u32_e32 v90, 28, v89
	v_sub_nc_u32_e32 v89, 29, v89
	s_delay_alu instid0(VALU_DEP_2) | instskip(NEXT) | instid1(VALU_DEP_1)
	v_lshlrev_b32_e32 v90, v90, v77
	v_dual_cndmask_b32 v89, v91, v89 :: v_dual_and_b32 v90, 7, v90
	s_delay_alu instid0(VALU_DEP_1) | instskip(NEXT) | instid1(VALU_DEP_2)
	v_lshl_add_u32 v89, v89, 23, 0x3b800000
	v_cndmask_b32_e32 v88, v88, v90, vcc_lo
	v_and_b32_e32 v90, 0x80000000, v18
	s_delay_alu instid0(VALU_DEP_2) | instskip(NEXT) | instid1(VALU_DEP_1)
	v_lshlrev_b32_e32 v88, 20, v88
	v_or3_b32 v88, v90, v89, v88
.LBB6_12114:                            ;   in Loop: Header=BB6_10858 Depth=3
	s_or_b32 exec_lo, exec_lo, s17
	s_delay_alu instid0(VALU_DEP_1) | instskip(SKIP_1) | instid1(VALU_DEP_1)
	v_dual_max_f32 v88, v88, v88 :: v_dual_max_f32 v79, v79, v79
	s_mov_b32 s13, 0
	v_max_f32_e32 v79, v79, v88
	s_branch .LBB6_12116
.LBB6_12115:                            ;   in Loop: Header=BB6_10858 Depth=3
	s_mov_b32 s13, -1
                                        ; implicit-def: $vgpr79
.LBB6_12116:                            ;   in Loop: Header=BB6_10858 Depth=3
	s_delay_alu instid0(SALU_CYCLE_1)
	s_and_b32 vcc_lo, exec_lo, s13
	s_cbranch_vccz .LBB6_12126
; %bb.12117:                            ;   in Loop: Header=BB6_10858 Depth=3
	s_mov_b32 s13, 0
	s_mov_b32 s31, exec_lo
                                        ; implicit-def: $sgpr17
	v_cmpx_lt_i16_e32 0x7f, v78
	s_xor_b32 s31, exec_lo, s31
	s_cbranch_execnz .LBB6_13408
; %bb.12118:                            ;   in Loop: Header=BB6_10858 Depth=3
	s_or_saveexec_b32 s31, s31
	v_mov_b32_e32 v79, s17
	s_xor_b32 exec_lo, exec_lo, s31
	s_cbranch_execnz .LBB6_13411
.LBB6_12119:                            ;   in Loop: Header=BB6_10858 Depth=3
	s_or_b32 exec_lo, exec_lo, s31
	s_and_saveexec_b32 s17, s13
	s_cbranch_execz .LBB6_12121
.LBB6_12120:                            ;   in Loop: Header=BB6_10858 Depth=3
	v_bfe_u32 v79, v22, 24, 3
	s_delay_alu instid0(VALU_DEP_1) | instskip(NEXT) | instid1(VALU_DEP_1)
	v_clz_i32_u32_e32 v88, v79
	v_min_u32_e32 v88, 32, v88
	s_delay_alu instid0(VALU_DEP_1) | instskip(SKIP_1) | instid1(VALU_DEP_2)
	v_subrev_nc_u32_e32 v89, 28, v88
	v_sub_nc_u32_e32 v88, 29, v88
	v_lshlrev_b32_e32 v78, v89, v78
	v_bfe_u32 v89, v22, 27, 4
	v_and_b32_e32 v22, 0x80000000, v22
	s_delay_alu instid0(VALU_DEP_3) | instskip(NEXT) | instid1(VALU_DEP_3)
	v_and_b32_e32 v78, 7, v78
	v_cmp_eq_u32_e32 vcc_lo, 0, v89
	v_cndmask_b32_e32 v88, v89, v88, vcc_lo
	s_delay_alu instid0(VALU_DEP_3) | instskip(NEXT) | instid1(VALU_DEP_2)
	v_cndmask_b32_e32 v78, v79, v78, vcc_lo
	v_lshl_add_u32 v79, v88, 23, 0x3b800000
	s_delay_alu instid0(VALU_DEP_2) | instskip(NEXT) | instid1(VALU_DEP_1)
	v_lshlrev_b32_e32 v78, 20, v78
	v_or3_b32 v79, v22, v79, v78
.LBB6_12121:                            ;   in Loop: Header=BB6_10858 Depth=3
	s_or_b32 exec_lo, exec_lo, s17
	s_mov_b32 s13, 0
	s_mov_b32 s31, exec_lo
                                        ; implicit-def: $sgpr17
	v_cmpx_lt_i16_e32 0x7f, v77
	s_xor_b32 s31, exec_lo, s31
	s_cbranch_execnz .LBB6_13412
; %bb.12122:                            ;   in Loop: Header=BB6_10858 Depth=3
	s_or_saveexec_b32 s31, s31
	v_mov_b32_e32 v22, s17
	s_xor_b32 exec_lo, exec_lo, s31
	s_cbranch_execnz .LBB6_13415
.LBB6_12123:                            ;   in Loop: Header=BB6_10858 Depth=3
	s_or_b32 exec_lo, exec_lo, s31
	s_and_saveexec_b32 s17, s13
	s_cbranch_execz .LBB6_12125
.LBB6_12124:                            ;   in Loop: Header=BB6_10858 Depth=3
	v_bfe_u32 v22, v18, 24, 3
	s_delay_alu instid0(VALU_DEP_1) | instskip(NEXT) | instid1(VALU_DEP_1)
	v_clz_i32_u32_e32 v78, v22
	v_min_u32_e32 v78, 32, v78
	s_delay_alu instid0(VALU_DEP_1) | instskip(SKIP_1) | instid1(VALU_DEP_2)
	v_subrev_nc_u32_e32 v88, 28, v78
	v_sub_nc_u32_e32 v78, 29, v78
	v_lshlrev_b32_e32 v77, v88, v77
	v_bfe_u32 v88, v18, 27, 4
	v_and_b32_e32 v18, 0x80000000, v18
	s_delay_alu instid0(VALU_DEP_2) | instskip(NEXT) | instid1(VALU_DEP_4)
	v_cmp_eq_u32_e32 vcc_lo, 0, v88
	v_dual_cndmask_b32 v78, v88, v78 :: v_dual_and_b32 v77, 7, v77
	s_delay_alu instid0(VALU_DEP_1) | instskip(NEXT) | instid1(VALU_DEP_2)
	v_cndmask_b32_e32 v22, v22, v77, vcc_lo
	v_lshl_add_u32 v77, v78, 23, 0x3b800000
	s_delay_alu instid0(VALU_DEP_2) | instskip(NEXT) | instid1(VALU_DEP_1)
	v_lshlrev_b32_e32 v22, 20, v22
	v_or3_b32 v22, v18, v77, v22
.LBB6_12125:                            ;   in Loop: Header=BB6_10858 Depth=3
	s_or_b32 exec_lo, exec_lo, s17
	s_delay_alu instid0(VALU_DEP_1) | instskip(SKIP_1) | instid1(VALU_DEP_1)
	v_max_f32_e32 v18, v22, v22
	v_max_f32_e32 v22, v79, v79
	v_min_f32_e32 v79, v22, v18
.LBB6_12126:                            ;   in Loop: Header=BB6_10858 Depth=3
	s_delay_alu instid0(VALU_DEP_1) | instskip(NEXT) | instid1(VALU_DEP_1)
	v_and_b32_e32 v18, 0x7f800000, v79
	v_cmp_ne_u32_e32 vcc_lo, 0x7f800000, v18
	v_mov_b32_e32 v18, 0x80
	s_and_saveexec_b32 s17, vcc_lo
	s_cbranch_execz .LBB6_12134
; %bb.12127:                            ;   in Loop: Header=BB6_10858 Depth=3
	v_mov_b32_e32 v18, 0
	s_mov_b32 s31, exec_lo
	v_cmpx_ne_u32_e32 0, v79
	s_cbranch_execz .LBB6_12133
; %bb.12128:                            ;   in Loop: Header=BB6_10858 Depth=3
	v_bfe_u32 v18, v79, 23, 8
	s_delay_alu instid0(VALU_DEP_1) | instskip(SKIP_1) | instid1(VALU_DEP_2)
	v_sub_nc_u32_e32 v77, 0x78, v18
	v_cmp_gt_u32_e32 vcc_lo, 0x79, v18
	v_dual_cndmask_b32 v77, 0, v77 :: v_dual_and_b32 v22, 0x7fffff, v79
	s_delay_alu instid0(VALU_DEP_1) | instskip(SKIP_2) | instid1(VALU_DEP_4)
	v_or_b32_e32 v78, 0x800000, v22
	v_cmp_eq_u32_e32 vcc_lo, 0, v18
	v_add_nc_u32_e32 v18, 0xffffff89, v18
	v_cndmask_b32_e64 v77, v77, 0x77, vcc_lo
	s_delay_alu instid0(VALU_DEP_4) | instskip(NEXT) | instid1(VALU_DEP_3)
	v_cndmask_b32_e32 v22, v78, v22, vcc_lo
	v_cndmask_b32_e64 v18, v18, 0xffffff8a, vcc_lo
	s_delay_alu instid0(VALU_DEP_3) | instskip(NEXT) | instid1(VALU_DEP_3)
	v_lshl_add_u32 v78, 0x100000, v77, -1
	v_lshrrev_b32_e32 v88, v77, v22
	v_lshlrev_b32_e64 v90, v77, 0x80000
	s_delay_alu instid0(VALU_DEP_4) | instskip(NEXT) | instid1(VALU_DEP_4)
	v_add_nc_u32_e32 v77, v77, v18
	v_and_b32_e32 v22, v78, v22
	s_delay_alu instid0(VALU_DEP_4) | instskip(NEXT) | instid1(VALU_DEP_2)
	v_bfe_u32 v89, v88, 20, 1
	v_cmp_eq_u32_e64 s13, v22, v90
	s_delay_alu instid0(VALU_DEP_2) | instskip(NEXT) | instid1(VALU_DEP_1)
	v_add_nc_u32_e32 v78, -1, v89
	v_cndmask_b32_e64 v22, 0, v78, s13
	v_lshrrev_b32_e32 v78, 23, v88
	s_mov_b32 s13, exec_lo
	s_delay_alu instid0(VALU_DEP_2) | instskip(NEXT) | instid1(VALU_DEP_2)
	v_add_nc_u32_e32 v22, v22, v88
	v_xor_b32_e32 v78, 1, v78
	s_delay_alu instid0(VALU_DEP_2) | instskip(NEXT) | instid1(VALU_DEP_1)
	v_and_b32_e32 v18, 0xfffff, v22
	v_add_nc_u32_e32 v22, v18, v88
                                        ; implicit-def: $vgpr18
	s_delay_alu instid0(VALU_DEP_3)
	v_cmpx_ne_u32_e64 v77, v78
	s_xor_b32 s13, exec_lo, s13
; %bb.12129:                            ;   in Loop: Header=BB6_10858 Depth=3
	s_delay_alu instid0(VALU_DEP_2) | instskip(SKIP_2) | instid1(VALU_DEP_2)
	v_cmp_lt_u32_e32 vcc_lo, 0xffffff, v22
	v_sub_nc_u32_e32 v18, v77, v78
	v_cndmask_b32_e64 v77, 0, 1, vcc_lo
	v_add_co_ci_u32_e32 v18, vcc_lo, 0, v18, vcc_lo
	s_delay_alu instid0(VALU_DEP_2)
	v_lshrrev_b32_e32 v22, v77, v22
; %bb.12130:                            ;   in Loop: Header=BB6_10858 Depth=3
	s_and_not1_saveexec_b32 s13, s13
; %bb.12131:                            ;   in Loop: Header=BB6_10858 Depth=3
	s_delay_alu instid0(VALU_DEP_1)
	v_bfe_u32 v18, v22, 23, 1
; %bb.12132:                            ;   in Loop: Header=BB6_10858 Depth=3
	s_or_b32 exec_lo, exec_lo, s13
	v_lshrrev_b32_e32 v22, 20, v22
	s_delay_alu instid0(VALU_DEP_2) | instskip(SKIP_2) | instid1(VALU_DEP_2)
	v_cmp_gt_i32_e32 vcc_lo, 16, v18
	v_lshrrev_b32_e32 v77, 24, v79
	v_min_i32_e32 v78, 15, v18
	v_dual_cndmask_b32 v22, 7, v22 :: v_dual_and_b32 v77, 0x80, v77
	s_delay_alu instid0(VALU_DEP_2) | instskip(NEXT) | instid1(VALU_DEP_2)
	v_lshlrev_b32_e32 v78, 3, v78
	v_and_b32_e32 v79, 7, v22
	v_or_b32_e32 v18, v18, v22
	s_delay_alu instid0(VALU_DEP_2) | instskip(NEXT) | instid1(VALU_DEP_2)
	v_or3_b32 v22, v78, v77, v79
	v_cmp_ne_u32_e32 vcc_lo, 0, v18
	s_delay_alu instid0(VALU_DEP_2)
	v_cndmask_b32_e32 v18, 0, v22, vcc_lo
.LBB6_12133:                            ;   in Loop: Header=BB6_10858 Depth=3
	s_or_b32 exec_lo, exec_lo, s31
.LBB6_12134:                            ;   in Loop: Header=BB6_10858 Depth=3
	s_delay_alu instid0(SALU_CYCLE_1) | instskip(NEXT) | instid1(SALU_CYCLE_1)
	s_or_b32 exec_lo, exec_lo, s17
	s_and_not1_b32 vcc_lo, exec_lo, s16
	s_cbranch_vccnz .LBB6_12144
; %bb.12135:                            ;   in Loop: Header=BB6_10858 Depth=3
	v_and_b32_e32 v77, 0xff, v23
	s_mov_b32 s13, 0
	s_mov_b32 s31, exec_lo
                                        ; implicit-def: $sgpr17
	s_delay_alu instid0(VALU_DEP_1)
	v_cmpx_lt_i16_e32 0x7f, v77
	s_xor_b32 s31, exec_lo, s31
	s_cbranch_execnz .LBB6_13416
; %bb.12136:                            ;   in Loop: Header=BB6_10858 Depth=3
	s_or_saveexec_b32 s31, s31
	v_mov_b32_e32 v22, s17
	s_xor_b32 exec_lo, exec_lo, s31
	s_cbranch_execnz .LBB6_13419
.LBB6_12137:                            ;   in Loop: Header=BB6_10858 Depth=3
	s_or_b32 exec_lo, exec_lo, s31
	s_and_saveexec_b32 s17, s13
	s_cbranch_execz .LBB6_12139
.LBB6_12138:                            ;   in Loop: Header=BB6_10858 Depth=3
	v_bfe_u32 v79, v23, 3, 4
	v_lshlrev_b32_e32 v88, 24, v23
	s_delay_alu instid0(VALU_DEP_2) | instskip(SKIP_1) | instid1(VALU_DEP_1)
	v_cmp_eq_u32_e32 vcc_lo, 0, v79
	v_and_b32_e32 v22, 7, v23
	v_clz_i32_u32_e32 v77, v22
	s_delay_alu instid0(VALU_DEP_1) | instskip(NEXT) | instid1(VALU_DEP_1)
	v_min_u32_e32 v77, 32, v77
	v_subrev_nc_u32_e32 v78, 28, v77
	v_sub_nc_u32_e32 v77, 29, v77
	s_delay_alu instid0(VALU_DEP_1) | instskip(NEXT) | instid1(VALU_DEP_1)
	v_dual_cndmask_b32 v77, v79, v77 :: v_dual_lshlrev_b32 v78, v78, v23
	v_and_b32_e32 v78, 7, v78
	s_delay_alu instid0(VALU_DEP_2) | instskip(NEXT) | instid1(VALU_DEP_2)
	v_lshl_add_u32 v77, v77, 23, 0x3b800000
	v_cndmask_b32_e32 v22, v22, v78, vcc_lo
	v_and_b32_e32 v78, 0x80000000, v88
	s_delay_alu instid0(VALU_DEP_2) | instskip(NEXT) | instid1(VALU_DEP_1)
	v_lshlrev_b32_e32 v22, 20, v22
	v_or3_b32 v22, v78, v77, v22
.LBB6_12139:                            ;   in Loop: Header=BB6_10858 Depth=3
	s_or_b32 exec_lo, exec_lo, s17
	v_and_b32_e32 v78, 0xff, v19
	s_mov_b32 s13, 0
	s_mov_b32 s31, exec_lo
                                        ; implicit-def: $sgpr17
	s_delay_alu instid0(VALU_DEP_1)
	v_cmpx_lt_i16_e32 0x7f, v78
	s_xor_b32 s31, exec_lo, s31
	s_cbranch_execnz .LBB6_13420
; %bb.12140:                            ;   in Loop: Header=BB6_10858 Depth=3
	s_or_saveexec_b32 s31, s31
	v_mov_b32_e32 v77, s17
	s_xor_b32 exec_lo, exec_lo, s31
	s_cbranch_execnz .LBB6_13423
.LBB6_12141:                            ;   in Loop: Header=BB6_10858 Depth=3
	s_or_b32 exec_lo, exec_lo, s31
	s_and_saveexec_b32 s17, s13
	s_cbranch_execz .LBB6_12143
.LBB6_12142:                            ;   in Loop: Header=BB6_10858 Depth=3
	v_bfe_u32 v88, v19, 3, 4
	v_lshlrev_b32_e32 v89, 24, v19
	s_delay_alu instid0(VALU_DEP_2) | instskip(SKIP_1) | instid1(VALU_DEP_1)
	v_cmp_eq_u32_e32 vcc_lo, 0, v88
	v_and_b32_e32 v77, 7, v19
	v_clz_i32_u32_e32 v78, v77
	s_delay_alu instid0(VALU_DEP_1) | instskip(NEXT) | instid1(VALU_DEP_1)
	v_min_u32_e32 v78, 32, v78
	v_subrev_nc_u32_e32 v79, 28, v78
	v_sub_nc_u32_e32 v78, 29, v78
	s_delay_alu instid0(VALU_DEP_1) | instskip(NEXT) | instid1(VALU_DEP_1)
	v_dual_cndmask_b32 v78, v88, v78 :: v_dual_lshlrev_b32 v79, v79, v19
	v_and_b32_e32 v79, 7, v79
	s_delay_alu instid0(VALU_DEP_2) | instskip(NEXT) | instid1(VALU_DEP_2)
	v_lshl_add_u32 v78, v78, 23, 0x3b800000
	v_cndmask_b32_e32 v77, v77, v79, vcc_lo
	v_and_b32_e32 v79, 0x80000000, v89
	s_delay_alu instid0(VALU_DEP_2) | instskip(NEXT) | instid1(VALU_DEP_1)
	v_lshlrev_b32_e32 v77, 20, v77
	v_or3_b32 v77, v79, v78, v77
.LBB6_12143:                            ;   in Loop: Header=BB6_10858 Depth=3
	s_or_b32 exec_lo, exec_lo, s17
	s_delay_alu instid0(VALU_DEP_1) | instskip(SKIP_1) | instid1(VALU_DEP_1)
	v_dual_max_f32 v77, v77, v77 :: v_dual_max_f32 v22, v22, v22
	s_mov_b32 s13, 0
	v_max_f32_e32 v77, v22, v77
	s_branch .LBB6_12145
.LBB6_12144:                            ;   in Loop: Header=BB6_10858 Depth=3
	s_mov_b32 s13, -1
                                        ; implicit-def: $vgpr77
.LBB6_12145:                            ;   in Loop: Header=BB6_10858 Depth=3
	s_delay_alu instid0(SALU_CYCLE_1)
	s_and_b32 vcc_lo, exec_lo, s13
	s_cbranch_vccz .LBB6_12155
; %bb.12146:                            ;   in Loop: Header=BB6_10858 Depth=3
	v_and_b32_e32 v77, 0xff, v23
	s_mov_b32 s13, 0
	s_mov_b32 s31, exec_lo
                                        ; implicit-def: $sgpr17
	s_delay_alu instid0(VALU_DEP_1)
	v_cmpx_lt_i16_e32 0x7f, v77
	s_xor_b32 s31, exec_lo, s31
	s_cbranch_execnz .LBB6_13424
; %bb.12147:                            ;   in Loop: Header=BB6_10858 Depth=3
	s_or_saveexec_b32 s31, s31
	v_mov_b32_e32 v22, s17
	s_xor_b32 exec_lo, exec_lo, s31
	s_cbranch_execnz .LBB6_13427
.LBB6_12148:                            ;   in Loop: Header=BB6_10858 Depth=3
	s_or_b32 exec_lo, exec_lo, s31
	s_and_saveexec_b32 s17, s13
	s_cbranch_execz .LBB6_12150
.LBB6_12149:                            ;   in Loop: Header=BB6_10858 Depth=3
	v_bfe_u32 v79, v23, 3, 4
	v_lshlrev_b32_e32 v88, 24, v23
	s_delay_alu instid0(VALU_DEP_2) | instskip(SKIP_1) | instid1(VALU_DEP_1)
	v_cmp_eq_u32_e32 vcc_lo, 0, v79
	v_and_b32_e32 v22, 7, v23
	v_clz_i32_u32_e32 v77, v22
	s_delay_alu instid0(VALU_DEP_1) | instskip(NEXT) | instid1(VALU_DEP_1)
	v_min_u32_e32 v77, 32, v77
	v_subrev_nc_u32_e32 v78, 28, v77
	v_sub_nc_u32_e32 v77, 29, v77
	s_delay_alu instid0(VALU_DEP_1) | instskip(NEXT) | instid1(VALU_DEP_1)
	v_dual_cndmask_b32 v77, v79, v77 :: v_dual_lshlrev_b32 v78, v78, v23
	v_and_b32_e32 v78, 7, v78
	s_delay_alu instid0(VALU_DEP_2) | instskip(NEXT) | instid1(VALU_DEP_2)
	v_lshl_add_u32 v77, v77, 23, 0x3b800000
	v_cndmask_b32_e32 v22, v22, v78, vcc_lo
	v_and_b32_e32 v78, 0x80000000, v88
	s_delay_alu instid0(VALU_DEP_2) | instskip(NEXT) | instid1(VALU_DEP_1)
	v_lshlrev_b32_e32 v22, 20, v22
	v_or3_b32 v22, v78, v77, v22
.LBB6_12150:                            ;   in Loop: Header=BB6_10858 Depth=3
	s_or_b32 exec_lo, exec_lo, s17
	v_and_b32_e32 v78, 0xff, v19
	s_mov_b32 s13, 0
	s_mov_b32 s31, exec_lo
                                        ; implicit-def: $sgpr17
	s_delay_alu instid0(VALU_DEP_1)
	v_cmpx_lt_i16_e32 0x7f, v78
	s_xor_b32 s31, exec_lo, s31
	s_cbranch_execnz .LBB6_13428
; %bb.12151:                            ;   in Loop: Header=BB6_10858 Depth=3
	s_or_saveexec_b32 s31, s31
	v_mov_b32_e32 v77, s17
	s_xor_b32 exec_lo, exec_lo, s31
	s_cbranch_execnz .LBB6_13431
.LBB6_12152:                            ;   in Loop: Header=BB6_10858 Depth=3
	s_or_b32 exec_lo, exec_lo, s31
	s_and_saveexec_b32 s17, s13
	s_cbranch_execz .LBB6_12154
.LBB6_12153:                            ;   in Loop: Header=BB6_10858 Depth=3
	v_bfe_u32 v88, v19, 3, 4
	v_lshlrev_b32_e32 v89, 24, v19
	s_delay_alu instid0(VALU_DEP_2) | instskip(SKIP_1) | instid1(VALU_DEP_1)
	v_cmp_eq_u32_e32 vcc_lo, 0, v88
	v_and_b32_e32 v77, 7, v19
	v_clz_i32_u32_e32 v78, v77
	s_delay_alu instid0(VALU_DEP_1) | instskip(NEXT) | instid1(VALU_DEP_1)
	v_min_u32_e32 v78, 32, v78
	v_subrev_nc_u32_e32 v79, 28, v78
	v_sub_nc_u32_e32 v78, 29, v78
	s_delay_alu instid0(VALU_DEP_1) | instskip(NEXT) | instid1(VALU_DEP_1)
	v_dual_cndmask_b32 v78, v88, v78 :: v_dual_lshlrev_b32 v79, v79, v19
	v_and_b32_e32 v79, 7, v79
	s_delay_alu instid0(VALU_DEP_2) | instskip(NEXT) | instid1(VALU_DEP_2)
	v_lshl_add_u32 v78, v78, 23, 0x3b800000
	v_cndmask_b32_e32 v77, v77, v79, vcc_lo
	v_and_b32_e32 v79, 0x80000000, v89
	s_delay_alu instid0(VALU_DEP_2) | instskip(NEXT) | instid1(VALU_DEP_1)
	v_lshlrev_b32_e32 v77, 20, v77
	v_or3_b32 v77, v79, v78, v77
.LBB6_12154:                            ;   in Loop: Header=BB6_10858 Depth=3
	s_or_b32 exec_lo, exec_lo, s17
	s_delay_alu instid0(VALU_DEP_1) | instskip(NEXT) | instid1(VALU_DEP_1)
	v_dual_max_f32 v77, v77, v77 :: v_dual_max_f32 v22, v22, v22
	v_min_f32_e32 v77, v22, v77
.LBB6_12155:                            ;   in Loop: Header=BB6_10858 Depth=3
	s_delay_alu instid0(VALU_DEP_1) | instskip(NEXT) | instid1(VALU_DEP_1)
	v_and_b32_e32 v22, 0x7f800000, v77
	v_cmp_ne_u32_e32 vcc_lo, 0x7f800000, v22
	v_mov_b32_e32 v22, 0x80
	s_and_saveexec_b32 s17, vcc_lo
	s_cbranch_execz .LBB6_12163
; %bb.12156:                            ;   in Loop: Header=BB6_10858 Depth=3
	v_mov_b32_e32 v22, 0
	s_mov_b32 s31, exec_lo
	v_cmpx_ne_u32_e32 0, v77
	s_cbranch_execz .LBB6_12162
; %bb.12157:                            ;   in Loop: Header=BB6_10858 Depth=3
	v_bfe_u32 v22, v77, 23, 8
	s_delay_alu instid0(VALU_DEP_1) | instskip(SKIP_1) | instid1(VALU_DEP_2)
	v_sub_nc_u32_e32 v79, 0x78, v22
	v_cmp_gt_u32_e32 vcc_lo, 0x79, v22
	v_dual_cndmask_b32 v79, 0, v79 :: v_dual_and_b32 v78, 0x7fffff, v77
	s_delay_alu instid0(VALU_DEP_1) | instskip(SKIP_2) | instid1(VALU_DEP_4)
	v_or_b32_e32 v88, 0x800000, v78
	v_cmp_eq_u32_e32 vcc_lo, 0, v22
	v_add_nc_u32_e32 v22, 0xffffff89, v22
	v_cndmask_b32_e64 v79, v79, 0x77, vcc_lo
	s_delay_alu instid0(VALU_DEP_4) | instskip(NEXT) | instid1(VALU_DEP_3)
	v_cndmask_b32_e32 v78, v88, v78, vcc_lo
	v_cndmask_b32_e64 v22, v22, 0xffffff8a, vcc_lo
	s_delay_alu instid0(VALU_DEP_3) | instskip(NEXT) | instid1(VALU_DEP_3)
	v_lshl_add_u32 v88, 0x100000, v79, -1
	v_lshrrev_b32_e32 v89, v79, v78
	v_lshlrev_b32_e64 v91, v79, 0x80000
	s_delay_alu instid0(VALU_DEP_4) | instskip(NEXT) | instid1(VALU_DEP_4)
	v_add_nc_u32_e32 v79, v79, v22
	v_and_b32_e32 v78, v88, v78
	s_delay_alu instid0(VALU_DEP_4) | instskip(NEXT) | instid1(VALU_DEP_2)
	v_bfe_u32 v90, v89, 20, 1
	v_cmp_eq_u32_e64 s13, v78, v91
	s_delay_alu instid0(VALU_DEP_2) | instskip(NEXT) | instid1(VALU_DEP_1)
	v_add_nc_u32_e32 v88, -1, v90
	v_cndmask_b32_e64 v78, 0, v88, s13
	v_lshrrev_b32_e32 v88, 23, v89
	s_mov_b32 s13, exec_lo
	s_delay_alu instid0(VALU_DEP_2) | instskip(NEXT) | instid1(VALU_DEP_2)
	v_add_nc_u32_e32 v78, v78, v89
	v_xor_b32_e32 v88, 1, v88
	s_delay_alu instid0(VALU_DEP_2) | instskip(NEXT) | instid1(VALU_DEP_1)
	v_and_b32_e32 v22, 0xfffff, v78
	v_add_nc_u32_e32 v78, v22, v89
                                        ; implicit-def: $vgpr22
	s_delay_alu instid0(VALU_DEP_3)
	v_cmpx_ne_u32_e64 v79, v88
	s_xor_b32 s13, exec_lo, s13
; %bb.12158:                            ;   in Loop: Header=BB6_10858 Depth=3
	s_delay_alu instid0(VALU_DEP_2) | instskip(SKIP_2) | instid1(VALU_DEP_2)
	v_cmp_lt_u32_e32 vcc_lo, 0xffffff, v78
	v_sub_nc_u32_e32 v22, v79, v88
	v_cndmask_b32_e64 v79, 0, 1, vcc_lo
	v_add_co_ci_u32_e32 v22, vcc_lo, 0, v22, vcc_lo
	s_delay_alu instid0(VALU_DEP_2)
	v_lshrrev_b32_e32 v78, v79, v78
; %bb.12159:                            ;   in Loop: Header=BB6_10858 Depth=3
	s_and_not1_saveexec_b32 s13, s13
; %bb.12160:                            ;   in Loop: Header=BB6_10858 Depth=3
	s_delay_alu instid0(VALU_DEP_1)
	v_bfe_u32 v22, v78, 23, 1
; %bb.12161:                            ;   in Loop: Header=BB6_10858 Depth=3
	s_or_b32 exec_lo, exec_lo, s13
	v_lshrrev_b32_e32 v78, 20, v78
	s_delay_alu instid0(VALU_DEP_2) | instskip(SKIP_2) | instid1(VALU_DEP_2)
	v_cmp_gt_i32_e32 vcc_lo, 16, v22
	v_lshrrev_b32_e32 v77, 24, v77
	v_min_i32_e32 v79, 15, v22
	v_dual_cndmask_b32 v78, 7, v78 :: v_dual_and_b32 v77, 0x80, v77
	s_delay_alu instid0(VALU_DEP_1) | instskip(SKIP_1) | instid1(VALU_DEP_2)
	v_or_b32_e32 v22, v22, v78
	v_and_b32_e32 v88, 7, v78
	v_cmp_ne_u32_e32 vcc_lo, 0, v22
	v_lshlrev_b32_e32 v79, 3, v79
	s_delay_alu instid0(VALU_DEP_1) | instskip(NEXT) | instid1(VALU_DEP_1)
	v_or3_b32 v77, v79, v77, v88
	v_cndmask_b32_e32 v22, 0, v77, vcc_lo
.LBB6_12162:                            ;   in Loop: Header=BB6_10858 Depth=3
	s_or_b32 exec_lo, exec_lo, s31
.LBB6_12163:                            ;   in Loop: Header=BB6_10858 Depth=3
	s_delay_alu instid0(SALU_CYCLE_1)
	s_or_b32 exec_lo, exec_lo, s17
	v_lshrrev_b16 v78, 8, v23
	v_lshrrev_b16 v77, 8, v19
	s_and_not1_b32 vcc_lo, exec_lo, s16
	s_cbranch_vccnz .LBB6_12173
; %bb.12164:                            ;   in Loop: Header=BB6_10858 Depth=3
	s_mov_b32 s13, 0
	s_mov_b32 s31, exec_lo
                                        ; implicit-def: $sgpr17
	v_cmpx_lt_i16_e32 0x7f, v78
	s_xor_b32 s31, exec_lo, s31
	s_cbranch_execnz .LBB6_13432
; %bb.12165:                            ;   in Loop: Header=BB6_10858 Depth=3
	s_or_saveexec_b32 s31, s31
	v_mov_b32_e32 v79, s17
	s_xor_b32 exec_lo, exec_lo, s31
	s_cbranch_execnz .LBB6_13435
.LBB6_12166:                            ;   in Loop: Header=BB6_10858 Depth=3
	s_or_b32 exec_lo, exec_lo, s31
	s_and_saveexec_b32 s17, s13
	s_cbranch_execz .LBB6_12168
.LBB6_12167:                            ;   in Loop: Header=BB6_10858 Depth=3
	v_and_b32_e32 v79, 0xffff, v78
	s_delay_alu instid0(VALU_DEP_1) | instskip(NEXT) | instid1(VALU_DEP_1)
	v_and_b32_e32 v88, 7, v79
	v_clz_i32_u32_e32 v89, v88
	s_delay_alu instid0(VALU_DEP_1) | instskip(NEXT) | instid1(VALU_DEP_1)
	v_min_u32_e32 v89, 32, v89
	v_subrev_nc_u32_e32 v90, 28, v89
	v_sub_nc_u32_e32 v89, 29, v89
	s_delay_alu instid0(VALU_DEP_2) | instskip(SKIP_1) | instid1(VALU_DEP_2)
	v_lshlrev_b32_e32 v90, v90, v79
	v_bfe_u32 v79, v79, 3, 4
	v_and_b32_e32 v90, 7, v90
	s_delay_alu instid0(VALU_DEP_2) | instskip(SKIP_1) | instid1(VALU_DEP_3)
	v_cmp_eq_u32_e32 vcc_lo, 0, v79
	v_cndmask_b32_e32 v79, v79, v89, vcc_lo
	v_dual_cndmask_b32 v88, v88, v90 :: v_dual_lshlrev_b32 v91, 16, v23
	s_delay_alu instid0(VALU_DEP_2) | instskip(NEXT) | instid1(VALU_DEP_2)
	v_lshl_add_u32 v79, v79, 23, 0x3b800000
	v_and_b32_e32 v89, 0x80000000, v91
	s_delay_alu instid0(VALU_DEP_3) | instskip(NEXT) | instid1(VALU_DEP_1)
	v_lshlrev_b32_e32 v88, 20, v88
	v_or3_b32 v79, v89, v79, v88
.LBB6_12168:                            ;   in Loop: Header=BB6_10858 Depth=3
	s_or_b32 exec_lo, exec_lo, s17
	s_mov_b32 s13, 0
	s_mov_b32 s31, exec_lo
                                        ; implicit-def: $sgpr17
	v_cmpx_lt_i16_e32 0x7f, v77
	s_xor_b32 s31, exec_lo, s31
	s_cbranch_execnz .LBB6_13436
; %bb.12169:                            ;   in Loop: Header=BB6_10858 Depth=3
	s_or_saveexec_b32 s31, s31
	v_mov_b32_e32 v88, s17
	s_xor_b32 exec_lo, exec_lo, s31
	s_cbranch_execnz .LBB6_13439
.LBB6_12170:                            ;   in Loop: Header=BB6_10858 Depth=3
	s_or_b32 exec_lo, exec_lo, s31
	s_and_saveexec_b32 s17, s13
	s_cbranch_execz .LBB6_12172
.LBB6_12171:                            ;   in Loop: Header=BB6_10858 Depth=3
	v_and_b32_e32 v88, 0xffff, v77
	v_lshlrev_b32_e32 v92, 16, v19
	s_delay_alu instid0(VALU_DEP_2) | instskip(NEXT) | instid1(VALU_DEP_1)
	v_and_b32_e32 v89, 7, v88
	v_clz_i32_u32_e32 v90, v89
	s_delay_alu instid0(VALU_DEP_1) | instskip(NEXT) | instid1(VALU_DEP_1)
	v_min_u32_e32 v90, 32, v90
	v_subrev_nc_u32_e32 v91, 28, v90
	v_sub_nc_u32_e32 v90, 29, v90
	s_delay_alu instid0(VALU_DEP_2) | instskip(SKIP_1) | instid1(VALU_DEP_2)
	v_lshlrev_b32_e32 v91, v91, v88
	v_bfe_u32 v88, v88, 3, 4
	v_and_b32_e32 v91, 7, v91
	s_delay_alu instid0(VALU_DEP_2) | instskip(NEXT) | instid1(VALU_DEP_2)
	v_cmp_eq_u32_e32 vcc_lo, 0, v88
	v_dual_cndmask_b32 v88, v88, v90 :: v_dual_cndmask_b32 v89, v89, v91
	v_and_b32_e32 v90, 0x80000000, v92
	s_delay_alu instid0(VALU_DEP_2) | instskip(NEXT) | instid1(VALU_DEP_3)
	v_lshl_add_u32 v88, v88, 23, 0x3b800000
	v_lshlrev_b32_e32 v89, 20, v89
	s_delay_alu instid0(VALU_DEP_1)
	v_or3_b32 v88, v90, v88, v89
.LBB6_12172:                            ;   in Loop: Header=BB6_10858 Depth=3
	s_or_b32 exec_lo, exec_lo, s17
	s_delay_alu instid0(VALU_DEP_1) | instskip(SKIP_1) | instid1(VALU_DEP_1)
	v_dual_max_f32 v88, v88, v88 :: v_dual_max_f32 v79, v79, v79
	s_mov_b32 s13, 0
	v_max_f32_e32 v79, v79, v88
	s_branch .LBB6_12174
.LBB6_12173:                            ;   in Loop: Header=BB6_10858 Depth=3
	s_mov_b32 s13, -1
                                        ; implicit-def: $vgpr79
.LBB6_12174:                            ;   in Loop: Header=BB6_10858 Depth=3
	s_delay_alu instid0(SALU_CYCLE_1)
	s_and_b32 vcc_lo, exec_lo, s13
	s_cbranch_vccz .LBB6_12184
; %bb.12175:                            ;   in Loop: Header=BB6_10858 Depth=3
	s_mov_b32 s13, 0
	s_mov_b32 s31, exec_lo
                                        ; implicit-def: $sgpr17
	v_cmpx_lt_i16_e32 0x7f, v78
	s_xor_b32 s31, exec_lo, s31
	s_cbranch_execnz .LBB6_13440
; %bb.12176:                            ;   in Loop: Header=BB6_10858 Depth=3
	s_or_saveexec_b32 s31, s31
	v_mov_b32_e32 v79, s17
	s_xor_b32 exec_lo, exec_lo, s31
	s_cbranch_execnz .LBB6_13443
.LBB6_12177:                            ;   in Loop: Header=BB6_10858 Depth=3
	s_or_b32 exec_lo, exec_lo, s31
	s_and_saveexec_b32 s17, s13
	s_cbranch_execz .LBB6_12179
.LBB6_12178:                            ;   in Loop: Header=BB6_10858 Depth=3
	v_and_b32_e32 v78, 0xffff, v78
	v_lshlrev_b32_e32 v90, 16, v23
	s_delay_alu instid0(VALU_DEP_2) | instskip(NEXT) | instid1(VALU_DEP_1)
	v_and_b32_e32 v79, 7, v78
	v_clz_i32_u32_e32 v88, v79
	s_delay_alu instid0(VALU_DEP_1) | instskip(NEXT) | instid1(VALU_DEP_1)
	v_min_u32_e32 v88, 32, v88
	v_subrev_nc_u32_e32 v89, 28, v88
	v_sub_nc_u32_e32 v88, 29, v88
	s_delay_alu instid0(VALU_DEP_2) | instskip(SKIP_1) | instid1(VALU_DEP_2)
	v_lshlrev_b32_e32 v89, v89, v78
	v_bfe_u32 v78, v78, 3, 4
	v_and_b32_e32 v89, 7, v89
	s_delay_alu instid0(VALU_DEP_2) | instskip(NEXT) | instid1(VALU_DEP_2)
	v_cmp_eq_u32_e32 vcc_lo, 0, v78
	v_dual_cndmask_b32 v78, v78, v88 :: v_dual_cndmask_b32 v79, v79, v89
	v_and_b32_e32 v88, 0x80000000, v90
	s_delay_alu instid0(VALU_DEP_2) | instskip(NEXT) | instid1(VALU_DEP_3)
	v_lshl_add_u32 v78, v78, 23, 0x3b800000
	v_lshlrev_b32_e32 v79, 20, v79
	s_delay_alu instid0(VALU_DEP_1)
	v_or3_b32 v79, v88, v78, v79
.LBB6_12179:                            ;   in Loop: Header=BB6_10858 Depth=3
	s_or_b32 exec_lo, exec_lo, s17
	s_mov_b32 s13, 0
	s_mov_b32 s31, exec_lo
                                        ; implicit-def: $sgpr17
	v_cmpx_lt_i16_e32 0x7f, v77
	s_xor_b32 s31, exec_lo, s31
	s_cbranch_execnz .LBB6_13444
; %bb.12180:                            ;   in Loop: Header=BB6_10858 Depth=3
	s_or_saveexec_b32 s31, s31
	v_mov_b32_e32 v78, s17
	s_xor_b32 exec_lo, exec_lo, s31
	s_cbranch_execnz .LBB6_13447
.LBB6_12181:                            ;   in Loop: Header=BB6_10858 Depth=3
	s_or_b32 exec_lo, exec_lo, s31
	s_and_saveexec_b32 s17, s13
	s_cbranch_execz .LBB6_12183
.LBB6_12182:                            ;   in Loop: Header=BB6_10858 Depth=3
	v_and_b32_e32 v77, 0xffff, v77
	v_lshlrev_b32_e32 v90, 16, v19
	s_delay_alu instid0(VALU_DEP_2) | instskip(NEXT) | instid1(VALU_DEP_1)
	v_and_b32_e32 v78, 7, v77
	v_clz_i32_u32_e32 v88, v78
	s_delay_alu instid0(VALU_DEP_1) | instskip(NEXT) | instid1(VALU_DEP_1)
	v_min_u32_e32 v88, 32, v88
	v_subrev_nc_u32_e32 v89, 28, v88
	v_sub_nc_u32_e32 v88, 29, v88
	s_delay_alu instid0(VALU_DEP_2) | instskip(SKIP_1) | instid1(VALU_DEP_2)
	v_lshlrev_b32_e32 v89, v89, v77
	v_bfe_u32 v77, v77, 3, 4
	v_and_b32_e32 v89, 7, v89
	s_delay_alu instid0(VALU_DEP_2) | instskip(NEXT) | instid1(VALU_DEP_2)
	v_cmp_eq_u32_e32 vcc_lo, 0, v77
	v_dual_cndmask_b32 v77, v77, v88 :: v_dual_cndmask_b32 v78, v78, v89
	v_and_b32_e32 v88, 0x80000000, v90
	s_delay_alu instid0(VALU_DEP_2) | instskip(NEXT) | instid1(VALU_DEP_3)
	v_lshl_add_u32 v77, v77, 23, 0x3b800000
	v_lshlrev_b32_e32 v78, 20, v78
	s_delay_alu instid0(VALU_DEP_1)
	v_or3_b32 v78, v88, v77, v78
.LBB6_12183:                            ;   in Loop: Header=BB6_10858 Depth=3
	s_or_b32 exec_lo, exec_lo, s17
	s_delay_alu instid0(VALU_DEP_1) | instskip(NEXT) | instid1(VALU_DEP_1)
	v_dual_max_f32 v77, v78, v78 :: v_dual_max_f32 v78, v79, v79
	v_min_f32_e32 v79, v78, v77
.LBB6_12184:                            ;   in Loop: Header=BB6_10858 Depth=3
	s_delay_alu instid0(VALU_DEP_1) | instskip(NEXT) | instid1(VALU_DEP_1)
	v_and_b32_e32 v77, 0x7f800000, v79
	v_cmp_ne_u32_e32 vcc_lo, 0x7f800000, v77
	v_mov_b32_e32 v77, 0x80
	s_and_saveexec_b32 s17, vcc_lo
	s_cbranch_execz .LBB6_12192
; %bb.12185:                            ;   in Loop: Header=BB6_10858 Depth=3
	v_mov_b32_e32 v77, 0
	s_mov_b32 s31, exec_lo
	v_cmpx_ne_u32_e32 0, v79
	s_cbranch_execz .LBB6_12191
; %bb.12186:                            ;   in Loop: Header=BB6_10858 Depth=3
	v_bfe_u32 v77, v79, 23, 8
	v_and_b32_e32 v78, 0x7fffff, v79
	s_delay_alu instid0(VALU_DEP_2) | instskip(SKIP_1) | instid1(VALU_DEP_3)
	v_sub_nc_u32_e32 v88, 0x78, v77
	v_cmp_gt_u32_e32 vcc_lo, 0x79, v77
	v_or_b32_e32 v89, 0x800000, v78
	s_delay_alu instid0(VALU_DEP_3) | instskip(SKIP_2) | instid1(VALU_DEP_3)
	v_cndmask_b32_e32 v88, 0, v88, vcc_lo
	v_cmp_eq_u32_e32 vcc_lo, 0, v77
	v_add_nc_u32_e32 v77, 0xffffff89, v77
	v_cndmask_b32_e64 v88, v88, 0x77, vcc_lo
	v_cndmask_b32_e32 v78, v89, v78, vcc_lo
	s_delay_alu instid0(VALU_DEP_3) | instskip(NEXT) | instid1(VALU_DEP_3)
	v_cndmask_b32_e64 v77, v77, 0xffffff8a, vcc_lo
	v_lshl_add_u32 v89, 0x100000, v88, -1
	s_delay_alu instid0(VALU_DEP_3) | instskip(SKIP_1) | instid1(VALU_DEP_4)
	v_lshrrev_b32_e32 v90, v88, v78
	v_lshlrev_b32_e64 v92, v88, 0x80000
	v_add_nc_u32_e32 v88, v88, v77
	s_delay_alu instid0(VALU_DEP_4) | instskip(NEXT) | instid1(VALU_DEP_4)
	v_and_b32_e32 v78, v89, v78
	v_bfe_u32 v91, v90, 20, 1
	s_delay_alu instid0(VALU_DEP_2) | instskip(NEXT) | instid1(VALU_DEP_2)
	v_cmp_eq_u32_e64 s13, v78, v92
	v_add_nc_u32_e32 v89, -1, v91
	s_delay_alu instid0(VALU_DEP_1) | instskip(SKIP_2) | instid1(VALU_DEP_2)
	v_cndmask_b32_e64 v78, 0, v89, s13
	v_lshrrev_b32_e32 v89, 23, v90
	s_mov_b32 s13, exec_lo
	v_add_nc_u32_e32 v78, v78, v90
	s_delay_alu instid0(VALU_DEP_2) | instskip(NEXT) | instid1(VALU_DEP_2)
	v_xor_b32_e32 v89, 1, v89
	v_and_b32_e32 v77, 0xfffff, v78
	s_delay_alu instid0(VALU_DEP_1) | instskip(NEXT) | instid1(VALU_DEP_3)
	v_add_nc_u32_e32 v78, v77, v90
                                        ; implicit-def: $vgpr77
	v_cmpx_ne_u32_e64 v88, v89
	s_xor_b32 s13, exec_lo, s13
; %bb.12187:                            ;   in Loop: Header=BB6_10858 Depth=3
	s_delay_alu instid0(VALU_DEP_2) | instskip(SKIP_2) | instid1(VALU_DEP_2)
	v_cmp_lt_u32_e32 vcc_lo, 0xffffff, v78
	v_sub_nc_u32_e32 v77, v88, v89
	v_cndmask_b32_e64 v88, 0, 1, vcc_lo
	v_add_co_ci_u32_e32 v77, vcc_lo, 0, v77, vcc_lo
	s_delay_alu instid0(VALU_DEP_2)
	v_lshrrev_b32_e32 v78, v88, v78
; %bb.12188:                            ;   in Loop: Header=BB6_10858 Depth=3
	s_and_not1_saveexec_b32 s13, s13
; %bb.12189:                            ;   in Loop: Header=BB6_10858 Depth=3
	s_delay_alu instid0(VALU_DEP_1)
	v_bfe_u32 v77, v78, 23, 1
; %bb.12190:                            ;   in Loop: Header=BB6_10858 Depth=3
	s_or_b32 exec_lo, exec_lo, s13
	v_lshrrev_b32_e32 v78, 20, v78
	s_delay_alu instid0(VALU_DEP_2) | instskip(SKIP_2) | instid1(VALU_DEP_2)
	v_cmp_gt_i32_e32 vcc_lo, 16, v77
	v_lshrrev_b32_e32 v79, 24, v79
	v_min_i32_e32 v88, 15, v77
	v_dual_cndmask_b32 v78, 7, v78 :: v_dual_and_b32 v79, 0x80, v79
	s_delay_alu instid0(VALU_DEP_1) | instskip(SKIP_1) | instid1(VALU_DEP_2)
	v_or_b32_e32 v77, v77, v78
	v_and_b32_e32 v89, 7, v78
	v_cmp_ne_u32_e32 vcc_lo, 0, v77
	v_lshlrev_b32_e32 v88, 3, v88
	s_delay_alu instid0(VALU_DEP_1) | instskip(NEXT) | instid1(VALU_DEP_1)
	v_or3_b32 v78, v88, v79, v89
	v_cndmask_b32_e32 v77, 0, v78, vcc_lo
.LBB6_12191:                            ;   in Loop: Header=BB6_10858 Depth=3
	s_or_b32 exec_lo, exec_lo, s31
.LBB6_12192:                            ;   in Loop: Header=BB6_10858 Depth=3
	s_delay_alu instid0(SALU_CYCLE_1)
	s_or_b32 exec_lo, exec_lo, s17
	v_lshrrev_b32_e32 v79, 16, v23
	v_lshrrev_b32_e32 v78, 16, v19
	s_and_not1_b32 vcc_lo, exec_lo, s16
	s_cbranch_vccnz .LBB6_12202
; %bb.12193:                            ;   in Loop: Header=BB6_10858 Depth=3
	s_delay_alu instid0(VALU_DEP_2) | instskip(SKIP_2) | instid1(VALU_DEP_1)
	v_and_b32_e32 v89, 0xff, v79
	s_mov_b32 s13, 0
	s_mov_b32 s31, exec_lo
                                        ; implicit-def: $sgpr17
	v_cmpx_lt_i16_e32 0x7f, v89
	s_xor_b32 s31, exec_lo, s31
	s_cbranch_execnz .LBB6_13448
; %bb.12194:                            ;   in Loop: Header=BB6_10858 Depth=3
	s_or_saveexec_b32 s31, s31
	v_mov_b32_e32 v88, s17
	s_xor_b32 exec_lo, exec_lo, s31
	s_cbranch_execnz .LBB6_13451
.LBB6_12195:                            ;   in Loop: Header=BB6_10858 Depth=3
	s_or_b32 exec_lo, exec_lo, s31
	s_and_saveexec_b32 s17, s13
	s_cbranch_execz .LBB6_12197
.LBB6_12196:                            ;   in Loop: Header=BB6_10858 Depth=3
	v_bfe_u32 v88, v23, 16, 3
	v_bfe_u32 v91, v23, 19, 4
	v_lshlrev_b32_e32 v92, 24, v79
	s_delay_alu instid0(VALU_DEP_3) | instskip(NEXT) | instid1(VALU_DEP_3)
	v_clz_i32_u32_e32 v89, v88
	v_cmp_eq_u32_e32 vcc_lo, 0, v91
	s_delay_alu instid0(VALU_DEP_2) | instskip(NEXT) | instid1(VALU_DEP_1)
	v_min_u32_e32 v89, 32, v89
	v_subrev_nc_u32_e32 v90, 28, v89
	v_sub_nc_u32_e32 v89, 29, v89
	s_delay_alu instid0(VALU_DEP_1) | instskip(NEXT) | instid1(VALU_DEP_1)
	v_dual_cndmask_b32 v89, v91, v89 :: v_dual_lshlrev_b32 v90, v90, v79
	v_and_b32_e32 v90, 7, v90
	s_delay_alu instid0(VALU_DEP_2) | instskip(NEXT) | instid1(VALU_DEP_2)
	v_lshl_add_u32 v89, v89, 23, 0x3b800000
	v_cndmask_b32_e32 v88, v88, v90, vcc_lo
	v_and_b32_e32 v90, 0x80000000, v92
	s_delay_alu instid0(VALU_DEP_2) | instskip(NEXT) | instid1(VALU_DEP_1)
	v_lshlrev_b32_e32 v88, 20, v88
	v_or3_b32 v88, v90, v89, v88
.LBB6_12197:                            ;   in Loop: Header=BB6_10858 Depth=3
	s_or_b32 exec_lo, exec_lo, s17
	v_and_b32_e32 v90, 0xff, v78
	s_mov_b32 s13, 0
	s_mov_b32 s31, exec_lo
                                        ; implicit-def: $sgpr17
	s_delay_alu instid0(VALU_DEP_1)
	v_cmpx_lt_i16_e32 0x7f, v90
	s_xor_b32 s31, exec_lo, s31
	s_cbranch_execnz .LBB6_13452
; %bb.12198:                            ;   in Loop: Header=BB6_10858 Depth=3
	s_or_saveexec_b32 s31, s31
	v_mov_b32_e32 v89, s17
	s_xor_b32 exec_lo, exec_lo, s31
	s_cbranch_execnz .LBB6_13455
.LBB6_12199:                            ;   in Loop: Header=BB6_10858 Depth=3
	s_or_b32 exec_lo, exec_lo, s31
	s_and_saveexec_b32 s17, s13
	s_cbranch_execz .LBB6_12201
.LBB6_12200:                            ;   in Loop: Header=BB6_10858 Depth=3
	v_bfe_u32 v89, v19, 16, 3
	v_bfe_u32 v92, v19, 19, 4
	v_lshlrev_b32_e32 v93, 24, v78
	s_delay_alu instid0(VALU_DEP_3) | instskip(NEXT) | instid1(VALU_DEP_3)
	v_clz_i32_u32_e32 v90, v89
	v_cmp_eq_u32_e32 vcc_lo, 0, v92
	s_delay_alu instid0(VALU_DEP_2) | instskip(NEXT) | instid1(VALU_DEP_1)
	v_min_u32_e32 v90, 32, v90
	v_subrev_nc_u32_e32 v91, 28, v90
	v_sub_nc_u32_e32 v90, 29, v90
	s_delay_alu instid0(VALU_DEP_2) | instskip(NEXT) | instid1(VALU_DEP_1)
	v_lshlrev_b32_e32 v91, v91, v78
	v_dual_cndmask_b32 v90, v92, v90 :: v_dual_and_b32 v91, 7, v91
	s_delay_alu instid0(VALU_DEP_1) | instskip(NEXT) | instid1(VALU_DEP_2)
	v_lshl_add_u32 v90, v90, 23, 0x3b800000
	v_cndmask_b32_e32 v89, v89, v91, vcc_lo
	v_and_b32_e32 v91, 0x80000000, v93
	s_delay_alu instid0(VALU_DEP_2) | instskip(NEXT) | instid1(VALU_DEP_1)
	v_lshlrev_b32_e32 v89, 20, v89
	v_or3_b32 v89, v91, v90, v89
.LBB6_12201:                            ;   in Loop: Header=BB6_10858 Depth=3
	s_or_b32 exec_lo, exec_lo, s17
	s_delay_alu instid0(VALU_DEP_1) | instskip(SKIP_1) | instid1(VALU_DEP_1)
	v_dual_max_f32 v89, v89, v89 :: v_dual_max_f32 v88, v88, v88
	s_mov_b32 s13, 0
	v_max_f32_e32 v88, v88, v89
	s_branch .LBB6_12203
.LBB6_12202:                            ;   in Loop: Header=BB6_10858 Depth=3
	s_mov_b32 s13, -1
                                        ; implicit-def: $vgpr88
.LBB6_12203:                            ;   in Loop: Header=BB6_10858 Depth=3
	s_delay_alu instid0(SALU_CYCLE_1)
	s_and_b32 vcc_lo, exec_lo, s13
	s_cbranch_vccz .LBB6_12213
; %bb.12204:                            ;   in Loop: Header=BB6_10858 Depth=3
	v_and_b32_e32 v89, 0xff, v79
	s_mov_b32 s13, 0
	s_mov_b32 s31, exec_lo
                                        ; implicit-def: $sgpr17
	s_delay_alu instid0(VALU_DEP_1)
	v_cmpx_lt_i16_e32 0x7f, v89
	s_xor_b32 s31, exec_lo, s31
	s_cbranch_execnz .LBB6_13456
; %bb.12205:                            ;   in Loop: Header=BB6_10858 Depth=3
	s_or_saveexec_b32 s31, s31
	v_mov_b32_e32 v88, s17
	s_xor_b32 exec_lo, exec_lo, s31
	s_cbranch_execnz .LBB6_13459
.LBB6_12206:                            ;   in Loop: Header=BB6_10858 Depth=3
	s_or_b32 exec_lo, exec_lo, s31
	s_and_saveexec_b32 s17, s13
	s_cbranch_execz .LBB6_12208
.LBB6_12207:                            ;   in Loop: Header=BB6_10858 Depth=3
	v_bfe_u32 v88, v23, 16, 3
	v_bfe_u32 v91, v23, 19, 4
	s_delay_alu instid0(VALU_DEP_2) | instskip(NEXT) | instid1(VALU_DEP_2)
	v_clz_i32_u32_e32 v89, v88
	v_cmp_eq_u32_e32 vcc_lo, 0, v91
	s_delay_alu instid0(VALU_DEP_2) | instskip(NEXT) | instid1(VALU_DEP_1)
	v_min_u32_e32 v89, 32, v89
	v_subrev_nc_u32_e32 v90, 28, v89
	v_sub_nc_u32_e32 v89, 29, v89
	s_delay_alu instid0(VALU_DEP_1) | instskip(NEXT) | instid1(VALU_DEP_1)
	v_dual_cndmask_b32 v89, v91, v89 :: v_dual_lshlrev_b32 v90, v90, v79
	v_and_b32_e32 v90, 7, v90
	v_lshlrev_b32_e32 v79, 24, v79
	s_delay_alu instid0(VALU_DEP_3) | instskip(NEXT) | instid1(VALU_DEP_2)
	v_lshl_add_u32 v89, v89, 23, 0x3b800000
	v_dual_cndmask_b32 v88, v88, v90 :: v_dual_and_b32 v79, 0x80000000, v79
	s_delay_alu instid0(VALU_DEP_1) | instskip(NEXT) | instid1(VALU_DEP_1)
	v_lshlrev_b32_e32 v88, 20, v88
	v_or3_b32 v88, v79, v89, v88
.LBB6_12208:                            ;   in Loop: Header=BB6_10858 Depth=3
	s_or_b32 exec_lo, exec_lo, s17
	v_and_b32_e32 v89, 0xff, v78
	s_mov_b32 s13, 0
	s_mov_b32 s31, exec_lo
                                        ; implicit-def: $sgpr17
	s_delay_alu instid0(VALU_DEP_1)
	v_cmpx_lt_i16_e32 0x7f, v89
	s_xor_b32 s31, exec_lo, s31
	s_cbranch_execnz .LBB6_13460
; %bb.12209:                            ;   in Loop: Header=BB6_10858 Depth=3
	s_or_saveexec_b32 s31, s31
	v_mov_b32_e32 v79, s17
	s_xor_b32 exec_lo, exec_lo, s31
	s_cbranch_execnz .LBB6_13463
.LBB6_12210:                            ;   in Loop: Header=BB6_10858 Depth=3
	s_or_b32 exec_lo, exec_lo, s31
	s_and_saveexec_b32 s17, s13
	s_cbranch_execz .LBB6_12212
.LBB6_12211:                            ;   in Loop: Header=BB6_10858 Depth=3
	v_bfe_u32 v79, v19, 16, 3
	v_bfe_u32 v91, v19, 19, 4
	s_delay_alu instid0(VALU_DEP_2) | instskip(NEXT) | instid1(VALU_DEP_2)
	v_clz_i32_u32_e32 v89, v79
	v_cmp_eq_u32_e32 vcc_lo, 0, v91
	s_delay_alu instid0(VALU_DEP_2) | instskip(NEXT) | instid1(VALU_DEP_1)
	v_min_u32_e32 v89, 32, v89
	v_subrev_nc_u32_e32 v90, 28, v89
	v_sub_nc_u32_e32 v89, 29, v89
	s_delay_alu instid0(VALU_DEP_1) | instskip(SKIP_1) | instid1(VALU_DEP_2)
	v_dual_cndmask_b32 v89, v91, v89 :: v_dual_lshlrev_b32 v90, v90, v78
	v_lshlrev_b32_e32 v78, 24, v78
	v_and_b32_e32 v90, 7, v90
	s_delay_alu instid0(VALU_DEP_3) | instskip(NEXT) | instid1(VALU_DEP_3)
	v_lshl_add_u32 v89, v89, 23, 0x3b800000
	v_and_b32_e32 v78, 0x80000000, v78
	s_delay_alu instid0(VALU_DEP_3) | instskip(NEXT) | instid1(VALU_DEP_1)
	v_cndmask_b32_e32 v79, v79, v90, vcc_lo
	v_lshlrev_b32_e32 v79, 20, v79
	s_delay_alu instid0(VALU_DEP_1)
	v_or3_b32 v79, v78, v89, v79
.LBB6_12212:                            ;   in Loop: Header=BB6_10858 Depth=3
	s_or_b32 exec_lo, exec_lo, s17
	s_delay_alu instid0(VALU_DEP_1) | instskip(NEXT) | instid1(VALU_DEP_1)
	v_dual_max_f32 v78, v79, v79 :: v_dual_max_f32 v79, v88, v88
	v_min_f32_e32 v88, v79, v78
.LBB6_12213:                            ;   in Loop: Header=BB6_10858 Depth=3
	s_delay_alu instid0(VALU_DEP_1) | instskip(NEXT) | instid1(VALU_DEP_1)
	v_and_b32_e32 v78, 0x7f800000, v88
	v_cmp_ne_u32_e32 vcc_lo, 0x7f800000, v78
	v_mov_b32_e32 v78, 0x80
	s_and_saveexec_b32 s17, vcc_lo
	s_cbranch_execz .LBB6_12221
; %bb.12214:                            ;   in Loop: Header=BB6_10858 Depth=3
	v_mov_b32_e32 v78, 0
	s_mov_b32 s31, exec_lo
	v_cmpx_ne_u32_e32 0, v88
	s_cbranch_execz .LBB6_12220
; %bb.12215:                            ;   in Loop: Header=BB6_10858 Depth=3
	v_bfe_u32 v78, v88, 23, 8
	v_and_b32_e32 v79, 0x7fffff, v88
	s_delay_alu instid0(VALU_DEP_2) | instskip(SKIP_1) | instid1(VALU_DEP_3)
	v_sub_nc_u32_e32 v89, 0x78, v78
	v_cmp_gt_u32_e32 vcc_lo, 0x79, v78
	v_or_b32_e32 v90, 0x800000, v79
	s_delay_alu instid0(VALU_DEP_3) | instskip(SKIP_2) | instid1(VALU_DEP_3)
	v_cndmask_b32_e32 v89, 0, v89, vcc_lo
	v_cmp_eq_u32_e32 vcc_lo, 0, v78
	v_add_nc_u32_e32 v78, 0xffffff89, v78
	v_cndmask_b32_e64 v89, v89, 0x77, vcc_lo
	v_cndmask_b32_e32 v79, v90, v79, vcc_lo
	s_delay_alu instid0(VALU_DEP_3) | instskip(NEXT) | instid1(VALU_DEP_3)
	v_cndmask_b32_e64 v78, v78, 0xffffff8a, vcc_lo
	v_lshl_add_u32 v90, 0x100000, v89, -1
	s_delay_alu instid0(VALU_DEP_3) | instskip(SKIP_1) | instid1(VALU_DEP_4)
	v_lshrrev_b32_e32 v91, v89, v79
	v_lshlrev_b32_e64 v93, v89, 0x80000
	v_add_nc_u32_e32 v89, v89, v78
	s_delay_alu instid0(VALU_DEP_4) | instskip(NEXT) | instid1(VALU_DEP_4)
	v_and_b32_e32 v79, v90, v79
	v_bfe_u32 v92, v91, 20, 1
	s_delay_alu instid0(VALU_DEP_2) | instskip(NEXT) | instid1(VALU_DEP_2)
	v_cmp_eq_u32_e64 s13, v79, v93
	v_add_nc_u32_e32 v90, -1, v92
	s_delay_alu instid0(VALU_DEP_1) | instskip(SKIP_2) | instid1(VALU_DEP_2)
	v_cndmask_b32_e64 v79, 0, v90, s13
	v_lshrrev_b32_e32 v90, 23, v91
	s_mov_b32 s13, exec_lo
	v_add_nc_u32_e32 v79, v79, v91
	s_delay_alu instid0(VALU_DEP_2) | instskip(NEXT) | instid1(VALU_DEP_2)
	v_xor_b32_e32 v90, 1, v90
	v_and_b32_e32 v78, 0xfffff, v79
	s_delay_alu instid0(VALU_DEP_1) | instskip(NEXT) | instid1(VALU_DEP_3)
	v_add_nc_u32_e32 v79, v78, v91
                                        ; implicit-def: $vgpr78
	v_cmpx_ne_u32_e64 v89, v90
	s_xor_b32 s13, exec_lo, s13
; %bb.12216:                            ;   in Loop: Header=BB6_10858 Depth=3
	s_delay_alu instid0(VALU_DEP_2) | instskip(SKIP_2) | instid1(VALU_DEP_2)
	v_cmp_lt_u32_e32 vcc_lo, 0xffffff, v79
	v_sub_nc_u32_e32 v78, v89, v90
	v_cndmask_b32_e64 v89, 0, 1, vcc_lo
	v_add_co_ci_u32_e32 v78, vcc_lo, 0, v78, vcc_lo
	s_delay_alu instid0(VALU_DEP_2)
	v_lshrrev_b32_e32 v79, v89, v79
; %bb.12217:                            ;   in Loop: Header=BB6_10858 Depth=3
	s_and_not1_saveexec_b32 s13, s13
; %bb.12218:                            ;   in Loop: Header=BB6_10858 Depth=3
	s_delay_alu instid0(VALU_DEP_1)
	v_bfe_u32 v78, v79, 23, 1
; %bb.12219:                            ;   in Loop: Header=BB6_10858 Depth=3
	s_or_b32 exec_lo, exec_lo, s13
	v_lshrrev_b32_e32 v79, 20, v79
	s_delay_alu instid0(VALU_DEP_2) | instskip(SKIP_2) | instid1(VALU_DEP_2)
	v_cmp_gt_i32_e32 vcc_lo, 16, v78
	v_lshrrev_b32_e32 v88, 24, v88
	v_min_i32_e32 v89, 15, v78
	v_dual_cndmask_b32 v79, 7, v79 :: v_dual_and_b32 v88, 0x80, v88
	s_delay_alu instid0(VALU_DEP_1) | instskip(SKIP_1) | instid1(VALU_DEP_2)
	v_or_b32_e32 v78, v78, v79
	v_and_b32_e32 v90, 7, v79
	v_cmp_ne_u32_e32 vcc_lo, 0, v78
	v_lshlrev_b32_e32 v89, 3, v89
	s_delay_alu instid0(VALU_DEP_1) | instskip(NEXT) | instid1(VALU_DEP_1)
	v_and_b32_e32 v89, 0xf8, v89
	v_or3_b32 v79, v89, v88, v90
	s_delay_alu instid0(VALU_DEP_1)
	v_cndmask_b32_e32 v78, 0, v79, vcc_lo
.LBB6_12220:                            ;   in Loop: Header=BB6_10858 Depth=3
	s_or_b32 exec_lo, exec_lo, s31
.LBB6_12221:                            ;   in Loop: Header=BB6_10858 Depth=3
	s_delay_alu instid0(SALU_CYCLE_1)
	s_or_b32 exec_lo, exec_lo, s17
	v_lshrrev_b32_e32 v88, 24, v23
	v_lshrrev_b32_e32 v79, 24, v19
	s_and_not1_b32 vcc_lo, exec_lo, s16
	s_cbranch_vccnz .LBB6_12231
; %bb.12222:                            ;   in Loop: Header=BB6_10858 Depth=3
	s_mov_b32 s13, 0
	s_mov_b32 s31, exec_lo
                                        ; implicit-def: $sgpr17
	v_cmpx_lt_i16_e32 0x7f, v88
	s_xor_b32 s31, exec_lo, s31
	s_cbranch_execnz .LBB6_13464
; %bb.12223:                            ;   in Loop: Header=BB6_10858 Depth=3
	s_or_saveexec_b32 s31, s31
	v_mov_b32_e32 v89, s17
	s_xor_b32 exec_lo, exec_lo, s31
	s_cbranch_execnz .LBB6_13467
.LBB6_12224:                            ;   in Loop: Header=BB6_10858 Depth=3
	s_or_b32 exec_lo, exec_lo, s31
	s_and_saveexec_b32 s17, s13
	s_cbranch_execz .LBB6_12226
.LBB6_12225:                            ;   in Loop: Header=BB6_10858 Depth=3
	v_bfe_u32 v89, v23, 24, 3
	v_bfe_u32 v92, v23, 27, 4
	s_delay_alu instid0(VALU_DEP_2) | instskip(NEXT) | instid1(VALU_DEP_2)
	v_clz_i32_u32_e32 v90, v89
	v_cmp_eq_u32_e32 vcc_lo, 0, v92
	s_delay_alu instid0(VALU_DEP_2) | instskip(NEXT) | instid1(VALU_DEP_1)
	v_min_u32_e32 v90, 32, v90
	v_subrev_nc_u32_e32 v91, 28, v90
	v_sub_nc_u32_e32 v90, 29, v90
	s_delay_alu instid0(VALU_DEP_1) | instskip(NEXT) | instid1(VALU_DEP_1)
	v_dual_cndmask_b32 v90, v92, v90 :: v_dual_lshlrev_b32 v91, v91, v88
	v_and_b32_e32 v91, 7, v91
	s_delay_alu instid0(VALU_DEP_2) | instskip(NEXT) | instid1(VALU_DEP_2)
	v_lshl_add_u32 v90, v90, 23, 0x3b800000
	v_cndmask_b32_e32 v89, v89, v91, vcc_lo
	v_and_b32_e32 v91, 0x80000000, v23
	s_delay_alu instid0(VALU_DEP_2) | instskip(NEXT) | instid1(VALU_DEP_1)
	v_lshlrev_b32_e32 v89, 20, v89
	v_or3_b32 v89, v91, v90, v89
.LBB6_12226:                            ;   in Loop: Header=BB6_10858 Depth=3
	s_or_b32 exec_lo, exec_lo, s17
	s_mov_b32 s13, 0
	s_mov_b32 s31, exec_lo
                                        ; implicit-def: $sgpr17
	v_cmpx_lt_i16_e32 0x7f, v79
	s_xor_b32 s31, exec_lo, s31
	s_cbranch_execnz .LBB6_13468
; %bb.12227:                            ;   in Loop: Header=BB6_10858 Depth=3
	s_or_saveexec_b32 s31, s31
	v_mov_b32_e32 v90, s17
	s_xor_b32 exec_lo, exec_lo, s31
	s_cbranch_execnz .LBB6_13471
.LBB6_12228:                            ;   in Loop: Header=BB6_10858 Depth=3
	s_or_b32 exec_lo, exec_lo, s31
	s_and_saveexec_b32 s17, s13
	s_cbranch_execz .LBB6_12230
.LBB6_12229:                            ;   in Loop: Header=BB6_10858 Depth=3
	v_bfe_u32 v90, v19, 24, 3
	v_bfe_u32 v93, v19, 27, 4
	s_delay_alu instid0(VALU_DEP_2) | instskip(NEXT) | instid1(VALU_DEP_2)
	v_clz_i32_u32_e32 v91, v90
	v_cmp_eq_u32_e32 vcc_lo, 0, v93
	s_delay_alu instid0(VALU_DEP_2) | instskip(NEXT) | instid1(VALU_DEP_1)
	v_min_u32_e32 v91, 32, v91
	v_subrev_nc_u32_e32 v92, 28, v91
	v_sub_nc_u32_e32 v91, 29, v91
	s_delay_alu instid0(VALU_DEP_2) | instskip(NEXT) | instid1(VALU_DEP_1)
	v_lshlrev_b32_e32 v92, v92, v79
	v_dual_cndmask_b32 v91, v93, v91 :: v_dual_and_b32 v92, 7, v92
	s_delay_alu instid0(VALU_DEP_1) | instskip(NEXT) | instid1(VALU_DEP_2)
	v_lshl_add_u32 v91, v91, 23, 0x3b800000
	v_cndmask_b32_e32 v90, v90, v92, vcc_lo
	v_and_b32_e32 v92, 0x80000000, v19
	s_delay_alu instid0(VALU_DEP_2) | instskip(NEXT) | instid1(VALU_DEP_1)
	v_lshlrev_b32_e32 v90, 20, v90
	v_or3_b32 v90, v92, v91, v90
.LBB6_12230:                            ;   in Loop: Header=BB6_10858 Depth=3
	s_or_b32 exec_lo, exec_lo, s17
	s_delay_alu instid0(VALU_DEP_1) | instskip(SKIP_1) | instid1(VALU_DEP_1)
	v_dual_max_f32 v90, v90, v90 :: v_dual_max_f32 v89, v89, v89
	s_mov_b32 s13, 0
	v_max_f32_e32 v89, v89, v90
	s_branch .LBB6_12232
.LBB6_12231:                            ;   in Loop: Header=BB6_10858 Depth=3
	s_mov_b32 s13, -1
                                        ; implicit-def: $vgpr89
.LBB6_12232:                            ;   in Loop: Header=BB6_10858 Depth=3
	s_delay_alu instid0(SALU_CYCLE_1)
	s_and_b32 vcc_lo, exec_lo, s13
	s_cbranch_vccz .LBB6_12242
; %bb.12233:                            ;   in Loop: Header=BB6_10858 Depth=3
	s_mov_b32 s13, 0
	s_mov_b32 s31, exec_lo
                                        ; implicit-def: $sgpr17
	v_cmpx_lt_i16_e32 0x7f, v88
	s_xor_b32 s31, exec_lo, s31
	s_cbranch_execnz .LBB6_13472
; %bb.12234:                            ;   in Loop: Header=BB6_10858 Depth=3
	s_or_saveexec_b32 s31, s31
	v_mov_b32_e32 v89, s17
	s_xor_b32 exec_lo, exec_lo, s31
	s_cbranch_execnz .LBB6_13475
.LBB6_12235:                            ;   in Loop: Header=BB6_10858 Depth=3
	s_or_b32 exec_lo, exec_lo, s31
	s_and_saveexec_b32 s17, s13
	s_cbranch_execz .LBB6_12237
.LBB6_12236:                            ;   in Loop: Header=BB6_10858 Depth=3
	v_bfe_u32 v89, v23, 24, 3
	s_delay_alu instid0(VALU_DEP_1) | instskip(NEXT) | instid1(VALU_DEP_1)
	v_clz_i32_u32_e32 v90, v89
	v_min_u32_e32 v90, 32, v90
	s_delay_alu instid0(VALU_DEP_1) | instskip(SKIP_1) | instid1(VALU_DEP_2)
	v_subrev_nc_u32_e32 v91, 28, v90
	v_sub_nc_u32_e32 v90, 29, v90
	v_lshlrev_b32_e32 v88, v91, v88
	v_bfe_u32 v91, v23, 27, 4
	v_and_b32_e32 v23, 0x80000000, v23
	s_delay_alu instid0(VALU_DEP_3) | instskip(NEXT) | instid1(VALU_DEP_3)
	v_and_b32_e32 v88, 7, v88
	v_cmp_eq_u32_e32 vcc_lo, 0, v91
	v_cndmask_b32_e32 v90, v91, v90, vcc_lo
	s_delay_alu instid0(VALU_DEP_3) | instskip(NEXT) | instid1(VALU_DEP_2)
	v_cndmask_b32_e32 v88, v89, v88, vcc_lo
	v_lshl_add_u32 v89, v90, 23, 0x3b800000
	s_delay_alu instid0(VALU_DEP_2) | instskip(NEXT) | instid1(VALU_DEP_1)
	v_lshlrev_b32_e32 v88, 20, v88
	v_or3_b32 v89, v23, v89, v88
.LBB6_12237:                            ;   in Loop: Header=BB6_10858 Depth=3
	s_or_b32 exec_lo, exec_lo, s17
	s_mov_b32 s13, 0
	s_mov_b32 s31, exec_lo
                                        ; implicit-def: $sgpr17
	v_cmpx_lt_i16_e32 0x7f, v79
	s_xor_b32 s31, exec_lo, s31
	s_cbranch_execnz .LBB6_13476
; %bb.12238:                            ;   in Loop: Header=BB6_10858 Depth=3
	s_or_saveexec_b32 s31, s31
	v_mov_b32_e32 v23, s17
	s_xor_b32 exec_lo, exec_lo, s31
	s_cbranch_execnz .LBB6_13479
.LBB6_12239:                            ;   in Loop: Header=BB6_10858 Depth=3
	s_or_b32 exec_lo, exec_lo, s31
	s_and_saveexec_b32 s17, s13
	s_cbranch_execz .LBB6_12241
.LBB6_12240:                            ;   in Loop: Header=BB6_10858 Depth=3
	v_bfe_u32 v23, v19, 24, 3
	s_delay_alu instid0(VALU_DEP_1) | instskip(NEXT) | instid1(VALU_DEP_1)
	v_clz_i32_u32_e32 v88, v23
	v_min_u32_e32 v88, 32, v88
	s_delay_alu instid0(VALU_DEP_1) | instskip(SKIP_1) | instid1(VALU_DEP_2)
	v_subrev_nc_u32_e32 v90, 28, v88
	v_sub_nc_u32_e32 v88, 29, v88
	v_lshlrev_b32_e32 v79, v90, v79
	v_bfe_u32 v90, v19, 27, 4
	v_and_b32_e32 v19, 0x80000000, v19
	s_delay_alu instid0(VALU_DEP_2) | instskip(NEXT) | instid1(VALU_DEP_4)
	v_cmp_eq_u32_e32 vcc_lo, 0, v90
	v_dual_cndmask_b32 v88, v90, v88 :: v_dual_and_b32 v79, 7, v79
	s_delay_alu instid0(VALU_DEP_1) | instskip(NEXT) | instid1(VALU_DEP_2)
	v_cndmask_b32_e32 v23, v23, v79, vcc_lo
	v_lshl_add_u32 v79, v88, 23, 0x3b800000
	s_delay_alu instid0(VALU_DEP_2) | instskip(NEXT) | instid1(VALU_DEP_1)
	v_lshlrev_b32_e32 v23, 20, v23
	v_or3_b32 v23, v19, v79, v23
.LBB6_12241:                            ;   in Loop: Header=BB6_10858 Depth=3
	s_or_b32 exec_lo, exec_lo, s17
	s_delay_alu instid0(VALU_DEP_1) | instskip(SKIP_1) | instid1(VALU_DEP_1)
	v_max_f32_e32 v19, v23, v23
	v_max_f32_e32 v23, v89, v89
	v_min_f32_e32 v89, v23, v19
.LBB6_12242:                            ;   in Loop: Header=BB6_10858 Depth=3
	s_delay_alu instid0(VALU_DEP_1) | instskip(NEXT) | instid1(VALU_DEP_1)
	v_and_b32_e32 v19, 0x7f800000, v89
	v_cmp_ne_u32_e32 vcc_lo, 0x7f800000, v19
	v_mov_b32_e32 v19, 0x8000
	s_and_saveexec_b32 s17, vcc_lo
	s_cbranch_execz .LBB6_12250
; %bb.12243:                            ;   in Loop: Header=BB6_10858 Depth=3
	v_mov_b32_e32 v19, 0
	s_mov_b32 s31, exec_lo
	v_cmpx_ne_u32_e32 0, v89
	s_cbranch_execz .LBB6_12249
; %bb.12244:                            ;   in Loop: Header=BB6_10858 Depth=3
	v_bfe_u32 v19, v89, 23, 8
	v_and_b32_e32 v23, 0x7fffff, v89
	s_delay_alu instid0(VALU_DEP_2) | instskip(SKIP_1) | instid1(VALU_DEP_3)
	v_sub_nc_u32_e32 v79, 0x78, v19
	v_cmp_gt_u32_e32 vcc_lo, 0x79, v19
	v_or_b32_e32 v88, 0x800000, v23
	s_delay_alu instid0(VALU_DEP_3) | instskip(SKIP_2) | instid1(VALU_DEP_3)
	v_cndmask_b32_e32 v79, 0, v79, vcc_lo
	v_cmp_eq_u32_e32 vcc_lo, 0, v19
	v_add_nc_u32_e32 v19, 0xffffff89, v19
	v_cndmask_b32_e64 v79, v79, 0x77, vcc_lo
	v_cndmask_b32_e32 v23, v88, v23, vcc_lo
	s_delay_alu instid0(VALU_DEP_3) | instskip(NEXT) | instid1(VALU_DEP_3)
	v_cndmask_b32_e64 v19, v19, 0xffffff8a, vcc_lo
	v_lshl_add_u32 v88, 0x100000, v79, -1
	s_delay_alu instid0(VALU_DEP_3) | instskip(SKIP_1) | instid1(VALU_DEP_4)
	v_lshrrev_b32_e32 v90, v79, v23
	v_lshlrev_b32_e64 v92, v79, 0x80000
	v_add_nc_u32_e32 v79, v79, v19
	s_delay_alu instid0(VALU_DEP_4) | instskip(NEXT) | instid1(VALU_DEP_4)
	v_and_b32_e32 v23, v88, v23
	v_bfe_u32 v91, v90, 20, 1
	s_delay_alu instid0(VALU_DEP_2) | instskip(NEXT) | instid1(VALU_DEP_2)
	v_cmp_eq_u32_e64 s13, v23, v92
	v_add_nc_u32_e32 v88, -1, v91
	s_delay_alu instid0(VALU_DEP_1) | instskip(SKIP_2) | instid1(VALU_DEP_2)
	v_cndmask_b32_e64 v23, 0, v88, s13
	v_lshrrev_b32_e32 v88, 23, v90
	s_mov_b32 s13, exec_lo
	v_add_nc_u32_e32 v23, v23, v90
	s_delay_alu instid0(VALU_DEP_2) | instskip(NEXT) | instid1(VALU_DEP_2)
	v_xor_b32_e32 v88, 1, v88
	v_and_b32_e32 v19, 0xfffff, v23
	s_delay_alu instid0(VALU_DEP_1) | instskip(NEXT) | instid1(VALU_DEP_3)
	v_add_nc_u32_e32 v23, v19, v90
                                        ; implicit-def: $vgpr19
	v_cmpx_ne_u32_e64 v79, v88
	s_xor_b32 s13, exec_lo, s13
; %bb.12245:                            ;   in Loop: Header=BB6_10858 Depth=3
	s_delay_alu instid0(VALU_DEP_2) | instskip(SKIP_2) | instid1(VALU_DEP_2)
	v_cmp_lt_u32_e32 vcc_lo, 0xffffff, v23
	v_sub_nc_u32_e32 v19, v79, v88
	v_cndmask_b32_e64 v79, 0, 1, vcc_lo
	v_add_co_ci_u32_e32 v19, vcc_lo, 0, v19, vcc_lo
	s_delay_alu instid0(VALU_DEP_2)
	v_lshrrev_b32_e32 v23, v79, v23
; %bb.12246:                            ;   in Loop: Header=BB6_10858 Depth=3
	s_and_not1_saveexec_b32 s13, s13
; %bb.12247:                            ;   in Loop: Header=BB6_10858 Depth=3
	s_delay_alu instid0(VALU_DEP_1)
	v_bfe_u32 v19, v23, 23, 1
; %bb.12248:                            ;   in Loop: Header=BB6_10858 Depth=3
	s_or_b32 exec_lo, exec_lo, s13
	v_lshrrev_b32_e32 v23, 20, v23
	s_delay_alu instid0(VALU_DEP_2) | instskip(SKIP_2) | instid1(VALU_DEP_3)
	v_min_i32_e32 v79, 15, v19
	v_cmp_gt_i32_e32 vcc_lo, 16, v19
	v_lshrrev_b32_e32 v88, 24, v89
	v_lshlrev_b32_e32 v79, 3, v79
	s_delay_alu instid0(VALU_DEP_2) | instskip(NEXT) | instid1(VALU_DEP_2)
	v_dual_cndmask_b32 v23, 7, v23 :: v_dual_and_b32 v88, 0x80, v88
	v_and_b32_e32 v79, 0xf8, v79
	s_delay_alu instid0(VALU_DEP_2) | instskip(SKIP_1) | instid1(VALU_DEP_2)
	v_and_b32_e32 v89, 7, v23
	v_or_b32_e32 v19, v19, v23
	v_or3_b32 v79, v88, v79, v89
	s_delay_alu instid0(VALU_DEP_2) | instskip(NEXT) | instid1(VALU_DEP_2)
	v_cmp_ne_u32_e32 vcc_lo, 0, v19
	v_lshlrev_b32_e32 v23, 8, v79
	s_delay_alu instid0(VALU_DEP_1)
	v_cndmask_b32_e32 v19, 0, v23, vcc_lo
.LBB6_12249:                            ;   in Loop: Header=BB6_10858 Depth=3
	s_or_b32 exec_lo, exec_lo, s31
.LBB6_12250:                            ;   in Loop: Header=BB6_10858 Depth=3
	s_delay_alu instid0(SALU_CYCLE_1) | instskip(NEXT) | instid1(SALU_CYCLE_1)
	s_or_b32 exec_lo, exec_lo, s17
	s_and_not1_b32 vcc_lo, exec_lo, s16
	s_cbranch_vccnz .LBB6_12260
; %bb.12251:                            ;   in Loop: Header=BB6_10858 Depth=3
	v_and_b32_e32 v79, 0xff, v12
	s_mov_b32 s13, 0
	s_mov_b32 s31, exec_lo
                                        ; implicit-def: $sgpr17
	s_delay_alu instid0(VALU_DEP_1)
	v_cmpx_lt_i16_e32 0x7f, v79
	s_xor_b32 s31, exec_lo, s31
	s_cbranch_execnz .LBB6_13480
; %bb.12252:                            ;   in Loop: Header=BB6_10858 Depth=3
	s_or_saveexec_b32 s31, s31
	v_mov_b32_e32 v23, s17
	s_xor_b32 exec_lo, exec_lo, s31
	s_cbranch_execnz .LBB6_13483
.LBB6_12253:                            ;   in Loop: Header=BB6_10858 Depth=3
	s_or_b32 exec_lo, exec_lo, s31
	s_and_saveexec_b32 s17, s13
	s_cbranch_execz .LBB6_12255
.LBB6_12254:                            ;   in Loop: Header=BB6_10858 Depth=3
	v_and_b32_e32 v23, 7, v12
	v_bfe_u32 v89, v12, 3, 4
	v_lshlrev_b32_e32 v90, 24, v12
	s_delay_alu instid0(VALU_DEP_3) | instskip(NEXT) | instid1(VALU_DEP_3)
	v_clz_i32_u32_e32 v79, v23
	v_cmp_eq_u32_e32 vcc_lo, 0, v89
	s_delay_alu instid0(VALU_DEP_2) | instskip(NEXT) | instid1(VALU_DEP_1)
	v_min_u32_e32 v79, 32, v79
	v_subrev_nc_u32_e32 v88, 28, v79
	v_sub_nc_u32_e32 v79, 29, v79
	s_delay_alu instid0(VALU_DEP_1) | instskip(NEXT) | instid1(VALU_DEP_1)
	v_dual_cndmask_b32 v79, v89, v79 :: v_dual_lshlrev_b32 v88, v88, v12
	v_and_b32_e32 v88, 7, v88
	s_delay_alu instid0(VALU_DEP_2) | instskip(NEXT) | instid1(VALU_DEP_2)
	v_lshl_add_u32 v79, v79, 23, 0x3b800000
	v_dual_cndmask_b32 v23, v23, v88 :: v_dual_and_b32 v88, 0x80000000, v90
	s_delay_alu instid0(VALU_DEP_1) | instskip(NEXT) | instid1(VALU_DEP_1)
	v_lshlrev_b32_e32 v23, 20, v23
	v_or3_b32 v23, v88, v79, v23
.LBB6_12255:                            ;   in Loop: Header=BB6_10858 Depth=3
	s_or_b32 exec_lo, exec_lo, s17
	s_waitcnt vmcnt(0)
	v_and_b32_e32 v88, 0xff, v8
	s_mov_b32 s13, 0
	s_mov_b32 s31, exec_lo
                                        ; implicit-def: $sgpr17
	s_delay_alu instid0(VALU_DEP_1)
	v_cmpx_lt_i16_e32 0x7f, v88
	s_xor_b32 s31, exec_lo, s31
	s_cbranch_execnz .LBB6_13484
; %bb.12256:                            ;   in Loop: Header=BB6_10858 Depth=3
	s_or_saveexec_b32 s31, s31
	v_mov_b32_e32 v79, s17
	s_xor_b32 exec_lo, exec_lo, s31
	s_cbranch_execnz .LBB6_13487
.LBB6_12257:                            ;   in Loop: Header=BB6_10858 Depth=3
	s_or_b32 exec_lo, exec_lo, s31
	s_and_saveexec_b32 s17, s13
	s_cbranch_execz .LBB6_12259
.LBB6_12258:                            ;   in Loop: Header=BB6_10858 Depth=3
	v_and_b32_e32 v79, 7, v8
	v_bfe_u32 v90, v8, 3, 4
	v_lshlrev_b32_e32 v91, 24, v8
	s_delay_alu instid0(VALU_DEP_3) | instskip(NEXT) | instid1(VALU_DEP_3)
	v_clz_i32_u32_e32 v88, v79
	v_cmp_eq_u32_e32 vcc_lo, 0, v90
	s_delay_alu instid0(VALU_DEP_2) | instskip(NEXT) | instid1(VALU_DEP_1)
	v_min_u32_e32 v88, 32, v88
	v_subrev_nc_u32_e32 v89, 28, v88
	v_sub_nc_u32_e32 v88, 29, v88
	s_delay_alu instid0(VALU_DEP_2) | instskip(NEXT) | instid1(VALU_DEP_1)
	v_lshlrev_b32_e32 v89, v89, v8
	v_dual_cndmask_b32 v88, v90, v88 :: v_dual_and_b32 v89, 7, v89
	s_delay_alu instid0(VALU_DEP_1) | instskip(NEXT) | instid1(VALU_DEP_2)
	v_lshl_add_u32 v88, v88, 23, 0x3b800000
	v_cndmask_b32_e32 v79, v79, v89, vcc_lo
	v_and_b32_e32 v89, 0x80000000, v91
	s_delay_alu instid0(VALU_DEP_2) | instskip(NEXT) | instid1(VALU_DEP_1)
	v_lshlrev_b32_e32 v79, 20, v79
	v_or3_b32 v79, v89, v88, v79
.LBB6_12259:                            ;   in Loop: Header=BB6_10858 Depth=3
	s_or_b32 exec_lo, exec_lo, s17
	s_delay_alu instid0(VALU_DEP_1) | instskip(SKIP_2) | instid1(VALU_DEP_1)
	v_max_f32_e32 v79, v79, v79
	v_max_f32_e32 v23, v23, v23
	s_mov_b32 s13, 0
	v_max_f32_e32 v79, v23, v79
	s_branch .LBB6_12261
.LBB6_12260:                            ;   in Loop: Header=BB6_10858 Depth=3
	s_mov_b32 s13, -1
                                        ; implicit-def: $vgpr79
.LBB6_12261:                            ;   in Loop: Header=BB6_10858 Depth=3
	s_delay_alu instid0(SALU_CYCLE_1)
	s_and_b32 vcc_lo, exec_lo, s13
	s_cbranch_vccz .LBB6_12271
; %bb.12262:                            ;   in Loop: Header=BB6_10858 Depth=3
	v_and_b32_e32 v79, 0xff, v12
	s_mov_b32 s13, 0
	s_mov_b32 s31, exec_lo
                                        ; implicit-def: $sgpr17
	s_delay_alu instid0(VALU_DEP_1)
	v_cmpx_lt_i16_e32 0x7f, v79
	s_xor_b32 s31, exec_lo, s31
	s_cbranch_execnz .LBB6_13488
; %bb.12263:                            ;   in Loop: Header=BB6_10858 Depth=3
	s_or_saveexec_b32 s31, s31
	v_mov_b32_e32 v23, s17
	s_xor_b32 exec_lo, exec_lo, s31
	s_cbranch_execnz .LBB6_13491
.LBB6_12264:                            ;   in Loop: Header=BB6_10858 Depth=3
	s_or_b32 exec_lo, exec_lo, s31
	s_and_saveexec_b32 s17, s13
	s_cbranch_execz .LBB6_12266
.LBB6_12265:                            ;   in Loop: Header=BB6_10858 Depth=3
	v_and_b32_e32 v23, 7, v12
	v_bfe_u32 v89, v12, 3, 4
	v_lshlrev_b32_e32 v90, 24, v12
	s_delay_alu instid0(VALU_DEP_3) | instskip(NEXT) | instid1(VALU_DEP_3)
	v_clz_i32_u32_e32 v79, v23
	v_cmp_eq_u32_e32 vcc_lo, 0, v89
	s_delay_alu instid0(VALU_DEP_2) | instskip(NEXT) | instid1(VALU_DEP_1)
	v_min_u32_e32 v79, 32, v79
	v_subrev_nc_u32_e32 v88, 28, v79
	v_sub_nc_u32_e32 v79, 29, v79
	s_delay_alu instid0(VALU_DEP_1) | instskip(NEXT) | instid1(VALU_DEP_1)
	v_dual_cndmask_b32 v79, v89, v79 :: v_dual_lshlrev_b32 v88, v88, v12
	v_and_b32_e32 v88, 7, v88
	s_delay_alu instid0(VALU_DEP_2) | instskip(NEXT) | instid1(VALU_DEP_2)
	v_lshl_add_u32 v79, v79, 23, 0x3b800000
	v_dual_cndmask_b32 v23, v23, v88 :: v_dual_and_b32 v88, 0x80000000, v90
	s_delay_alu instid0(VALU_DEP_1) | instskip(NEXT) | instid1(VALU_DEP_1)
	v_lshlrev_b32_e32 v23, 20, v23
	v_or3_b32 v23, v88, v79, v23
.LBB6_12266:                            ;   in Loop: Header=BB6_10858 Depth=3
	s_or_b32 exec_lo, exec_lo, s17
	s_waitcnt vmcnt(0)
	v_and_b32_e32 v88, 0xff, v8
	s_mov_b32 s13, 0
	s_mov_b32 s31, exec_lo
                                        ; implicit-def: $sgpr17
	s_delay_alu instid0(VALU_DEP_1)
	v_cmpx_lt_i16_e32 0x7f, v88
	s_xor_b32 s31, exec_lo, s31
	s_cbranch_execnz .LBB6_13492
; %bb.12267:                            ;   in Loop: Header=BB6_10858 Depth=3
	s_or_saveexec_b32 s31, s31
	v_mov_b32_e32 v79, s17
	s_xor_b32 exec_lo, exec_lo, s31
	s_cbranch_execnz .LBB6_13495
.LBB6_12268:                            ;   in Loop: Header=BB6_10858 Depth=3
	s_or_b32 exec_lo, exec_lo, s31
	s_and_saveexec_b32 s17, s13
	s_cbranch_execz .LBB6_12270
.LBB6_12269:                            ;   in Loop: Header=BB6_10858 Depth=3
	v_and_b32_e32 v79, 7, v8
	v_bfe_u32 v90, v8, 3, 4
	v_lshlrev_b32_e32 v91, 24, v8
	s_delay_alu instid0(VALU_DEP_3) | instskip(NEXT) | instid1(VALU_DEP_3)
	v_clz_i32_u32_e32 v88, v79
	v_cmp_eq_u32_e32 vcc_lo, 0, v90
	s_delay_alu instid0(VALU_DEP_2) | instskip(NEXT) | instid1(VALU_DEP_1)
	v_min_u32_e32 v88, 32, v88
	v_subrev_nc_u32_e32 v89, 28, v88
	v_sub_nc_u32_e32 v88, 29, v88
	s_delay_alu instid0(VALU_DEP_2) | instskip(NEXT) | instid1(VALU_DEP_1)
	v_lshlrev_b32_e32 v89, v89, v8
	v_dual_cndmask_b32 v88, v90, v88 :: v_dual_and_b32 v89, 7, v89
	s_delay_alu instid0(VALU_DEP_1) | instskip(NEXT) | instid1(VALU_DEP_2)
	v_lshl_add_u32 v88, v88, 23, 0x3b800000
	v_cndmask_b32_e32 v79, v79, v89, vcc_lo
	v_and_b32_e32 v89, 0x80000000, v91
	s_delay_alu instid0(VALU_DEP_2) | instskip(NEXT) | instid1(VALU_DEP_1)
	v_lshlrev_b32_e32 v79, 20, v79
	v_or3_b32 v79, v89, v88, v79
.LBB6_12270:                            ;   in Loop: Header=BB6_10858 Depth=3
	s_or_b32 exec_lo, exec_lo, s17
	s_delay_alu instid0(VALU_DEP_1) | instskip(SKIP_1) | instid1(VALU_DEP_1)
	v_max_f32_e32 v79, v79, v79
	v_max_f32_e32 v23, v23, v23
	v_min_f32_e32 v79, v23, v79
.LBB6_12271:                            ;   in Loop: Header=BB6_10858 Depth=3
	s_delay_alu instid0(VALU_DEP_1) | instskip(NEXT) | instid1(VALU_DEP_1)
	v_and_b32_e32 v23, 0x7f800000, v79
	v_cmp_ne_u32_e32 vcc_lo, 0x7f800000, v23
	v_mov_b32_e32 v23, 0x80
	s_and_saveexec_b32 s17, vcc_lo
	s_cbranch_execz .LBB6_12279
; %bb.12272:                            ;   in Loop: Header=BB6_10858 Depth=3
	v_mov_b32_e32 v23, 0
	s_mov_b32 s31, exec_lo
	v_cmpx_ne_u32_e32 0, v79
	s_cbranch_execz .LBB6_12278
; %bb.12273:                            ;   in Loop: Header=BB6_10858 Depth=3
	v_bfe_u32 v23, v79, 23, 8
	s_delay_alu instid0(VALU_DEP_1) | instskip(SKIP_1) | instid1(VALU_DEP_2)
	v_sub_nc_u32_e32 v89, 0x78, v23
	v_cmp_gt_u32_e32 vcc_lo, 0x79, v23
	v_dual_cndmask_b32 v89, 0, v89 :: v_dual_and_b32 v88, 0x7fffff, v79
	s_delay_alu instid0(VALU_DEP_1) | instskip(SKIP_2) | instid1(VALU_DEP_4)
	v_or_b32_e32 v90, 0x800000, v88
	v_cmp_eq_u32_e32 vcc_lo, 0, v23
	v_add_nc_u32_e32 v23, 0xffffff89, v23
	v_cndmask_b32_e64 v89, v89, 0x77, vcc_lo
	s_delay_alu instid0(VALU_DEP_4) | instskip(NEXT) | instid1(VALU_DEP_3)
	v_cndmask_b32_e32 v88, v90, v88, vcc_lo
	v_cndmask_b32_e64 v23, v23, 0xffffff8a, vcc_lo
	s_delay_alu instid0(VALU_DEP_3) | instskip(NEXT) | instid1(VALU_DEP_3)
	v_lshl_add_u32 v90, 0x100000, v89, -1
	v_lshrrev_b32_e32 v91, v89, v88
	v_lshlrev_b32_e64 v93, v89, 0x80000
	s_delay_alu instid0(VALU_DEP_4) | instskip(NEXT) | instid1(VALU_DEP_4)
	v_add_nc_u32_e32 v89, v89, v23
	v_and_b32_e32 v88, v90, v88
	s_delay_alu instid0(VALU_DEP_4) | instskip(NEXT) | instid1(VALU_DEP_2)
	v_bfe_u32 v92, v91, 20, 1
	v_cmp_eq_u32_e64 s13, v88, v93
	s_delay_alu instid0(VALU_DEP_2) | instskip(NEXT) | instid1(VALU_DEP_1)
	v_add_nc_u32_e32 v90, -1, v92
	v_cndmask_b32_e64 v88, 0, v90, s13
	v_lshrrev_b32_e32 v90, 23, v91
	s_mov_b32 s13, exec_lo
	s_delay_alu instid0(VALU_DEP_2) | instskip(NEXT) | instid1(VALU_DEP_2)
	v_add_nc_u32_e32 v88, v88, v91
	v_xor_b32_e32 v90, 1, v90
	s_delay_alu instid0(VALU_DEP_2) | instskip(NEXT) | instid1(VALU_DEP_1)
	v_and_b32_e32 v23, 0xfffff, v88
	v_add_nc_u32_e32 v88, v23, v91
                                        ; implicit-def: $vgpr23
	s_delay_alu instid0(VALU_DEP_3)
	v_cmpx_ne_u32_e64 v89, v90
	s_xor_b32 s13, exec_lo, s13
; %bb.12274:                            ;   in Loop: Header=BB6_10858 Depth=3
	s_delay_alu instid0(VALU_DEP_2) | instskip(SKIP_2) | instid1(VALU_DEP_2)
	v_cmp_lt_u32_e32 vcc_lo, 0xffffff, v88
	v_sub_nc_u32_e32 v23, v89, v90
	v_cndmask_b32_e64 v89, 0, 1, vcc_lo
	v_add_co_ci_u32_e32 v23, vcc_lo, 0, v23, vcc_lo
	s_delay_alu instid0(VALU_DEP_2)
	v_lshrrev_b32_e32 v88, v89, v88
; %bb.12275:                            ;   in Loop: Header=BB6_10858 Depth=3
	s_and_not1_saveexec_b32 s13, s13
; %bb.12276:                            ;   in Loop: Header=BB6_10858 Depth=3
	s_delay_alu instid0(VALU_DEP_1)
	v_bfe_u32 v23, v88, 23, 1
; %bb.12277:                            ;   in Loop: Header=BB6_10858 Depth=3
	s_or_b32 exec_lo, exec_lo, s13
	v_lshrrev_b32_e32 v88, 20, v88
	s_delay_alu instid0(VALU_DEP_2) | instskip(SKIP_2) | instid1(VALU_DEP_2)
	v_cmp_gt_i32_e32 vcc_lo, 16, v23
	v_lshrrev_b32_e32 v79, 24, v79
	v_min_i32_e32 v89, 15, v23
	v_dual_cndmask_b32 v88, 7, v88 :: v_dual_and_b32 v79, 0x80, v79
	s_delay_alu instid0(VALU_DEP_2) | instskip(NEXT) | instid1(VALU_DEP_2)
	v_lshlrev_b32_e32 v89, 3, v89
	v_or_b32_e32 v23, v23, v88
	s_delay_alu instid0(VALU_DEP_1) | instskip(SKIP_1) | instid1(VALU_DEP_1)
	v_cmp_ne_u32_e32 vcc_lo, 0, v23
	v_and_b32_e32 v90, 7, v88
	v_or3_b32 v79, v89, v79, v90
	s_delay_alu instid0(VALU_DEP_1)
	v_cndmask_b32_e32 v23, 0, v79, vcc_lo
.LBB6_12278:                            ;   in Loop: Header=BB6_10858 Depth=3
	s_or_b32 exec_lo, exec_lo, s31
.LBB6_12279:                            ;   in Loop: Header=BB6_10858 Depth=3
	s_delay_alu instid0(SALU_CYCLE_1)
	s_or_b32 exec_lo, exec_lo, s17
	v_lshrrev_b16 v88, 8, v12
	s_waitcnt vmcnt(0)
	v_lshrrev_b16 v79, 8, v8
	s_and_not1_b32 vcc_lo, exec_lo, s16
	s_cbranch_vccnz .LBB6_12289
; %bb.12280:                            ;   in Loop: Header=BB6_10858 Depth=3
	s_mov_b32 s13, 0
	s_mov_b32 s31, exec_lo
                                        ; implicit-def: $sgpr17
	v_cmpx_lt_i16_e32 0x7f, v88
	s_xor_b32 s31, exec_lo, s31
	s_cbranch_execnz .LBB6_13496
; %bb.12281:                            ;   in Loop: Header=BB6_10858 Depth=3
	s_or_saveexec_b32 s31, s31
	v_mov_b32_e32 v89, s17
	s_xor_b32 exec_lo, exec_lo, s31
	s_cbranch_execnz .LBB6_13499
.LBB6_12282:                            ;   in Loop: Header=BB6_10858 Depth=3
	s_or_b32 exec_lo, exec_lo, s31
	s_and_saveexec_b32 s17, s13
	s_cbranch_execz .LBB6_12284
.LBB6_12283:                            ;   in Loop: Header=BB6_10858 Depth=3
	v_and_b32_e32 v89, 0xffff, v88
	v_lshlrev_b32_e32 v93, 16, v12
	s_delay_alu instid0(VALU_DEP_2) | instskip(NEXT) | instid1(VALU_DEP_1)
	v_and_b32_e32 v90, 7, v89
	v_clz_i32_u32_e32 v91, v90
	s_delay_alu instid0(VALU_DEP_1) | instskip(NEXT) | instid1(VALU_DEP_1)
	v_min_u32_e32 v91, 32, v91
	v_subrev_nc_u32_e32 v92, 28, v91
	v_sub_nc_u32_e32 v91, 29, v91
	s_delay_alu instid0(VALU_DEP_2) | instskip(SKIP_1) | instid1(VALU_DEP_2)
	v_lshlrev_b32_e32 v92, v92, v89
	v_bfe_u32 v89, v89, 3, 4
	v_and_b32_e32 v92, 7, v92
	s_delay_alu instid0(VALU_DEP_2) | instskip(NEXT) | instid1(VALU_DEP_2)
	v_cmp_eq_u32_e32 vcc_lo, 0, v89
	v_dual_cndmask_b32 v89, v89, v91 :: v_dual_cndmask_b32 v90, v90, v92
	v_and_b32_e32 v91, 0x80000000, v93
	s_delay_alu instid0(VALU_DEP_2) | instskip(NEXT) | instid1(VALU_DEP_3)
	v_lshl_add_u32 v89, v89, 23, 0x3b800000
	v_lshlrev_b32_e32 v90, 20, v90
	s_delay_alu instid0(VALU_DEP_1)
	v_or3_b32 v89, v91, v89, v90
.LBB6_12284:                            ;   in Loop: Header=BB6_10858 Depth=3
	s_or_b32 exec_lo, exec_lo, s17
	s_mov_b32 s13, 0
	s_mov_b32 s31, exec_lo
                                        ; implicit-def: $sgpr17
	v_cmpx_lt_i16_e32 0x7f, v79
	s_xor_b32 s31, exec_lo, s31
	s_cbranch_execnz .LBB6_13500
; %bb.12285:                            ;   in Loop: Header=BB6_10858 Depth=3
	s_or_saveexec_b32 s31, s31
	v_mov_b32_e32 v90, s17
	s_xor_b32 exec_lo, exec_lo, s31
	s_cbranch_execnz .LBB6_13503
.LBB6_12286:                            ;   in Loop: Header=BB6_10858 Depth=3
	s_or_b32 exec_lo, exec_lo, s31
	s_and_saveexec_b32 s17, s13
	s_cbranch_execz .LBB6_12288
.LBB6_12287:                            ;   in Loop: Header=BB6_10858 Depth=3
	v_and_b32_e32 v90, 0xffff, v79
	v_lshlrev_b32_e32 v94, 16, v8
	s_delay_alu instid0(VALU_DEP_2) | instskip(NEXT) | instid1(VALU_DEP_1)
	v_and_b32_e32 v91, 7, v90
	v_clz_i32_u32_e32 v92, v91
	s_delay_alu instid0(VALU_DEP_1) | instskip(NEXT) | instid1(VALU_DEP_1)
	v_min_u32_e32 v92, 32, v92
	v_subrev_nc_u32_e32 v93, 28, v92
	v_sub_nc_u32_e32 v92, 29, v92
	s_delay_alu instid0(VALU_DEP_2) | instskip(SKIP_1) | instid1(VALU_DEP_2)
	v_lshlrev_b32_e32 v93, v93, v90
	v_bfe_u32 v90, v90, 3, 4
	v_and_b32_e32 v93, 7, v93
	s_delay_alu instid0(VALU_DEP_2) | instskip(NEXT) | instid1(VALU_DEP_2)
	v_cmp_eq_u32_e32 vcc_lo, 0, v90
	v_dual_cndmask_b32 v90, v90, v92 :: v_dual_cndmask_b32 v91, v91, v93
	v_and_b32_e32 v92, 0x80000000, v94
	s_delay_alu instid0(VALU_DEP_2) | instskip(NEXT) | instid1(VALU_DEP_3)
	v_lshl_add_u32 v90, v90, 23, 0x3b800000
	v_lshlrev_b32_e32 v91, 20, v91
	s_delay_alu instid0(VALU_DEP_1)
	v_or3_b32 v90, v92, v90, v91
.LBB6_12288:                            ;   in Loop: Header=BB6_10858 Depth=3
	s_or_b32 exec_lo, exec_lo, s17
	s_delay_alu instid0(VALU_DEP_1) | instskip(SKIP_1) | instid1(VALU_DEP_1)
	v_dual_max_f32 v90, v90, v90 :: v_dual_max_f32 v89, v89, v89
	s_mov_b32 s13, 0
	v_max_f32_e32 v89, v89, v90
	s_branch .LBB6_12290
.LBB6_12289:                            ;   in Loop: Header=BB6_10858 Depth=3
	s_mov_b32 s13, -1
                                        ; implicit-def: $vgpr89
.LBB6_12290:                            ;   in Loop: Header=BB6_10858 Depth=3
	s_delay_alu instid0(SALU_CYCLE_1)
	s_and_b32 vcc_lo, exec_lo, s13
	s_cbranch_vccz .LBB6_12300
; %bb.12291:                            ;   in Loop: Header=BB6_10858 Depth=3
	s_mov_b32 s13, 0
	s_mov_b32 s31, exec_lo
                                        ; implicit-def: $sgpr17
	v_cmpx_lt_i16_e32 0x7f, v88
	s_xor_b32 s31, exec_lo, s31
	s_cbranch_execnz .LBB6_13504
; %bb.12292:                            ;   in Loop: Header=BB6_10858 Depth=3
	s_or_saveexec_b32 s31, s31
	v_mov_b32_e32 v89, s17
	s_xor_b32 exec_lo, exec_lo, s31
	s_cbranch_execnz .LBB6_13507
.LBB6_12293:                            ;   in Loop: Header=BB6_10858 Depth=3
	s_or_b32 exec_lo, exec_lo, s31
	s_and_saveexec_b32 s17, s13
	s_cbranch_execz .LBB6_12295
.LBB6_12294:                            ;   in Loop: Header=BB6_10858 Depth=3
	v_and_b32_e32 v88, 0xffff, v88
	v_lshlrev_b32_e32 v92, 16, v12
	s_delay_alu instid0(VALU_DEP_2) | instskip(NEXT) | instid1(VALU_DEP_1)
	v_and_b32_e32 v89, 7, v88
	v_clz_i32_u32_e32 v90, v89
	s_delay_alu instid0(VALU_DEP_1) | instskip(NEXT) | instid1(VALU_DEP_1)
	v_min_u32_e32 v90, 32, v90
	v_subrev_nc_u32_e32 v91, 28, v90
	v_sub_nc_u32_e32 v90, 29, v90
	s_delay_alu instid0(VALU_DEP_2) | instskip(SKIP_1) | instid1(VALU_DEP_2)
	v_lshlrev_b32_e32 v91, v91, v88
	v_bfe_u32 v88, v88, 3, 4
	v_and_b32_e32 v91, 7, v91
	s_delay_alu instid0(VALU_DEP_2) | instskip(NEXT) | instid1(VALU_DEP_2)
	v_cmp_eq_u32_e32 vcc_lo, 0, v88
	v_dual_cndmask_b32 v88, v88, v90 :: v_dual_cndmask_b32 v89, v89, v91
	v_and_b32_e32 v90, 0x80000000, v92
	s_delay_alu instid0(VALU_DEP_2) | instskip(NEXT) | instid1(VALU_DEP_3)
	v_lshl_add_u32 v88, v88, 23, 0x3b800000
	v_lshlrev_b32_e32 v89, 20, v89
	s_delay_alu instid0(VALU_DEP_1)
	v_or3_b32 v89, v90, v88, v89
.LBB6_12295:                            ;   in Loop: Header=BB6_10858 Depth=3
	s_or_b32 exec_lo, exec_lo, s17
	s_mov_b32 s13, 0
	s_mov_b32 s31, exec_lo
                                        ; implicit-def: $sgpr17
	v_cmpx_lt_i16_e32 0x7f, v79
	s_xor_b32 s31, exec_lo, s31
	s_cbranch_execnz .LBB6_13508
; %bb.12296:                            ;   in Loop: Header=BB6_10858 Depth=3
	s_or_saveexec_b32 s31, s31
	v_mov_b32_e32 v88, s17
	s_xor_b32 exec_lo, exec_lo, s31
	s_cbranch_execnz .LBB6_13511
.LBB6_12297:                            ;   in Loop: Header=BB6_10858 Depth=3
	s_or_b32 exec_lo, exec_lo, s31
	s_and_saveexec_b32 s17, s13
	s_cbranch_execz .LBB6_12299
.LBB6_12298:                            ;   in Loop: Header=BB6_10858 Depth=3
	v_and_b32_e32 v79, 0xffff, v79
	v_lshlrev_b32_e32 v92, 16, v8
	s_delay_alu instid0(VALU_DEP_2) | instskip(NEXT) | instid1(VALU_DEP_1)
	v_and_b32_e32 v88, 7, v79
	v_clz_i32_u32_e32 v90, v88
	s_delay_alu instid0(VALU_DEP_1) | instskip(NEXT) | instid1(VALU_DEP_1)
	v_min_u32_e32 v90, 32, v90
	v_subrev_nc_u32_e32 v91, 28, v90
	v_sub_nc_u32_e32 v90, 29, v90
	s_delay_alu instid0(VALU_DEP_2) | instskip(SKIP_1) | instid1(VALU_DEP_2)
	v_lshlrev_b32_e32 v91, v91, v79
	v_bfe_u32 v79, v79, 3, 4
	v_and_b32_e32 v91, 7, v91
	s_delay_alu instid0(VALU_DEP_2) | instskip(NEXT) | instid1(VALU_DEP_2)
	v_cmp_eq_u32_e32 vcc_lo, 0, v79
	v_dual_cndmask_b32 v79, v79, v90 :: v_dual_cndmask_b32 v88, v88, v91
	v_and_b32_e32 v90, 0x80000000, v92
	s_delay_alu instid0(VALU_DEP_2) | instskip(NEXT) | instid1(VALU_DEP_3)
	v_lshl_add_u32 v79, v79, 23, 0x3b800000
	v_lshlrev_b32_e32 v88, 20, v88
	s_delay_alu instid0(VALU_DEP_1)
	v_or3_b32 v88, v90, v79, v88
.LBB6_12299:                            ;   in Loop: Header=BB6_10858 Depth=3
	s_or_b32 exec_lo, exec_lo, s17
	s_delay_alu instid0(VALU_DEP_1) | instskip(NEXT) | instid1(VALU_DEP_1)
	v_dual_max_f32 v79, v88, v88 :: v_dual_max_f32 v88, v89, v89
	v_min_f32_e32 v89, v88, v79
.LBB6_12300:                            ;   in Loop: Header=BB6_10858 Depth=3
	s_delay_alu instid0(VALU_DEP_1) | instskip(NEXT) | instid1(VALU_DEP_1)
	v_and_b32_e32 v79, 0x7f800000, v89
	v_cmp_ne_u32_e32 vcc_lo, 0x7f800000, v79
	v_mov_b32_e32 v79, 0x80
	s_and_saveexec_b32 s17, vcc_lo
	s_cbranch_execz .LBB6_12308
; %bb.12301:                            ;   in Loop: Header=BB6_10858 Depth=3
	v_mov_b32_e32 v79, 0
	s_mov_b32 s31, exec_lo
	v_cmpx_ne_u32_e32 0, v89
	s_cbranch_execz .LBB6_12307
; %bb.12302:                            ;   in Loop: Header=BB6_10858 Depth=3
	v_bfe_u32 v79, v89, 23, 8
	v_and_b32_e32 v88, 0x7fffff, v89
	s_delay_alu instid0(VALU_DEP_2) | instskip(SKIP_1) | instid1(VALU_DEP_3)
	v_sub_nc_u32_e32 v90, 0x78, v79
	v_cmp_gt_u32_e32 vcc_lo, 0x79, v79
	v_or_b32_e32 v91, 0x800000, v88
	s_delay_alu instid0(VALU_DEP_3) | instskip(SKIP_2) | instid1(VALU_DEP_3)
	v_cndmask_b32_e32 v90, 0, v90, vcc_lo
	v_cmp_eq_u32_e32 vcc_lo, 0, v79
	v_add_nc_u32_e32 v79, 0xffffff89, v79
	v_cndmask_b32_e64 v90, v90, 0x77, vcc_lo
	v_cndmask_b32_e32 v88, v91, v88, vcc_lo
	s_delay_alu instid0(VALU_DEP_3) | instskip(NEXT) | instid1(VALU_DEP_3)
	v_cndmask_b32_e64 v79, v79, 0xffffff8a, vcc_lo
	v_lshl_add_u32 v91, 0x100000, v90, -1
	s_delay_alu instid0(VALU_DEP_3) | instskip(SKIP_1) | instid1(VALU_DEP_4)
	v_lshrrev_b32_e32 v92, v90, v88
	v_lshlrev_b32_e64 v94, v90, 0x80000
	v_add_nc_u32_e32 v90, v90, v79
	s_delay_alu instid0(VALU_DEP_4) | instskip(NEXT) | instid1(VALU_DEP_4)
	v_and_b32_e32 v88, v91, v88
	v_bfe_u32 v93, v92, 20, 1
	s_delay_alu instid0(VALU_DEP_2) | instskip(NEXT) | instid1(VALU_DEP_2)
	v_cmp_eq_u32_e64 s13, v88, v94
	v_add_nc_u32_e32 v91, -1, v93
	s_delay_alu instid0(VALU_DEP_1) | instskip(SKIP_2) | instid1(VALU_DEP_2)
	v_cndmask_b32_e64 v88, 0, v91, s13
	v_lshrrev_b32_e32 v91, 23, v92
	s_mov_b32 s13, exec_lo
	v_add_nc_u32_e32 v88, v88, v92
	s_delay_alu instid0(VALU_DEP_2) | instskip(NEXT) | instid1(VALU_DEP_2)
	v_xor_b32_e32 v91, 1, v91
	v_and_b32_e32 v79, 0xfffff, v88
	s_delay_alu instid0(VALU_DEP_1) | instskip(NEXT) | instid1(VALU_DEP_3)
	v_add_nc_u32_e32 v88, v79, v92
                                        ; implicit-def: $vgpr79
	v_cmpx_ne_u32_e64 v90, v91
	s_xor_b32 s13, exec_lo, s13
; %bb.12303:                            ;   in Loop: Header=BB6_10858 Depth=3
	s_delay_alu instid0(VALU_DEP_2) | instskip(SKIP_2) | instid1(VALU_DEP_2)
	v_cmp_lt_u32_e32 vcc_lo, 0xffffff, v88
	v_sub_nc_u32_e32 v79, v90, v91
	v_cndmask_b32_e64 v90, 0, 1, vcc_lo
	v_add_co_ci_u32_e32 v79, vcc_lo, 0, v79, vcc_lo
	s_delay_alu instid0(VALU_DEP_2)
	v_lshrrev_b32_e32 v88, v90, v88
; %bb.12304:                            ;   in Loop: Header=BB6_10858 Depth=3
	s_and_not1_saveexec_b32 s13, s13
; %bb.12305:                            ;   in Loop: Header=BB6_10858 Depth=3
	s_delay_alu instid0(VALU_DEP_1)
	v_bfe_u32 v79, v88, 23, 1
; %bb.12306:                            ;   in Loop: Header=BB6_10858 Depth=3
	s_or_b32 exec_lo, exec_lo, s13
	v_lshrrev_b32_e32 v88, 20, v88
	s_delay_alu instid0(VALU_DEP_2) | instskip(SKIP_2) | instid1(VALU_DEP_2)
	v_cmp_gt_i32_e32 vcc_lo, 16, v79
	v_lshrrev_b32_e32 v89, 24, v89
	v_min_i32_e32 v90, 15, v79
	v_dual_cndmask_b32 v88, 7, v88 :: v_dual_and_b32 v89, 0x80, v89
	s_delay_alu instid0(VALU_DEP_1) | instskip(SKIP_1) | instid1(VALU_DEP_2)
	v_or_b32_e32 v79, v79, v88
	v_and_b32_e32 v91, 7, v88
	v_cmp_ne_u32_e32 vcc_lo, 0, v79
	v_lshlrev_b32_e32 v90, 3, v90
	s_delay_alu instid0(VALU_DEP_1) | instskip(NEXT) | instid1(VALU_DEP_1)
	v_or3_b32 v88, v90, v89, v91
	v_cndmask_b32_e32 v79, 0, v88, vcc_lo
.LBB6_12307:                            ;   in Loop: Header=BB6_10858 Depth=3
	s_or_b32 exec_lo, exec_lo, s31
.LBB6_12308:                            ;   in Loop: Header=BB6_10858 Depth=3
	s_delay_alu instid0(SALU_CYCLE_1)
	s_or_b32 exec_lo, exec_lo, s17
	v_lshrrev_b32_e32 v89, 16, v12
	v_lshrrev_b32_e32 v88, 16, v8
	s_and_not1_b32 vcc_lo, exec_lo, s16
	s_cbranch_vccnz .LBB6_12318
; %bb.12309:                            ;   in Loop: Header=BB6_10858 Depth=3
	s_delay_alu instid0(VALU_DEP_2) | instskip(SKIP_2) | instid1(VALU_DEP_1)
	v_and_b32_e32 v91, 0xff, v89
	s_mov_b32 s13, 0
	s_mov_b32 s31, exec_lo
                                        ; implicit-def: $sgpr17
	v_cmpx_lt_i16_e32 0x7f, v91
	s_xor_b32 s31, exec_lo, s31
	s_cbranch_execnz .LBB6_13512
; %bb.12310:                            ;   in Loop: Header=BB6_10858 Depth=3
	s_or_saveexec_b32 s31, s31
	v_mov_b32_e32 v90, s17
	s_xor_b32 exec_lo, exec_lo, s31
	s_cbranch_execnz .LBB6_13515
.LBB6_12311:                            ;   in Loop: Header=BB6_10858 Depth=3
	s_or_b32 exec_lo, exec_lo, s31
	s_and_saveexec_b32 s17, s13
	s_cbranch_execz .LBB6_12313
.LBB6_12312:                            ;   in Loop: Header=BB6_10858 Depth=3
	v_bfe_u32 v90, v12, 16, 3
	v_bfe_u32 v93, v12, 19, 4
	v_lshlrev_b32_e32 v94, 24, v89
	s_delay_alu instid0(VALU_DEP_3) | instskip(NEXT) | instid1(VALU_DEP_3)
	v_clz_i32_u32_e32 v91, v90
	v_cmp_eq_u32_e32 vcc_lo, 0, v93
	s_delay_alu instid0(VALU_DEP_2) | instskip(NEXT) | instid1(VALU_DEP_1)
	v_min_u32_e32 v91, 32, v91
	v_subrev_nc_u32_e32 v92, 28, v91
	v_sub_nc_u32_e32 v91, 29, v91
	s_delay_alu instid0(VALU_DEP_1) | instskip(NEXT) | instid1(VALU_DEP_1)
	v_dual_cndmask_b32 v91, v93, v91 :: v_dual_lshlrev_b32 v92, v92, v89
	v_and_b32_e32 v92, 7, v92
	s_delay_alu instid0(VALU_DEP_2) | instskip(NEXT) | instid1(VALU_DEP_2)
	v_lshl_add_u32 v91, v91, 23, 0x3b800000
	v_cndmask_b32_e32 v90, v90, v92, vcc_lo
	v_and_b32_e32 v92, 0x80000000, v94
	s_delay_alu instid0(VALU_DEP_2) | instskip(NEXT) | instid1(VALU_DEP_1)
	v_lshlrev_b32_e32 v90, 20, v90
	v_or3_b32 v90, v92, v91, v90
.LBB6_12313:                            ;   in Loop: Header=BB6_10858 Depth=3
	s_or_b32 exec_lo, exec_lo, s17
	v_and_b32_e32 v92, 0xff, v88
	s_mov_b32 s13, 0
	s_mov_b32 s31, exec_lo
                                        ; implicit-def: $sgpr17
	s_delay_alu instid0(VALU_DEP_1)
	v_cmpx_lt_i16_e32 0x7f, v92
	s_xor_b32 s31, exec_lo, s31
	s_cbranch_execnz .LBB6_13516
; %bb.12314:                            ;   in Loop: Header=BB6_10858 Depth=3
	s_or_saveexec_b32 s31, s31
	v_mov_b32_e32 v91, s17
	s_xor_b32 exec_lo, exec_lo, s31
	s_cbranch_execnz .LBB6_13519
.LBB6_12315:                            ;   in Loop: Header=BB6_10858 Depth=3
	s_or_b32 exec_lo, exec_lo, s31
	s_and_saveexec_b32 s17, s13
	s_cbranch_execz .LBB6_12317
.LBB6_12316:                            ;   in Loop: Header=BB6_10858 Depth=3
	v_bfe_u32 v91, v8, 16, 3
	v_bfe_u32 v94, v8, 19, 4
	v_lshlrev_b32_e32 v95, 24, v88
	s_delay_alu instid0(VALU_DEP_3) | instskip(NEXT) | instid1(VALU_DEP_3)
	v_clz_i32_u32_e32 v92, v91
	v_cmp_eq_u32_e32 vcc_lo, 0, v94
	s_delay_alu instid0(VALU_DEP_2) | instskip(NEXT) | instid1(VALU_DEP_1)
	v_min_u32_e32 v92, 32, v92
	v_subrev_nc_u32_e32 v93, 28, v92
	v_sub_nc_u32_e32 v92, 29, v92
	s_delay_alu instid0(VALU_DEP_2) | instskip(NEXT) | instid1(VALU_DEP_1)
	v_lshlrev_b32_e32 v93, v93, v88
	v_dual_cndmask_b32 v92, v94, v92 :: v_dual_and_b32 v93, 7, v93
	s_delay_alu instid0(VALU_DEP_1) | instskip(NEXT) | instid1(VALU_DEP_2)
	v_lshl_add_u32 v92, v92, 23, 0x3b800000
	v_cndmask_b32_e32 v91, v91, v93, vcc_lo
	v_and_b32_e32 v93, 0x80000000, v95
	s_delay_alu instid0(VALU_DEP_2) | instskip(NEXT) | instid1(VALU_DEP_1)
	v_lshlrev_b32_e32 v91, 20, v91
	v_or3_b32 v91, v93, v92, v91
.LBB6_12317:                            ;   in Loop: Header=BB6_10858 Depth=3
	s_or_b32 exec_lo, exec_lo, s17
	s_delay_alu instid0(VALU_DEP_1) | instskip(SKIP_1) | instid1(VALU_DEP_1)
	v_dual_max_f32 v91, v91, v91 :: v_dual_max_f32 v90, v90, v90
	s_mov_b32 s13, 0
	v_max_f32_e32 v90, v90, v91
	s_branch .LBB6_12319
.LBB6_12318:                            ;   in Loop: Header=BB6_10858 Depth=3
	s_mov_b32 s13, -1
                                        ; implicit-def: $vgpr90
.LBB6_12319:                            ;   in Loop: Header=BB6_10858 Depth=3
	s_delay_alu instid0(SALU_CYCLE_1)
	s_and_b32 vcc_lo, exec_lo, s13
	s_cbranch_vccz .LBB6_12329
; %bb.12320:                            ;   in Loop: Header=BB6_10858 Depth=3
	v_and_b32_e32 v91, 0xff, v89
	s_mov_b32 s13, 0
	s_mov_b32 s31, exec_lo
                                        ; implicit-def: $sgpr17
	s_delay_alu instid0(VALU_DEP_1)
	v_cmpx_lt_i16_e32 0x7f, v91
	s_xor_b32 s31, exec_lo, s31
	s_cbranch_execnz .LBB6_13520
; %bb.12321:                            ;   in Loop: Header=BB6_10858 Depth=3
	s_or_saveexec_b32 s31, s31
	v_mov_b32_e32 v90, s17
	s_xor_b32 exec_lo, exec_lo, s31
	s_cbranch_execnz .LBB6_13523
.LBB6_12322:                            ;   in Loop: Header=BB6_10858 Depth=3
	s_or_b32 exec_lo, exec_lo, s31
	s_and_saveexec_b32 s17, s13
	s_cbranch_execz .LBB6_12324
.LBB6_12323:                            ;   in Loop: Header=BB6_10858 Depth=3
	v_bfe_u32 v90, v12, 16, 3
	v_bfe_u32 v93, v12, 19, 4
	s_delay_alu instid0(VALU_DEP_2) | instskip(NEXT) | instid1(VALU_DEP_2)
	v_clz_i32_u32_e32 v91, v90
	v_cmp_eq_u32_e32 vcc_lo, 0, v93
	s_delay_alu instid0(VALU_DEP_2) | instskip(NEXT) | instid1(VALU_DEP_1)
	v_min_u32_e32 v91, 32, v91
	v_subrev_nc_u32_e32 v92, 28, v91
	v_sub_nc_u32_e32 v91, 29, v91
	s_delay_alu instid0(VALU_DEP_1) | instskip(NEXT) | instid1(VALU_DEP_1)
	v_dual_cndmask_b32 v91, v93, v91 :: v_dual_lshlrev_b32 v92, v92, v89
	v_and_b32_e32 v92, 7, v92
	v_lshlrev_b32_e32 v89, 24, v89
	s_delay_alu instid0(VALU_DEP_3) | instskip(NEXT) | instid1(VALU_DEP_2)
	v_lshl_add_u32 v91, v91, 23, 0x3b800000
	v_dual_cndmask_b32 v90, v90, v92 :: v_dual_and_b32 v89, 0x80000000, v89
	s_delay_alu instid0(VALU_DEP_1) | instskip(NEXT) | instid1(VALU_DEP_1)
	v_lshlrev_b32_e32 v90, 20, v90
	v_or3_b32 v90, v89, v91, v90
.LBB6_12324:                            ;   in Loop: Header=BB6_10858 Depth=3
	s_or_b32 exec_lo, exec_lo, s17
	v_and_b32_e32 v91, 0xff, v88
	s_mov_b32 s13, 0
	s_mov_b32 s31, exec_lo
                                        ; implicit-def: $sgpr17
	s_delay_alu instid0(VALU_DEP_1)
	v_cmpx_lt_i16_e32 0x7f, v91
	s_xor_b32 s31, exec_lo, s31
	s_cbranch_execnz .LBB6_13524
; %bb.12325:                            ;   in Loop: Header=BB6_10858 Depth=3
	s_or_saveexec_b32 s31, s31
	v_mov_b32_e32 v89, s17
	s_xor_b32 exec_lo, exec_lo, s31
	s_cbranch_execnz .LBB6_13527
.LBB6_12326:                            ;   in Loop: Header=BB6_10858 Depth=3
	s_or_b32 exec_lo, exec_lo, s31
	s_and_saveexec_b32 s17, s13
	s_cbranch_execz .LBB6_12328
.LBB6_12327:                            ;   in Loop: Header=BB6_10858 Depth=3
	v_bfe_u32 v89, v8, 16, 3
	v_bfe_u32 v93, v8, 19, 4
	s_delay_alu instid0(VALU_DEP_2) | instskip(NEXT) | instid1(VALU_DEP_2)
	v_clz_i32_u32_e32 v91, v89
	v_cmp_eq_u32_e32 vcc_lo, 0, v93
	s_delay_alu instid0(VALU_DEP_2) | instskip(NEXT) | instid1(VALU_DEP_1)
	v_min_u32_e32 v91, 32, v91
	v_subrev_nc_u32_e32 v92, 28, v91
	v_sub_nc_u32_e32 v91, 29, v91
	s_delay_alu instid0(VALU_DEP_1) | instskip(SKIP_1) | instid1(VALU_DEP_2)
	v_dual_cndmask_b32 v91, v93, v91 :: v_dual_lshlrev_b32 v92, v92, v88
	v_lshlrev_b32_e32 v88, 24, v88
	v_and_b32_e32 v92, 7, v92
	s_delay_alu instid0(VALU_DEP_3) | instskip(NEXT) | instid1(VALU_DEP_3)
	v_lshl_add_u32 v91, v91, 23, 0x3b800000
	v_and_b32_e32 v88, 0x80000000, v88
	s_delay_alu instid0(VALU_DEP_3) | instskip(NEXT) | instid1(VALU_DEP_1)
	v_cndmask_b32_e32 v89, v89, v92, vcc_lo
	v_lshlrev_b32_e32 v89, 20, v89
	s_delay_alu instid0(VALU_DEP_1)
	v_or3_b32 v89, v88, v91, v89
.LBB6_12328:                            ;   in Loop: Header=BB6_10858 Depth=3
	s_or_b32 exec_lo, exec_lo, s17
	s_delay_alu instid0(VALU_DEP_1) | instskip(NEXT) | instid1(VALU_DEP_1)
	v_dual_max_f32 v88, v89, v89 :: v_dual_max_f32 v89, v90, v90
	v_min_f32_e32 v90, v89, v88
.LBB6_12329:                            ;   in Loop: Header=BB6_10858 Depth=3
	s_delay_alu instid0(VALU_DEP_1) | instskip(NEXT) | instid1(VALU_DEP_1)
	v_and_b32_e32 v88, 0x7f800000, v90
	v_cmp_ne_u32_e32 vcc_lo, 0x7f800000, v88
	v_mov_b32_e32 v88, 0x80
	s_and_saveexec_b32 s17, vcc_lo
	s_cbranch_execz .LBB6_12337
; %bb.12330:                            ;   in Loop: Header=BB6_10858 Depth=3
	v_mov_b32_e32 v88, 0
	s_mov_b32 s31, exec_lo
	v_cmpx_ne_u32_e32 0, v90
	s_cbranch_execz .LBB6_12336
; %bb.12331:                            ;   in Loop: Header=BB6_10858 Depth=3
	v_bfe_u32 v88, v90, 23, 8
	v_and_b32_e32 v89, 0x7fffff, v90
	s_delay_alu instid0(VALU_DEP_2) | instskip(SKIP_1) | instid1(VALU_DEP_3)
	v_sub_nc_u32_e32 v91, 0x78, v88
	v_cmp_gt_u32_e32 vcc_lo, 0x79, v88
	v_or_b32_e32 v92, 0x800000, v89
	s_delay_alu instid0(VALU_DEP_3) | instskip(SKIP_2) | instid1(VALU_DEP_3)
	v_cndmask_b32_e32 v91, 0, v91, vcc_lo
	v_cmp_eq_u32_e32 vcc_lo, 0, v88
	v_add_nc_u32_e32 v88, 0xffffff89, v88
	v_cndmask_b32_e64 v91, v91, 0x77, vcc_lo
	v_cndmask_b32_e32 v89, v92, v89, vcc_lo
	s_delay_alu instid0(VALU_DEP_3) | instskip(NEXT) | instid1(VALU_DEP_3)
	v_cndmask_b32_e64 v88, v88, 0xffffff8a, vcc_lo
	v_lshl_add_u32 v92, 0x100000, v91, -1
	s_delay_alu instid0(VALU_DEP_3) | instskip(SKIP_1) | instid1(VALU_DEP_4)
	v_lshrrev_b32_e32 v93, v91, v89
	v_lshlrev_b32_e64 v95, v91, 0x80000
	v_add_nc_u32_e32 v91, v91, v88
	s_delay_alu instid0(VALU_DEP_4) | instskip(NEXT) | instid1(VALU_DEP_4)
	v_and_b32_e32 v89, v92, v89
	v_bfe_u32 v94, v93, 20, 1
	s_delay_alu instid0(VALU_DEP_2) | instskip(NEXT) | instid1(VALU_DEP_2)
	v_cmp_eq_u32_e64 s13, v89, v95
	v_add_nc_u32_e32 v92, -1, v94
	s_delay_alu instid0(VALU_DEP_1) | instskip(SKIP_2) | instid1(VALU_DEP_2)
	v_cndmask_b32_e64 v89, 0, v92, s13
	v_lshrrev_b32_e32 v92, 23, v93
	s_mov_b32 s13, exec_lo
	v_add_nc_u32_e32 v89, v89, v93
	s_delay_alu instid0(VALU_DEP_2) | instskip(NEXT) | instid1(VALU_DEP_2)
	v_xor_b32_e32 v92, 1, v92
	v_and_b32_e32 v88, 0xfffff, v89
	s_delay_alu instid0(VALU_DEP_1) | instskip(NEXT) | instid1(VALU_DEP_3)
	v_add_nc_u32_e32 v89, v88, v93
                                        ; implicit-def: $vgpr88
	v_cmpx_ne_u32_e64 v91, v92
	s_xor_b32 s13, exec_lo, s13
; %bb.12332:                            ;   in Loop: Header=BB6_10858 Depth=3
	s_delay_alu instid0(VALU_DEP_2) | instskip(SKIP_2) | instid1(VALU_DEP_2)
	v_cmp_lt_u32_e32 vcc_lo, 0xffffff, v89
	v_sub_nc_u32_e32 v88, v91, v92
	v_cndmask_b32_e64 v91, 0, 1, vcc_lo
	v_add_co_ci_u32_e32 v88, vcc_lo, 0, v88, vcc_lo
	s_delay_alu instid0(VALU_DEP_2)
	v_lshrrev_b32_e32 v89, v91, v89
; %bb.12333:                            ;   in Loop: Header=BB6_10858 Depth=3
	s_and_not1_saveexec_b32 s13, s13
; %bb.12334:                            ;   in Loop: Header=BB6_10858 Depth=3
	s_delay_alu instid0(VALU_DEP_1)
	v_bfe_u32 v88, v89, 23, 1
; %bb.12335:                            ;   in Loop: Header=BB6_10858 Depth=3
	s_or_b32 exec_lo, exec_lo, s13
	v_lshrrev_b32_e32 v89, 20, v89
	s_delay_alu instid0(VALU_DEP_2) | instskip(SKIP_2) | instid1(VALU_DEP_2)
	v_cmp_gt_i32_e32 vcc_lo, 16, v88
	v_lshrrev_b32_e32 v90, 24, v90
	v_min_i32_e32 v91, 15, v88
	v_dual_cndmask_b32 v89, 7, v89 :: v_dual_and_b32 v90, 0x80, v90
	s_delay_alu instid0(VALU_DEP_1) | instskip(SKIP_1) | instid1(VALU_DEP_2)
	v_or_b32_e32 v88, v88, v89
	v_and_b32_e32 v92, 7, v89
	v_cmp_ne_u32_e32 vcc_lo, 0, v88
	v_lshlrev_b32_e32 v91, 3, v91
	s_delay_alu instid0(VALU_DEP_1) | instskip(NEXT) | instid1(VALU_DEP_1)
	v_or3_b32 v89, v91, v90, v92
	v_cndmask_b32_e32 v88, 0, v89, vcc_lo
.LBB6_12336:                            ;   in Loop: Header=BB6_10858 Depth=3
	s_or_b32 exec_lo, exec_lo, s31
.LBB6_12337:                            ;   in Loop: Header=BB6_10858 Depth=3
	s_delay_alu instid0(SALU_CYCLE_1)
	s_or_b32 exec_lo, exec_lo, s17
	v_lshrrev_b32_e32 v90, 24, v12
	v_lshrrev_b32_e32 v89, 24, v8
	s_and_not1_b32 vcc_lo, exec_lo, s16
	s_cbranch_vccnz .LBB6_12347
; %bb.12338:                            ;   in Loop: Header=BB6_10858 Depth=3
	s_mov_b32 s13, 0
	s_mov_b32 s31, exec_lo
                                        ; implicit-def: $sgpr17
	v_cmpx_lt_i16_e32 0x7f, v90
	s_xor_b32 s31, exec_lo, s31
	s_cbranch_execnz .LBB6_13528
; %bb.12339:                            ;   in Loop: Header=BB6_10858 Depth=3
	s_or_saveexec_b32 s31, s31
	v_mov_b32_e32 v91, s17
	s_xor_b32 exec_lo, exec_lo, s31
	s_cbranch_execnz .LBB6_13531
.LBB6_12340:                            ;   in Loop: Header=BB6_10858 Depth=3
	s_or_b32 exec_lo, exec_lo, s31
	s_and_saveexec_b32 s17, s13
	s_cbranch_execz .LBB6_12342
.LBB6_12341:                            ;   in Loop: Header=BB6_10858 Depth=3
	v_bfe_u32 v91, v12, 24, 3
	v_bfe_u32 v94, v12, 27, 4
	s_delay_alu instid0(VALU_DEP_2) | instskip(NEXT) | instid1(VALU_DEP_2)
	v_clz_i32_u32_e32 v92, v91
	v_cmp_eq_u32_e32 vcc_lo, 0, v94
	s_delay_alu instid0(VALU_DEP_2) | instskip(NEXT) | instid1(VALU_DEP_1)
	v_min_u32_e32 v92, 32, v92
	v_subrev_nc_u32_e32 v93, 28, v92
	v_sub_nc_u32_e32 v92, 29, v92
	s_delay_alu instid0(VALU_DEP_1) | instskip(NEXT) | instid1(VALU_DEP_1)
	v_dual_cndmask_b32 v92, v94, v92 :: v_dual_lshlrev_b32 v93, v93, v90
	v_and_b32_e32 v93, 7, v93
	s_delay_alu instid0(VALU_DEP_2) | instskip(NEXT) | instid1(VALU_DEP_2)
	v_lshl_add_u32 v92, v92, 23, 0x3b800000
	v_cndmask_b32_e32 v91, v91, v93, vcc_lo
	v_and_b32_e32 v93, 0x80000000, v12
	s_delay_alu instid0(VALU_DEP_2) | instskip(NEXT) | instid1(VALU_DEP_1)
	v_lshlrev_b32_e32 v91, 20, v91
	v_or3_b32 v91, v93, v92, v91
.LBB6_12342:                            ;   in Loop: Header=BB6_10858 Depth=3
	s_or_b32 exec_lo, exec_lo, s17
	s_mov_b32 s13, 0
	s_mov_b32 s31, exec_lo
                                        ; implicit-def: $sgpr17
	v_cmpx_lt_i16_e32 0x7f, v89
	s_xor_b32 s31, exec_lo, s31
	s_cbranch_execnz .LBB6_13532
; %bb.12343:                            ;   in Loop: Header=BB6_10858 Depth=3
	s_or_saveexec_b32 s31, s31
	v_mov_b32_e32 v92, s17
	s_xor_b32 exec_lo, exec_lo, s31
	s_cbranch_execnz .LBB6_13535
.LBB6_12344:                            ;   in Loop: Header=BB6_10858 Depth=3
	s_or_b32 exec_lo, exec_lo, s31
	s_and_saveexec_b32 s17, s13
	s_cbranch_execz .LBB6_12346
.LBB6_12345:                            ;   in Loop: Header=BB6_10858 Depth=3
	v_bfe_u32 v92, v8, 24, 3
	v_bfe_u32 v95, v8, 27, 4
	s_delay_alu instid0(VALU_DEP_2) | instskip(NEXT) | instid1(VALU_DEP_2)
	v_clz_i32_u32_e32 v93, v92
	v_cmp_eq_u32_e32 vcc_lo, 0, v95
	s_delay_alu instid0(VALU_DEP_2) | instskip(NEXT) | instid1(VALU_DEP_1)
	v_min_u32_e32 v93, 32, v93
	v_subrev_nc_u32_e32 v94, 28, v93
	v_sub_nc_u32_e32 v93, 29, v93
	s_delay_alu instid0(VALU_DEP_2) | instskip(NEXT) | instid1(VALU_DEP_1)
	v_lshlrev_b32_e32 v94, v94, v89
	v_dual_cndmask_b32 v93, v95, v93 :: v_dual_and_b32 v94, 7, v94
	s_delay_alu instid0(VALU_DEP_1) | instskip(NEXT) | instid1(VALU_DEP_2)
	v_lshl_add_u32 v93, v93, 23, 0x3b800000
	v_cndmask_b32_e32 v92, v92, v94, vcc_lo
	v_and_b32_e32 v94, 0x80000000, v8
	s_delay_alu instid0(VALU_DEP_2) | instskip(NEXT) | instid1(VALU_DEP_1)
	v_lshlrev_b32_e32 v92, 20, v92
	v_or3_b32 v92, v94, v93, v92
.LBB6_12346:                            ;   in Loop: Header=BB6_10858 Depth=3
	s_or_b32 exec_lo, exec_lo, s17
	s_delay_alu instid0(VALU_DEP_1) | instskip(SKIP_1) | instid1(VALU_DEP_1)
	v_dual_max_f32 v92, v92, v92 :: v_dual_max_f32 v91, v91, v91
	s_mov_b32 s13, 0
	v_max_f32_e32 v91, v91, v92
	s_branch .LBB6_12348
.LBB6_12347:                            ;   in Loop: Header=BB6_10858 Depth=3
	s_mov_b32 s13, -1
                                        ; implicit-def: $vgpr91
.LBB6_12348:                            ;   in Loop: Header=BB6_10858 Depth=3
	s_delay_alu instid0(SALU_CYCLE_1)
	s_and_b32 vcc_lo, exec_lo, s13
	s_cbranch_vccz .LBB6_12358
; %bb.12349:                            ;   in Loop: Header=BB6_10858 Depth=3
	s_mov_b32 s13, 0
	s_mov_b32 s31, exec_lo
                                        ; implicit-def: $sgpr17
	v_cmpx_lt_i16_e32 0x7f, v90
	s_xor_b32 s31, exec_lo, s31
	s_cbranch_execnz .LBB6_13536
; %bb.12350:                            ;   in Loop: Header=BB6_10858 Depth=3
	s_or_saveexec_b32 s31, s31
	v_mov_b32_e32 v91, s17
	s_xor_b32 exec_lo, exec_lo, s31
	s_cbranch_execnz .LBB6_13539
.LBB6_12351:                            ;   in Loop: Header=BB6_10858 Depth=3
	s_or_b32 exec_lo, exec_lo, s31
	s_and_saveexec_b32 s17, s13
	s_cbranch_execz .LBB6_12353
.LBB6_12352:                            ;   in Loop: Header=BB6_10858 Depth=3
	v_bfe_u32 v91, v12, 24, 3
	s_delay_alu instid0(VALU_DEP_1) | instskip(NEXT) | instid1(VALU_DEP_1)
	v_clz_i32_u32_e32 v92, v91
	v_min_u32_e32 v92, 32, v92
	s_delay_alu instid0(VALU_DEP_1) | instskip(SKIP_1) | instid1(VALU_DEP_2)
	v_subrev_nc_u32_e32 v93, 28, v92
	v_sub_nc_u32_e32 v92, 29, v92
	v_lshlrev_b32_e32 v90, v93, v90
	v_bfe_u32 v93, v12, 27, 4
	v_and_b32_e32 v12, 0x80000000, v12
	s_delay_alu instid0(VALU_DEP_3) | instskip(NEXT) | instid1(VALU_DEP_3)
	v_and_b32_e32 v90, 7, v90
	v_cmp_eq_u32_e32 vcc_lo, 0, v93
	v_cndmask_b32_e32 v92, v93, v92, vcc_lo
	s_delay_alu instid0(VALU_DEP_3) | instskip(NEXT) | instid1(VALU_DEP_2)
	v_cndmask_b32_e32 v90, v91, v90, vcc_lo
	v_lshl_add_u32 v91, v92, 23, 0x3b800000
	s_delay_alu instid0(VALU_DEP_2) | instskip(NEXT) | instid1(VALU_DEP_1)
	v_lshlrev_b32_e32 v90, 20, v90
	v_or3_b32 v91, v12, v91, v90
.LBB6_12353:                            ;   in Loop: Header=BB6_10858 Depth=3
	s_or_b32 exec_lo, exec_lo, s17
	s_mov_b32 s13, 0
	s_mov_b32 s31, exec_lo
                                        ; implicit-def: $sgpr17
	v_cmpx_lt_i16_e32 0x7f, v89
	s_xor_b32 s31, exec_lo, s31
	s_cbranch_execnz .LBB6_13540
; %bb.12354:                            ;   in Loop: Header=BB6_10858 Depth=3
	s_or_saveexec_b32 s31, s31
	v_mov_b32_e32 v12, s17
	s_xor_b32 exec_lo, exec_lo, s31
	s_cbranch_execnz .LBB6_13543
.LBB6_12355:                            ;   in Loop: Header=BB6_10858 Depth=3
	s_or_b32 exec_lo, exec_lo, s31
	s_and_saveexec_b32 s17, s13
	s_cbranch_execz .LBB6_12357
.LBB6_12356:                            ;   in Loop: Header=BB6_10858 Depth=3
	v_bfe_u32 v12, v8, 24, 3
	s_delay_alu instid0(VALU_DEP_1) | instskip(NEXT) | instid1(VALU_DEP_1)
	v_clz_i32_u32_e32 v90, v12
	v_min_u32_e32 v90, 32, v90
	s_delay_alu instid0(VALU_DEP_1) | instskip(SKIP_1) | instid1(VALU_DEP_2)
	v_subrev_nc_u32_e32 v92, 28, v90
	v_sub_nc_u32_e32 v90, 29, v90
	v_lshlrev_b32_e32 v89, v92, v89
	v_bfe_u32 v92, v8, 27, 4
	v_and_b32_e32 v8, 0x80000000, v8
	s_delay_alu instid0(VALU_DEP_2) | instskip(NEXT) | instid1(VALU_DEP_4)
	v_cmp_eq_u32_e32 vcc_lo, 0, v92
	v_dual_cndmask_b32 v90, v92, v90 :: v_dual_and_b32 v89, 7, v89
	s_delay_alu instid0(VALU_DEP_1) | instskip(NEXT) | instid1(VALU_DEP_2)
	v_cndmask_b32_e32 v12, v12, v89, vcc_lo
	v_lshl_add_u32 v89, v90, 23, 0x3b800000
	s_delay_alu instid0(VALU_DEP_2) | instskip(NEXT) | instid1(VALU_DEP_1)
	v_lshlrev_b32_e32 v12, 20, v12
	v_or3_b32 v12, v8, v89, v12
.LBB6_12357:                            ;   in Loop: Header=BB6_10858 Depth=3
	s_or_b32 exec_lo, exec_lo, s17
	s_delay_alu instid0(VALU_DEP_1) | instskip(SKIP_1) | instid1(VALU_DEP_1)
	v_max_f32_e32 v8, v12, v12
	v_max_f32_e32 v12, v91, v91
	v_min_f32_e32 v91, v12, v8
.LBB6_12358:                            ;   in Loop: Header=BB6_10858 Depth=3
	s_delay_alu instid0(VALU_DEP_1) | instskip(NEXT) | instid1(VALU_DEP_1)
	v_and_b32_e32 v8, 0x7f800000, v91
	v_cmp_ne_u32_e32 vcc_lo, 0x7f800000, v8
	v_mov_b32_e32 v8, 0x80
	s_and_saveexec_b32 s17, vcc_lo
	s_cbranch_execz .LBB6_12366
; %bb.12359:                            ;   in Loop: Header=BB6_10858 Depth=3
	v_mov_b32_e32 v8, 0
	s_mov_b32 s31, exec_lo
	v_cmpx_ne_u32_e32 0, v91
	s_cbranch_execz .LBB6_12365
; %bb.12360:                            ;   in Loop: Header=BB6_10858 Depth=3
	v_bfe_u32 v8, v91, 23, 8
	s_delay_alu instid0(VALU_DEP_1) | instskip(SKIP_1) | instid1(VALU_DEP_2)
	v_sub_nc_u32_e32 v89, 0x78, v8
	v_cmp_gt_u32_e32 vcc_lo, 0x79, v8
	v_dual_cndmask_b32 v89, 0, v89 :: v_dual_and_b32 v12, 0x7fffff, v91
	s_delay_alu instid0(VALU_DEP_1) | instskip(SKIP_2) | instid1(VALU_DEP_4)
	v_or_b32_e32 v90, 0x800000, v12
	v_cmp_eq_u32_e32 vcc_lo, 0, v8
	v_add_nc_u32_e32 v8, 0xffffff89, v8
	v_cndmask_b32_e64 v89, v89, 0x77, vcc_lo
	s_delay_alu instid0(VALU_DEP_4) | instskip(NEXT) | instid1(VALU_DEP_3)
	v_cndmask_b32_e32 v12, v90, v12, vcc_lo
	v_cndmask_b32_e64 v8, v8, 0xffffff8a, vcc_lo
	s_delay_alu instid0(VALU_DEP_3) | instskip(NEXT) | instid1(VALU_DEP_3)
	v_lshl_add_u32 v90, 0x100000, v89, -1
	v_lshrrev_b32_e32 v92, v89, v12
	v_lshlrev_b32_e64 v94, v89, 0x80000
	s_delay_alu instid0(VALU_DEP_4) | instskip(NEXT) | instid1(VALU_DEP_4)
	v_add_nc_u32_e32 v89, v89, v8
	v_and_b32_e32 v12, v90, v12
	s_delay_alu instid0(VALU_DEP_4) | instskip(NEXT) | instid1(VALU_DEP_2)
	v_bfe_u32 v93, v92, 20, 1
	v_cmp_eq_u32_e64 s13, v12, v94
	s_delay_alu instid0(VALU_DEP_2) | instskip(NEXT) | instid1(VALU_DEP_1)
	v_add_nc_u32_e32 v90, -1, v93
	v_cndmask_b32_e64 v12, 0, v90, s13
	v_lshrrev_b32_e32 v90, 23, v92
	s_mov_b32 s13, exec_lo
	s_delay_alu instid0(VALU_DEP_2) | instskip(NEXT) | instid1(VALU_DEP_2)
	v_add_nc_u32_e32 v12, v12, v92
	v_xor_b32_e32 v90, 1, v90
	s_delay_alu instid0(VALU_DEP_2) | instskip(NEXT) | instid1(VALU_DEP_1)
	v_and_b32_e32 v8, 0xfffff, v12
	v_add_nc_u32_e32 v12, v8, v92
                                        ; implicit-def: $vgpr8
	s_delay_alu instid0(VALU_DEP_3)
	v_cmpx_ne_u32_e64 v89, v90
	s_xor_b32 s13, exec_lo, s13
; %bb.12361:                            ;   in Loop: Header=BB6_10858 Depth=3
	s_delay_alu instid0(VALU_DEP_2) | instskip(SKIP_2) | instid1(VALU_DEP_2)
	v_cmp_lt_u32_e32 vcc_lo, 0xffffff, v12
	v_sub_nc_u32_e32 v8, v89, v90
	v_cndmask_b32_e64 v89, 0, 1, vcc_lo
	v_add_co_ci_u32_e32 v8, vcc_lo, 0, v8, vcc_lo
	s_delay_alu instid0(VALU_DEP_2)
	v_lshrrev_b32_e32 v12, v89, v12
; %bb.12362:                            ;   in Loop: Header=BB6_10858 Depth=3
	s_and_not1_saveexec_b32 s13, s13
; %bb.12363:                            ;   in Loop: Header=BB6_10858 Depth=3
	s_delay_alu instid0(VALU_DEP_1)
	v_bfe_u32 v8, v12, 23, 1
; %bb.12364:                            ;   in Loop: Header=BB6_10858 Depth=3
	s_or_b32 exec_lo, exec_lo, s13
	v_lshrrev_b32_e32 v12, 20, v12
	s_delay_alu instid0(VALU_DEP_2) | instskip(SKIP_2) | instid1(VALU_DEP_2)
	v_cmp_gt_i32_e32 vcc_lo, 16, v8
	v_lshrrev_b32_e32 v89, 24, v91
	v_min_i32_e32 v90, 15, v8
	v_dual_cndmask_b32 v12, 7, v12 :: v_dual_and_b32 v89, 0x80, v89
	s_delay_alu instid0(VALU_DEP_2) | instskip(NEXT) | instid1(VALU_DEP_2)
	v_lshlrev_b32_e32 v90, 3, v90
	v_and_b32_e32 v91, 7, v12
	v_or_b32_e32 v8, v8, v12
	s_delay_alu instid0(VALU_DEP_2) | instskip(NEXT) | instid1(VALU_DEP_2)
	v_or3_b32 v12, v90, v89, v91
	v_cmp_ne_u32_e32 vcc_lo, 0, v8
	s_delay_alu instid0(VALU_DEP_2)
	v_cndmask_b32_e32 v8, 0, v12, vcc_lo
.LBB6_12365:                            ;   in Loop: Header=BB6_10858 Depth=3
	s_or_b32 exec_lo, exec_lo, s31
.LBB6_12366:                            ;   in Loop: Header=BB6_10858 Depth=3
	s_delay_alu instid0(SALU_CYCLE_1) | instskip(NEXT) | instid1(SALU_CYCLE_1)
	s_or_b32 exec_lo, exec_lo, s17
	s_and_not1_b32 vcc_lo, exec_lo, s16
	s_cbranch_vccnz .LBB6_12376
; %bb.12367:                            ;   in Loop: Header=BB6_10858 Depth=3
	v_and_b32_e32 v89, 0xff, v13
	s_mov_b32 s13, 0
	s_mov_b32 s31, exec_lo
                                        ; implicit-def: $sgpr17
	s_delay_alu instid0(VALU_DEP_1)
	v_cmpx_lt_i16_e32 0x7f, v89
	s_xor_b32 s31, exec_lo, s31
	s_cbranch_execnz .LBB6_13544
; %bb.12368:                            ;   in Loop: Header=BB6_10858 Depth=3
	s_or_saveexec_b32 s31, s31
	v_mov_b32_e32 v12, s17
	s_xor_b32 exec_lo, exec_lo, s31
	s_cbranch_execnz .LBB6_13547
.LBB6_12369:                            ;   in Loop: Header=BB6_10858 Depth=3
	s_or_b32 exec_lo, exec_lo, s31
	s_and_saveexec_b32 s17, s13
	s_cbranch_execz .LBB6_12371
.LBB6_12370:                            ;   in Loop: Header=BB6_10858 Depth=3
	v_and_b32_e32 v12, 7, v13
	v_bfe_u32 v91, v13, 3, 4
	v_lshlrev_b32_e32 v92, 24, v13
	s_delay_alu instid0(VALU_DEP_3) | instskip(NEXT) | instid1(VALU_DEP_3)
	v_clz_i32_u32_e32 v89, v12
	v_cmp_eq_u32_e32 vcc_lo, 0, v91
	s_delay_alu instid0(VALU_DEP_2) | instskip(NEXT) | instid1(VALU_DEP_1)
	v_min_u32_e32 v89, 32, v89
	v_subrev_nc_u32_e32 v90, 28, v89
	v_sub_nc_u32_e32 v89, 29, v89
	s_delay_alu instid0(VALU_DEP_2) | instskip(NEXT) | instid1(VALU_DEP_1)
	v_lshlrev_b32_e32 v90, v90, v13
	v_dual_cndmask_b32 v89, v91, v89 :: v_dual_and_b32 v90, 7, v90
	s_delay_alu instid0(VALU_DEP_1) | instskip(NEXT) | instid1(VALU_DEP_2)
	v_lshl_add_u32 v89, v89, 23, 0x3b800000
	v_cndmask_b32_e32 v12, v12, v90, vcc_lo
	v_and_b32_e32 v90, 0x80000000, v92
	s_delay_alu instid0(VALU_DEP_2) | instskip(NEXT) | instid1(VALU_DEP_1)
	v_lshlrev_b32_e32 v12, 20, v12
	v_or3_b32 v12, v90, v89, v12
.LBB6_12371:                            ;   in Loop: Header=BB6_10858 Depth=3
	s_or_b32 exec_lo, exec_lo, s17
	v_and_b32_e32 v90, 0xff, v9
	s_mov_b32 s13, 0
	s_mov_b32 s31, exec_lo
                                        ; implicit-def: $sgpr17
	s_delay_alu instid0(VALU_DEP_1)
	v_cmpx_lt_i16_e32 0x7f, v90
	s_xor_b32 s31, exec_lo, s31
	s_cbranch_execnz .LBB6_13548
; %bb.12372:                            ;   in Loop: Header=BB6_10858 Depth=3
	s_or_saveexec_b32 s31, s31
	v_mov_b32_e32 v89, s17
	s_xor_b32 exec_lo, exec_lo, s31
	s_cbranch_execnz .LBB6_13551
.LBB6_12373:                            ;   in Loop: Header=BB6_10858 Depth=3
	s_or_b32 exec_lo, exec_lo, s31
	s_and_saveexec_b32 s17, s13
	s_cbranch_execz .LBB6_12375
.LBB6_12374:                            ;   in Loop: Header=BB6_10858 Depth=3
	v_bfe_u32 v92, v9, 3, 4
	v_lshlrev_b32_e32 v93, 24, v9
	s_delay_alu instid0(VALU_DEP_2) | instskip(SKIP_1) | instid1(VALU_DEP_1)
	v_cmp_eq_u32_e32 vcc_lo, 0, v92
	v_and_b32_e32 v89, 7, v9
	v_clz_i32_u32_e32 v90, v89
	s_delay_alu instid0(VALU_DEP_1) | instskip(NEXT) | instid1(VALU_DEP_1)
	v_min_u32_e32 v90, 32, v90
	v_subrev_nc_u32_e32 v91, 28, v90
	v_sub_nc_u32_e32 v90, 29, v90
	s_delay_alu instid0(VALU_DEP_1) | instskip(NEXT) | instid1(VALU_DEP_1)
	v_dual_cndmask_b32 v90, v92, v90 :: v_dual_lshlrev_b32 v91, v91, v9
	v_and_b32_e32 v91, 7, v91
	s_delay_alu instid0(VALU_DEP_2) | instskip(NEXT) | instid1(VALU_DEP_2)
	v_lshl_add_u32 v90, v90, 23, 0x3b800000
	v_cndmask_b32_e32 v89, v89, v91, vcc_lo
	v_and_b32_e32 v91, 0x80000000, v93
	s_delay_alu instid0(VALU_DEP_2) | instskip(NEXT) | instid1(VALU_DEP_1)
	v_lshlrev_b32_e32 v89, 20, v89
	v_or3_b32 v89, v91, v90, v89
.LBB6_12375:                            ;   in Loop: Header=BB6_10858 Depth=3
	s_or_b32 exec_lo, exec_lo, s17
	s_delay_alu instid0(VALU_DEP_1) | instskip(SKIP_1) | instid1(VALU_DEP_1)
	v_dual_max_f32 v89, v89, v89 :: v_dual_max_f32 v12, v12, v12
	s_mov_b32 s13, 0
	v_max_f32_e32 v89, v12, v89
	s_branch .LBB6_12377
.LBB6_12376:                            ;   in Loop: Header=BB6_10858 Depth=3
	s_mov_b32 s13, -1
                                        ; implicit-def: $vgpr89
.LBB6_12377:                            ;   in Loop: Header=BB6_10858 Depth=3
	s_delay_alu instid0(SALU_CYCLE_1)
	s_and_b32 vcc_lo, exec_lo, s13
	s_cbranch_vccz .LBB6_12387
; %bb.12378:                            ;   in Loop: Header=BB6_10858 Depth=3
	v_and_b32_e32 v89, 0xff, v13
	s_mov_b32 s13, 0
	s_mov_b32 s31, exec_lo
                                        ; implicit-def: $sgpr17
	s_delay_alu instid0(VALU_DEP_1)
	v_cmpx_lt_i16_e32 0x7f, v89
	s_xor_b32 s31, exec_lo, s31
	s_cbranch_execnz .LBB6_13552
; %bb.12379:                            ;   in Loop: Header=BB6_10858 Depth=3
	s_or_saveexec_b32 s31, s31
	v_mov_b32_e32 v12, s17
	s_xor_b32 exec_lo, exec_lo, s31
	s_cbranch_execnz .LBB6_13555
.LBB6_12380:                            ;   in Loop: Header=BB6_10858 Depth=3
	s_or_b32 exec_lo, exec_lo, s31
	s_and_saveexec_b32 s17, s13
	s_cbranch_execz .LBB6_12382
.LBB6_12381:                            ;   in Loop: Header=BB6_10858 Depth=3
	v_and_b32_e32 v12, 7, v13
	v_bfe_u32 v91, v13, 3, 4
	v_lshlrev_b32_e32 v92, 24, v13
	s_delay_alu instid0(VALU_DEP_3) | instskip(NEXT) | instid1(VALU_DEP_3)
	v_clz_i32_u32_e32 v89, v12
	v_cmp_eq_u32_e32 vcc_lo, 0, v91
	s_delay_alu instid0(VALU_DEP_2) | instskip(NEXT) | instid1(VALU_DEP_1)
	v_min_u32_e32 v89, 32, v89
	v_subrev_nc_u32_e32 v90, 28, v89
	v_sub_nc_u32_e32 v89, 29, v89
	s_delay_alu instid0(VALU_DEP_2) | instskip(NEXT) | instid1(VALU_DEP_1)
	v_lshlrev_b32_e32 v90, v90, v13
	v_dual_cndmask_b32 v89, v91, v89 :: v_dual_and_b32 v90, 7, v90
	s_delay_alu instid0(VALU_DEP_1) | instskip(NEXT) | instid1(VALU_DEP_2)
	v_lshl_add_u32 v89, v89, 23, 0x3b800000
	v_cndmask_b32_e32 v12, v12, v90, vcc_lo
	v_and_b32_e32 v90, 0x80000000, v92
	s_delay_alu instid0(VALU_DEP_2) | instskip(NEXT) | instid1(VALU_DEP_1)
	v_lshlrev_b32_e32 v12, 20, v12
	v_or3_b32 v12, v90, v89, v12
.LBB6_12382:                            ;   in Loop: Header=BB6_10858 Depth=3
	s_or_b32 exec_lo, exec_lo, s17
	v_and_b32_e32 v90, 0xff, v9
	s_mov_b32 s13, 0
	s_mov_b32 s31, exec_lo
                                        ; implicit-def: $sgpr17
	s_delay_alu instid0(VALU_DEP_1)
	v_cmpx_lt_i16_e32 0x7f, v90
	s_xor_b32 s31, exec_lo, s31
	s_cbranch_execnz .LBB6_13556
; %bb.12383:                            ;   in Loop: Header=BB6_10858 Depth=3
	s_or_saveexec_b32 s31, s31
	v_mov_b32_e32 v89, s17
	s_xor_b32 exec_lo, exec_lo, s31
	s_cbranch_execnz .LBB6_13559
.LBB6_12384:                            ;   in Loop: Header=BB6_10858 Depth=3
	s_or_b32 exec_lo, exec_lo, s31
	s_and_saveexec_b32 s17, s13
	s_cbranch_execz .LBB6_12386
.LBB6_12385:                            ;   in Loop: Header=BB6_10858 Depth=3
	v_bfe_u32 v92, v9, 3, 4
	v_lshlrev_b32_e32 v93, 24, v9
	s_delay_alu instid0(VALU_DEP_2) | instskip(SKIP_1) | instid1(VALU_DEP_1)
	v_cmp_eq_u32_e32 vcc_lo, 0, v92
	v_and_b32_e32 v89, 7, v9
	v_clz_i32_u32_e32 v90, v89
	s_delay_alu instid0(VALU_DEP_1) | instskip(NEXT) | instid1(VALU_DEP_1)
	v_min_u32_e32 v90, 32, v90
	v_subrev_nc_u32_e32 v91, 28, v90
	v_sub_nc_u32_e32 v90, 29, v90
	s_delay_alu instid0(VALU_DEP_1) | instskip(NEXT) | instid1(VALU_DEP_1)
	v_dual_cndmask_b32 v90, v92, v90 :: v_dual_lshlrev_b32 v91, v91, v9
	v_and_b32_e32 v91, 7, v91
	s_delay_alu instid0(VALU_DEP_2) | instskip(NEXT) | instid1(VALU_DEP_2)
	v_lshl_add_u32 v90, v90, 23, 0x3b800000
	v_cndmask_b32_e32 v89, v89, v91, vcc_lo
	v_and_b32_e32 v91, 0x80000000, v93
	s_delay_alu instid0(VALU_DEP_2) | instskip(NEXT) | instid1(VALU_DEP_1)
	v_lshlrev_b32_e32 v89, 20, v89
	v_or3_b32 v89, v91, v90, v89
.LBB6_12386:                            ;   in Loop: Header=BB6_10858 Depth=3
	s_or_b32 exec_lo, exec_lo, s17
	s_delay_alu instid0(VALU_DEP_1) | instskip(NEXT) | instid1(VALU_DEP_1)
	v_dual_max_f32 v89, v89, v89 :: v_dual_max_f32 v12, v12, v12
	v_min_f32_e32 v89, v12, v89
.LBB6_12387:                            ;   in Loop: Header=BB6_10858 Depth=3
	s_delay_alu instid0(VALU_DEP_1) | instskip(NEXT) | instid1(VALU_DEP_1)
	v_and_b32_e32 v12, 0x7f800000, v89
	v_cmp_ne_u32_e32 vcc_lo, 0x7f800000, v12
	v_mov_b32_e32 v12, 0x80
	s_and_saveexec_b32 s17, vcc_lo
	s_cbranch_execz .LBB6_12395
; %bb.12388:                            ;   in Loop: Header=BB6_10858 Depth=3
	v_mov_b32_e32 v12, 0
	s_mov_b32 s31, exec_lo
	v_cmpx_ne_u32_e32 0, v89
	s_cbranch_execz .LBB6_12394
; %bb.12389:                            ;   in Loop: Header=BB6_10858 Depth=3
	v_bfe_u32 v12, v89, 23, 8
	s_delay_alu instid0(VALU_DEP_1) | instskip(SKIP_1) | instid1(VALU_DEP_2)
	v_sub_nc_u32_e32 v91, 0x78, v12
	v_cmp_gt_u32_e32 vcc_lo, 0x79, v12
	v_dual_cndmask_b32 v91, 0, v91 :: v_dual_and_b32 v90, 0x7fffff, v89
	s_delay_alu instid0(VALU_DEP_1) | instskip(SKIP_2) | instid1(VALU_DEP_4)
	v_or_b32_e32 v92, 0x800000, v90
	v_cmp_eq_u32_e32 vcc_lo, 0, v12
	v_add_nc_u32_e32 v12, 0xffffff89, v12
	v_cndmask_b32_e64 v91, v91, 0x77, vcc_lo
	s_delay_alu instid0(VALU_DEP_2) | instskip(SKIP_1) | instid1(VALU_DEP_3)
	v_cndmask_b32_e64 v12, v12, 0xffffff8a, vcc_lo
	v_cndmask_b32_e32 v90, v92, v90, vcc_lo
	v_lshl_add_u32 v92, 0x100000, v91, -1
	v_lshlrev_b32_e64 v95, v91, 0x80000
	s_delay_alu instid0(VALU_DEP_3) | instskip(SKIP_1) | instid1(VALU_DEP_4)
	v_lshrrev_b32_e32 v93, v91, v90
	v_add_nc_u32_e32 v91, v91, v12
	v_and_b32_e32 v90, v92, v90
	s_delay_alu instid0(VALU_DEP_3) | instskip(NEXT) | instid1(VALU_DEP_2)
	v_bfe_u32 v94, v93, 20, 1
	v_cmp_eq_u32_e64 s13, v90, v95
	s_delay_alu instid0(VALU_DEP_2) | instskip(NEXT) | instid1(VALU_DEP_1)
	v_add_nc_u32_e32 v92, -1, v94
	v_cndmask_b32_e64 v90, 0, v92, s13
	v_lshrrev_b32_e32 v92, 23, v93
	s_mov_b32 s13, exec_lo
	s_delay_alu instid0(VALU_DEP_2) | instskip(NEXT) | instid1(VALU_DEP_2)
	v_add_nc_u32_e32 v90, v90, v93
	v_xor_b32_e32 v92, 1, v92
	s_delay_alu instid0(VALU_DEP_2) | instskip(NEXT) | instid1(VALU_DEP_1)
	v_and_b32_e32 v12, 0xfffff, v90
	v_add_nc_u32_e32 v90, v12, v93
                                        ; implicit-def: $vgpr12
	s_delay_alu instid0(VALU_DEP_3)
	v_cmpx_ne_u32_e64 v91, v92
	s_xor_b32 s13, exec_lo, s13
; %bb.12390:                            ;   in Loop: Header=BB6_10858 Depth=3
	s_delay_alu instid0(VALU_DEP_2) | instskip(SKIP_2) | instid1(VALU_DEP_2)
	v_cmp_lt_u32_e32 vcc_lo, 0xffffff, v90
	v_sub_nc_u32_e32 v12, v91, v92
	v_cndmask_b32_e64 v91, 0, 1, vcc_lo
	v_add_co_ci_u32_e32 v12, vcc_lo, 0, v12, vcc_lo
	s_delay_alu instid0(VALU_DEP_2)
	v_lshrrev_b32_e32 v90, v91, v90
; %bb.12391:                            ;   in Loop: Header=BB6_10858 Depth=3
	s_and_not1_saveexec_b32 s13, s13
; %bb.12392:                            ;   in Loop: Header=BB6_10858 Depth=3
	s_delay_alu instid0(VALU_DEP_1)
	v_bfe_u32 v12, v90, 23, 1
; %bb.12393:                            ;   in Loop: Header=BB6_10858 Depth=3
	s_or_b32 exec_lo, exec_lo, s13
	v_lshrrev_b32_e32 v90, 20, v90
	s_delay_alu instid0(VALU_DEP_2) | instskip(SKIP_2) | instid1(VALU_DEP_2)
	v_cmp_gt_i32_e32 vcc_lo, 16, v12
	v_lshrrev_b32_e32 v89, 24, v89
	v_min_i32_e32 v91, 15, v12
	v_dual_cndmask_b32 v90, 7, v90 :: v_dual_and_b32 v89, 0x80, v89
	s_delay_alu instid0(VALU_DEP_1) | instskip(SKIP_1) | instid1(VALU_DEP_2)
	v_or_b32_e32 v12, v12, v90
	v_and_b32_e32 v92, 7, v90
	v_cmp_ne_u32_e32 vcc_lo, 0, v12
	v_lshlrev_b32_e32 v91, 3, v91
	s_delay_alu instid0(VALU_DEP_1) | instskip(NEXT) | instid1(VALU_DEP_1)
	v_or3_b32 v89, v91, v89, v92
	v_cndmask_b32_e32 v12, 0, v89, vcc_lo
.LBB6_12394:                            ;   in Loop: Header=BB6_10858 Depth=3
	s_or_b32 exec_lo, exec_lo, s31
.LBB6_12395:                            ;   in Loop: Header=BB6_10858 Depth=3
	s_delay_alu instid0(SALU_CYCLE_1)
	s_or_b32 exec_lo, exec_lo, s17
	v_lshrrev_b16 v90, 8, v13
	v_lshrrev_b16 v89, 8, v9
	s_and_not1_b32 vcc_lo, exec_lo, s16
	s_cbranch_vccnz .LBB6_12405
; %bb.12396:                            ;   in Loop: Header=BB6_10858 Depth=3
	s_mov_b32 s13, 0
	s_mov_b32 s31, exec_lo
                                        ; implicit-def: $sgpr17
	v_cmpx_lt_i16_e32 0x7f, v90
	s_xor_b32 s31, exec_lo, s31
	s_cbranch_execnz .LBB6_13560
; %bb.12397:                            ;   in Loop: Header=BB6_10858 Depth=3
	s_or_saveexec_b32 s31, s31
	v_mov_b32_e32 v91, s17
	s_xor_b32 exec_lo, exec_lo, s31
	s_cbranch_execnz .LBB6_13563
.LBB6_12398:                            ;   in Loop: Header=BB6_10858 Depth=3
	s_or_b32 exec_lo, exec_lo, s31
	s_and_saveexec_b32 s17, s13
	s_cbranch_execz .LBB6_12400
.LBB6_12399:                            ;   in Loop: Header=BB6_10858 Depth=3
	v_and_b32_e32 v91, 0xffff, v90
	s_delay_alu instid0(VALU_DEP_1) | instskip(NEXT) | instid1(VALU_DEP_1)
	v_and_b32_e32 v92, 7, v91
	v_clz_i32_u32_e32 v93, v92
	s_delay_alu instid0(VALU_DEP_1) | instskip(NEXT) | instid1(VALU_DEP_1)
	v_min_u32_e32 v93, 32, v93
	v_subrev_nc_u32_e32 v94, 28, v93
	v_sub_nc_u32_e32 v93, 29, v93
	s_delay_alu instid0(VALU_DEP_2) | instskip(SKIP_1) | instid1(VALU_DEP_2)
	v_lshlrev_b32_e32 v94, v94, v91
	v_bfe_u32 v91, v91, 3, 4
	v_and_b32_e32 v94, 7, v94
	s_delay_alu instid0(VALU_DEP_2) | instskip(SKIP_1) | instid1(VALU_DEP_3)
	v_cmp_eq_u32_e32 vcc_lo, 0, v91
	v_cndmask_b32_e32 v91, v91, v93, vcc_lo
	v_dual_cndmask_b32 v92, v92, v94 :: v_dual_lshlrev_b32 v95, 16, v13
	s_delay_alu instid0(VALU_DEP_2) | instskip(NEXT) | instid1(VALU_DEP_2)
	v_lshl_add_u32 v91, v91, 23, 0x3b800000
	v_and_b32_e32 v93, 0x80000000, v95
	s_delay_alu instid0(VALU_DEP_3) | instskip(NEXT) | instid1(VALU_DEP_1)
	v_lshlrev_b32_e32 v92, 20, v92
	v_or3_b32 v91, v93, v91, v92
.LBB6_12400:                            ;   in Loop: Header=BB6_10858 Depth=3
	s_or_b32 exec_lo, exec_lo, s17
	s_mov_b32 s13, 0
	s_mov_b32 s31, exec_lo
                                        ; implicit-def: $sgpr17
	v_cmpx_lt_i16_e32 0x7f, v89
	s_xor_b32 s31, exec_lo, s31
	s_cbranch_execnz .LBB6_13564
; %bb.12401:                            ;   in Loop: Header=BB6_10858 Depth=3
	s_or_saveexec_b32 s31, s31
	v_mov_b32_e32 v92, s17
	s_xor_b32 exec_lo, exec_lo, s31
	s_cbranch_execnz .LBB6_13567
.LBB6_12402:                            ;   in Loop: Header=BB6_10858 Depth=3
	s_or_b32 exec_lo, exec_lo, s31
	s_and_saveexec_b32 s17, s13
	s_cbranch_execz .LBB6_12404
.LBB6_12403:                            ;   in Loop: Header=BB6_10858 Depth=3
	v_and_b32_e32 v92, 0xffff, v89
	v_lshlrev_b32_e32 v104, 16, v9
	s_delay_alu instid0(VALU_DEP_2) | instskip(NEXT) | instid1(VALU_DEP_1)
	v_and_b32_e32 v93, 7, v92
	v_clz_i32_u32_e32 v94, v93
	s_delay_alu instid0(VALU_DEP_1) | instskip(NEXT) | instid1(VALU_DEP_1)
	v_min_u32_e32 v94, 32, v94
	v_subrev_nc_u32_e32 v95, 28, v94
	v_sub_nc_u32_e32 v94, 29, v94
	s_delay_alu instid0(VALU_DEP_2) | instskip(SKIP_1) | instid1(VALU_DEP_2)
	v_lshlrev_b32_e32 v95, v95, v92
	v_bfe_u32 v92, v92, 3, 4
	v_and_b32_e32 v95, 7, v95
	s_delay_alu instid0(VALU_DEP_2) | instskip(NEXT) | instid1(VALU_DEP_2)
	v_cmp_eq_u32_e32 vcc_lo, 0, v92
	v_dual_cndmask_b32 v92, v92, v94 :: v_dual_cndmask_b32 v93, v93, v95
	v_and_b32_e32 v94, 0x80000000, v104
	s_delay_alu instid0(VALU_DEP_2) | instskip(NEXT) | instid1(VALU_DEP_3)
	v_lshl_add_u32 v92, v92, 23, 0x3b800000
	v_lshlrev_b32_e32 v93, 20, v93
	s_delay_alu instid0(VALU_DEP_1)
	v_or3_b32 v92, v94, v92, v93
.LBB6_12404:                            ;   in Loop: Header=BB6_10858 Depth=3
	s_or_b32 exec_lo, exec_lo, s17
	s_delay_alu instid0(VALU_DEP_1) | instskip(SKIP_1) | instid1(VALU_DEP_1)
	v_dual_max_f32 v92, v92, v92 :: v_dual_max_f32 v91, v91, v91
	s_mov_b32 s13, 0
	v_max_f32_e32 v91, v91, v92
	s_branch .LBB6_12406
.LBB6_12405:                            ;   in Loop: Header=BB6_10858 Depth=3
	s_mov_b32 s13, -1
                                        ; implicit-def: $vgpr91
.LBB6_12406:                            ;   in Loop: Header=BB6_10858 Depth=3
	s_delay_alu instid0(SALU_CYCLE_1)
	s_and_b32 vcc_lo, exec_lo, s13
	s_cbranch_vccz .LBB6_12416
; %bb.12407:                            ;   in Loop: Header=BB6_10858 Depth=3
	s_mov_b32 s13, 0
	s_mov_b32 s31, exec_lo
                                        ; implicit-def: $sgpr17
	v_cmpx_lt_i16_e32 0x7f, v90
	s_xor_b32 s31, exec_lo, s31
	s_cbranch_execnz .LBB6_13568
; %bb.12408:                            ;   in Loop: Header=BB6_10858 Depth=3
	s_or_saveexec_b32 s31, s31
	v_mov_b32_e32 v91, s17
	s_xor_b32 exec_lo, exec_lo, s31
	s_cbranch_execnz .LBB6_13571
.LBB6_12409:                            ;   in Loop: Header=BB6_10858 Depth=3
	s_or_b32 exec_lo, exec_lo, s31
	s_and_saveexec_b32 s17, s13
	s_cbranch_execz .LBB6_12411
.LBB6_12410:                            ;   in Loop: Header=BB6_10858 Depth=3
	v_and_b32_e32 v90, 0xffff, v90
	v_lshlrev_b32_e32 v94, 16, v13
	s_delay_alu instid0(VALU_DEP_2) | instskip(NEXT) | instid1(VALU_DEP_1)
	v_and_b32_e32 v91, 7, v90
	v_clz_i32_u32_e32 v92, v91
	s_delay_alu instid0(VALU_DEP_1) | instskip(NEXT) | instid1(VALU_DEP_1)
	v_min_u32_e32 v92, 32, v92
	v_subrev_nc_u32_e32 v93, 28, v92
	v_sub_nc_u32_e32 v92, 29, v92
	s_delay_alu instid0(VALU_DEP_2) | instskip(SKIP_1) | instid1(VALU_DEP_2)
	v_lshlrev_b32_e32 v93, v93, v90
	v_bfe_u32 v90, v90, 3, 4
	v_and_b32_e32 v93, 7, v93
	s_delay_alu instid0(VALU_DEP_2) | instskip(NEXT) | instid1(VALU_DEP_2)
	v_cmp_eq_u32_e32 vcc_lo, 0, v90
	v_dual_cndmask_b32 v90, v90, v92 :: v_dual_cndmask_b32 v91, v91, v93
	v_and_b32_e32 v92, 0x80000000, v94
	s_delay_alu instid0(VALU_DEP_2) | instskip(NEXT) | instid1(VALU_DEP_3)
	v_lshl_add_u32 v90, v90, 23, 0x3b800000
	v_lshlrev_b32_e32 v91, 20, v91
	s_delay_alu instid0(VALU_DEP_1)
	v_or3_b32 v91, v92, v90, v91
.LBB6_12411:                            ;   in Loop: Header=BB6_10858 Depth=3
	s_or_b32 exec_lo, exec_lo, s17
	s_mov_b32 s13, 0
	s_mov_b32 s31, exec_lo
                                        ; implicit-def: $sgpr17
	v_cmpx_lt_i16_e32 0x7f, v89
	s_xor_b32 s31, exec_lo, s31
	s_cbranch_execnz .LBB6_13572
; %bb.12412:                            ;   in Loop: Header=BB6_10858 Depth=3
	s_or_saveexec_b32 s31, s31
	v_mov_b32_e32 v90, s17
	s_xor_b32 exec_lo, exec_lo, s31
	s_cbranch_execnz .LBB6_13575
.LBB6_12413:                            ;   in Loop: Header=BB6_10858 Depth=3
	s_or_b32 exec_lo, exec_lo, s31
	s_and_saveexec_b32 s17, s13
	s_cbranch_execz .LBB6_12415
.LBB6_12414:                            ;   in Loop: Header=BB6_10858 Depth=3
	v_and_b32_e32 v89, 0xffff, v89
	v_lshlrev_b32_e32 v94, 16, v9
	s_delay_alu instid0(VALU_DEP_2) | instskip(NEXT) | instid1(VALU_DEP_1)
	v_and_b32_e32 v90, 7, v89
	v_clz_i32_u32_e32 v92, v90
	s_delay_alu instid0(VALU_DEP_1) | instskip(NEXT) | instid1(VALU_DEP_1)
	v_min_u32_e32 v92, 32, v92
	v_subrev_nc_u32_e32 v93, 28, v92
	v_sub_nc_u32_e32 v92, 29, v92
	s_delay_alu instid0(VALU_DEP_2) | instskip(SKIP_1) | instid1(VALU_DEP_2)
	v_lshlrev_b32_e32 v93, v93, v89
	v_bfe_u32 v89, v89, 3, 4
	v_and_b32_e32 v93, 7, v93
	s_delay_alu instid0(VALU_DEP_2) | instskip(NEXT) | instid1(VALU_DEP_2)
	v_cmp_eq_u32_e32 vcc_lo, 0, v89
	v_dual_cndmask_b32 v89, v89, v92 :: v_dual_cndmask_b32 v90, v90, v93
	v_and_b32_e32 v92, 0x80000000, v94
	s_delay_alu instid0(VALU_DEP_2) | instskip(NEXT) | instid1(VALU_DEP_3)
	v_lshl_add_u32 v89, v89, 23, 0x3b800000
	v_lshlrev_b32_e32 v90, 20, v90
	s_delay_alu instid0(VALU_DEP_1)
	v_or3_b32 v90, v92, v89, v90
.LBB6_12415:                            ;   in Loop: Header=BB6_10858 Depth=3
	s_or_b32 exec_lo, exec_lo, s17
	s_delay_alu instid0(VALU_DEP_1) | instskip(NEXT) | instid1(VALU_DEP_1)
	v_dual_max_f32 v89, v90, v90 :: v_dual_max_f32 v90, v91, v91
	v_min_f32_e32 v91, v90, v89
.LBB6_12416:                            ;   in Loop: Header=BB6_10858 Depth=3
	s_delay_alu instid0(VALU_DEP_1) | instskip(NEXT) | instid1(VALU_DEP_1)
	v_and_b32_e32 v89, 0x7f800000, v91
	v_cmp_ne_u32_e32 vcc_lo, 0x7f800000, v89
	v_mov_b32_e32 v89, 0x80
	s_and_saveexec_b32 s17, vcc_lo
	s_cbranch_execz .LBB6_12424
; %bb.12417:                            ;   in Loop: Header=BB6_10858 Depth=3
	v_mov_b32_e32 v89, 0
	s_mov_b32 s31, exec_lo
	v_cmpx_ne_u32_e32 0, v91
	s_cbranch_execz .LBB6_12423
; %bb.12418:                            ;   in Loop: Header=BB6_10858 Depth=3
	v_bfe_u32 v89, v91, 23, 8
	v_and_b32_e32 v90, 0x7fffff, v91
	s_delay_alu instid0(VALU_DEP_2) | instskip(SKIP_1) | instid1(VALU_DEP_3)
	v_sub_nc_u32_e32 v92, 0x78, v89
	v_cmp_gt_u32_e32 vcc_lo, 0x79, v89
	v_or_b32_e32 v93, 0x800000, v90
	s_delay_alu instid0(VALU_DEP_3) | instskip(SKIP_2) | instid1(VALU_DEP_3)
	v_cndmask_b32_e32 v92, 0, v92, vcc_lo
	v_cmp_eq_u32_e32 vcc_lo, 0, v89
	v_add_nc_u32_e32 v89, 0xffffff89, v89
	v_cndmask_b32_e64 v92, v92, 0x77, vcc_lo
	v_cndmask_b32_e32 v90, v93, v90, vcc_lo
	s_delay_alu instid0(VALU_DEP_3) | instskip(NEXT) | instid1(VALU_DEP_3)
	v_cndmask_b32_e64 v89, v89, 0xffffff8a, vcc_lo
	v_lshl_add_u32 v93, 0x100000, v92, -1
	s_delay_alu instid0(VALU_DEP_3) | instskip(SKIP_1) | instid1(VALU_DEP_4)
	v_lshrrev_b32_e32 v94, v92, v90
	v_lshlrev_b32_e64 v104, v92, 0x80000
	v_add_nc_u32_e32 v92, v92, v89
	s_delay_alu instid0(VALU_DEP_4) | instskip(NEXT) | instid1(VALU_DEP_4)
	v_and_b32_e32 v90, v93, v90
	v_bfe_u32 v95, v94, 20, 1
	s_delay_alu instid0(VALU_DEP_2) | instskip(NEXT) | instid1(VALU_DEP_2)
	v_cmp_eq_u32_e64 s13, v90, v104
	v_add_nc_u32_e32 v93, -1, v95
	s_delay_alu instid0(VALU_DEP_1) | instskip(SKIP_2) | instid1(VALU_DEP_2)
	v_cndmask_b32_e64 v90, 0, v93, s13
	v_lshrrev_b32_e32 v93, 23, v94
	s_mov_b32 s13, exec_lo
	v_add_nc_u32_e32 v90, v90, v94
	s_delay_alu instid0(VALU_DEP_2) | instskip(NEXT) | instid1(VALU_DEP_2)
	v_xor_b32_e32 v93, 1, v93
	v_and_b32_e32 v89, 0xfffff, v90
	s_delay_alu instid0(VALU_DEP_1) | instskip(NEXT) | instid1(VALU_DEP_3)
	v_add_nc_u32_e32 v90, v89, v94
                                        ; implicit-def: $vgpr89
	v_cmpx_ne_u32_e64 v92, v93
	s_xor_b32 s13, exec_lo, s13
; %bb.12419:                            ;   in Loop: Header=BB6_10858 Depth=3
	s_delay_alu instid0(VALU_DEP_2) | instskip(SKIP_2) | instid1(VALU_DEP_2)
	v_cmp_lt_u32_e32 vcc_lo, 0xffffff, v90
	v_sub_nc_u32_e32 v89, v92, v93
	v_cndmask_b32_e64 v92, 0, 1, vcc_lo
	v_add_co_ci_u32_e32 v89, vcc_lo, 0, v89, vcc_lo
	s_delay_alu instid0(VALU_DEP_2)
	v_lshrrev_b32_e32 v90, v92, v90
; %bb.12420:                            ;   in Loop: Header=BB6_10858 Depth=3
	s_and_not1_saveexec_b32 s13, s13
; %bb.12421:                            ;   in Loop: Header=BB6_10858 Depth=3
	s_delay_alu instid0(VALU_DEP_1)
	v_bfe_u32 v89, v90, 23, 1
; %bb.12422:                            ;   in Loop: Header=BB6_10858 Depth=3
	s_or_b32 exec_lo, exec_lo, s13
	v_lshrrev_b32_e32 v90, 20, v90
	s_delay_alu instid0(VALU_DEP_2) | instskip(SKIP_2) | instid1(VALU_DEP_2)
	v_cmp_gt_i32_e32 vcc_lo, 16, v89
	v_lshrrev_b32_e32 v91, 24, v91
	v_min_i32_e32 v92, 15, v89
	v_dual_cndmask_b32 v90, 7, v90 :: v_dual_and_b32 v91, 0x80, v91
	s_delay_alu instid0(VALU_DEP_1) | instskip(SKIP_1) | instid1(VALU_DEP_2)
	v_or_b32_e32 v89, v89, v90
	v_and_b32_e32 v93, 7, v90
	v_cmp_ne_u32_e32 vcc_lo, 0, v89
	v_lshlrev_b32_e32 v92, 3, v92
	s_delay_alu instid0(VALU_DEP_1) | instskip(NEXT) | instid1(VALU_DEP_1)
	v_or3_b32 v90, v92, v91, v93
	v_cndmask_b32_e32 v89, 0, v90, vcc_lo
.LBB6_12423:                            ;   in Loop: Header=BB6_10858 Depth=3
	s_or_b32 exec_lo, exec_lo, s31
.LBB6_12424:                            ;   in Loop: Header=BB6_10858 Depth=3
	s_delay_alu instid0(SALU_CYCLE_1)
	s_or_b32 exec_lo, exec_lo, s17
	v_lshrrev_b32_e32 v91, 16, v13
	v_lshrrev_b32_e32 v90, 16, v9
	s_and_not1_b32 vcc_lo, exec_lo, s16
	s_cbranch_vccnz .LBB6_12434
; %bb.12425:                            ;   in Loop: Header=BB6_10858 Depth=3
	s_delay_alu instid0(VALU_DEP_2) | instskip(SKIP_2) | instid1(VALU_DEP_1)
	v_and_b32_e32 v93, 0xff, v91
	s_mov_b32 s13, 0
	s_mov_b32 s31, exec_lo
                                        ; implicit-def: $sgpr17
	v_cmpx_lt_i16_e32 0x7f, v93
	s_xor_b32 s31, exec_lo, s31
	s_cbranch_execnz .LBB6_13576
; %bb.12426:                            ;   in Loop: Header=BB6_10858 Depth=3
	s_or_saveexec_b32 s31, s31
	v_mov_b32_e32 v92, s17
	s_xor_b32 exec_lo, exec_lo, s31
	s_cbranch_execnz .LBB6_13579
.LBB6_12427:                            ;   in Loop: Header=BB6_10858 Depth=3
	s_or_b32 exec_lo, exec_lo, s31
	s_and_saveexec_b32 s17, s13
	s_cbranch_execz .LBB6_12429
.LBB6_12428:                            ;   in Loop: Header=BB6_10858 Depth=3
	v_bfe_u32 v92, v13, 16, 3
	v_bfe_u32 v95, v13, 19, 4
	v_lshlrev_b32_e32 v104, 24, v91
	s_delay_alu instid0(VALU_DEP_3) | instskip(NEXT) | instid1(VALU_DEP_3)
	v_clz_i32_u32_e32 v93, v92
	v_cmp_eq_u32_e32 vcc_lo, 0, v95
	s_delay_alu instid0(VALU_DEP_2) | instskip(NEXT) | instid1(VALU_DEP_1)
	v_min_u32_e32 v93, 32, v93
	v_subrev_nc_u32_e32 v94, 28, v93
	v_sub_nc_u32_e32 v93, 29, v93
	s_delay_alu instid0(VALU_DEP_1) | instskip(NEXT) | instid1(VALU_DEP_1)
	v_dual_cndmask_b32 v93, v95, v93 :: v_dual_lshlrev_b32 v94, v94, v91
	v_and_b32_e32 v94, 7, v94
	s_delay_alu instid0(VALU_DEP_2) | instskip(NEXT) | instid1(VALU_DEP_2)
	v_lshl_add_u32 v93, v93, 23, 0x3b800000
	v_cndmask_b32_e32 v92, v92, v94, vcc_lo
	v_and_b32_e32 v94, 0x80000000, v104
	s_delay_alu instid0(VALU_DEP_2) | instskip(NEXT) | instid1(VALU_DEP_1)
	v_lshlrev_b32_e32 v92, 20, v92
	v_or3_b32 v92, v94, v93, v92
.LBB6_12429:                            ;   in Loop: Header=BB6_10858 Depth=3
	s_or_b32 exec_lo, exec_lo, s17
	v_and_b32_e32 v94, 0xff, v90
	s_mov_b32 s13, 0
	s_mov_b32 s31, exec_lo
                                        ; implicit-def: $sgpr17
	s_delay_alu instid0(VALU_DEP_1)
	v_cmpx_lt_i16_e32 0x7f, v94
	s_xor_b32 s31, exec_lo, s31
	s_cbranch_execnz .LBB6_13580
; %bb.12430:                            ;   in Loop: Header=BB6_10858 Depth=3
	s_or_saveexec_b32 s31, s31
	v_mov_b32_e32 v93, s17
	s_xor_b32 exec_lo, exec_lo, s31
	s_cbranch_execnz .LBB6_13583
.LBB6_12431:                            ;   in Loop: Header=BB6_10858 Depth=3
	s_or_b32 exec_lo, exec_lo, s31
	s_and_saveexec_b32 s17, s13
	s_cbranch_execz .LBB6_12433
.LBB6_12432:                            ;   in Loop: Header=BB6_10858 Depth=3
	v_bfe_u32 v93, v9, 16, 3
	v_bfe_u32 v104, v9, 19, 4
	v_lshlrev_b32_e32 v105, 24, v90
	s_delay_alu instid0(VALU_DEP_3) | instskip(NEXT) | instid1(VALU_DEP_3)
	v_clz_i32_u32_e32 v94, v93
	v_cmp_eq_u32_e32 vcc_lo, 0, v104
	s_delay_alu instid0(VALU_DEP_2) | instskip(NEXT) | instid1(VALU_DEP_1)
	v_min_u32_e32 v94, 32, v94
	v_subrev_nc_u32_e32 v95, 28, v94
	v_sub_nc_u32_e32 v94, 29, v94
	s_delay_alu instid0(VALU_DEP_2) | instskip(NEXT) | instid1(VALU_DEP_1)
	v_lshlrev_b32_e32 v95, v95, v90
	v_dual_cndmask_b32 v94, v104, v94 :: v_dual_and_b32 v95, 7, v95
	s_delay_alu instid0(VALU_DEP_1) | instskip(NEXT) | instid1(VALU_DEP_2)
	v_lshl_add_u32 v94, v94, 23, 0x3b800000
	v_cndmask_b32_e32 v93, v93, v95, vcc_lo
	v_and_b32_e32 v95, 0x80000000, v105
	s_delay_alu instid0(VALU_DEP_2) | instskip(NEXT) | instid1(VALU_DEP_1)
	v_lshlrev_b32_e32 v93, 20, v93
	v_or3_b32 v93, v95, v94, v93
.LBB6_12433:                            ;   in Loop: Header=BB6_10858 Depth=3
	s_or_b32 exec_lo, exec_lo, s17
	s_delay_alu instid0(VALU_DEP_1) | instskip(SKIP_1) | instid1(VALU_DEP_1)
	v_dual_max_f32 v93, v93, v93 :: v_dual_max_f32 v92, v92, v92
	s_mov_b32 s13, 0
	v_max_f32_e32 v92, v92, v93
	s_branch .LBB6_12435
.LBB6_12434:                            ;   in Loop: Header=BB6_10858 Depth=3
	s_mov_b32 s13, -1
                                        ; implicit-def: $vgpr92
.LBB6_12435:                            ;   in Loop: Header=BB6_10858 Depth=3
	s_delay_alu instid0(SALU_CYCLE_1)
	s_and_b32 vcc_lo, exec_lo, s13
	s_cbranch_vccz .LBB6_12445
; %bb.12436:                            ;   in Loop: Header=BB6_10858 Depth=3
	v_and_b32_e32 v93, 0xff, v91
	s_mov_b32 s13, 0
	s_mov_b32 s31, exec_lo
                                        ; implicit-def: $sgpr17
	s_delay_alu instid0(VALU_DEP_1)
	v_cmpx_lt_i16_e32 0x7f, v93
	s_xor_b32 s31, exec_lo, s31
	s_cbranch_execnz .LBB6_13584
; %bb.12437:                            ;   in Loop: Header=BB6_10858 Depth=3
	s_or_saveexec_b32 s31, s31
	v_mov_b32_e32 v92, s17
	s_xor_b32 exec_lo, exec_lo, s31
	s_cbranch_execnz .LBB6_13587
.LBB6_12438:                            ;   in Loop: Header=BB6_10858 Depth=3
	s_or_b32 exec_lo, exec_lo, s31
	s_and_saveexec_b32 s17, s13
	s_cbranch_execz .LBB6_12440
.LBB6_12439:                            ;   in Loop: Header=BB6_10858 Depth=3
	v_bfe_u32 v92, v13, 16, 3
	v_bfe_u32 v95, v13, 19, 4
	s_delay_alu instid0(VALU_DEP_2) | instskip(NEXT) | instid1(VALU_DEP_2)
	v_clz_i32_u32_e32 v93, v92
	v_cmp_eq_u32_e32 vcc_lo, 0, v95
	s_delay_alu instid0(VALU_DEP_2) | instskip(NEXT) | instid1(VALU_DEP_1)
	v_min_u32_e32 v93, 32, v93
	v_subrev_nc_u32_e32 v94, 28, v93
	v_sub_nc_u32_e32 v93, 29, v93
	s_delay_alu instid0(VALU_DEP_1) | instskip(NEXT) | instid1(VALU_DEP_1)
	v_dual_cndmask_b32 v93, v95, v93 :: v_dual_lshlrev_b32 v94, v94, v91
	v_and_b32_e32 v94, 7, v94
	v_lshlrev_b32_e32 v91, 24, v91
	s_delay_alu instid0(VALU_DEP_3) | instskip(NEXT) | instid1(VALU_DEP_2)
	v_lshl_add_u32 v93, v93, 23, 0x3b800000
	v_dual_cndmask_b32 v92, v92, v94 :: v_dual_and_b32 v91, 0x80000000, v91
	s_delay_alu instid0(VALU_DEP_1) | instskip(NEXT) | instid1(VALU_DEP_1)
	v_lshlrev_b32_e32 v92, 20, v92
	v_or3_b32 v92, v91, v93, v92
.LBB6_12440:                            ;   in Loop: Header=BB6_10858 Depth=3
	s_or_b32 exec_lo, exec_lo, s17
	v_and_b32_e32 v93, 0xff, v90
	s_mov_b32 s13, 0
	s_mov_b32 s31, exec_lo
                                        ; implicit-def: $sgpr17
	s_delay_alu instid0(VALU_DEP_1)
	v_cmpx_lt_i16_e32 0x7f, v93
	s_xor_b32 s31, exec_lo, s31
	s_cbranch_execnz .LBB6_13588
; %bb.12441:                            ;   in Loop: Header=BB6_10858 Depth=3
	s_or_saveexec_b32 s31, s31
	v_mov_b32_e32 v91, s17
	s_xor_b32 exec_lo, exec_lo, s31
	s_cbranch_execnz .LBB6_13591
.LBB6_12442:                            ;   in Loop: Header=BB6_10858 Depth=3
	s_or_b32 exec_lo, exec_lo, s31
	s_and_saveexec_b32 s17, s13
	s_cbranch_execz .LBB6_12444
.LBB6_12443:                            ;   in Loop: Header=BB6_10858 Depth=3
	v_bfe_u32 v91, v9, 16, 3
	v_bfe_u32 v95, v9, 19, 4
	s_delay_alu instid0(VALU_DEP_2) | instskip(NEXT) | instid1(VALU_DEP_2)
	v_clz_i32_u32_e32 v93, v91
	v_cmp_eq_u32_e32 vcc_lo, 0, v95
	s_delay_alu instid0(VALU_DEP_2) | instskip(NEXT) | instid1(VALU_DEP_1)
	v_min_u32_e32 v93, 32, v93
	v_subrev_nc_u32_e32 v94, 28, v93
	v_sub_nc_u32_e32 v93, 29, v93
	s_delay_alu instid0(VALU_DEP_1) | instskip(SKIP_1) | instid1(VALU_DEP_2)
	v_dual_cndmask_b32 v93, v95, v93 :: v_dual_lshlrev_b32 v94, v94, v90
	v_lshlrev_b32_e32 v90, 24, v90
	v_and_b32_e32 v94, 7, v94
	s_delay_alu instid0(VALU_DEP_3) | instskip(NEXT) | instid1(VALU_DEP_3)
	v_lshl_add_u32 v93, v93, 23, 0x3b800000
	v_and_b32_e32 v90, 0x80000000, v90
	s_delay_alu instid0(VALU_DEP_3) | instskip(NEXT) | instid1(VALU_DEP_1)
	v_cndmask_b32_e32 v91, v91, v94, vcc_lo
	v_lshlrev_b32_e32 v91, 20, v91
	s_delay_alu instid0(VALU_DEP_1)
	v_or3_b32 v91, v90, v93, v91
.LBB6_12444:                            ;   in Loop: Header=BB6_10858 Depth=3
	s_or_b32 exec_lo, exec_lo, s17
	s_delay_alu instid0(VALU_DEP_1) | instskip(NEXT) | instid1(VALU_DEP_1)
	v_dual_max_f32 v90, v91, v91 :: v_dual_max_f32 v91, v92, v92
	v_min_f32_e32 v92, v91, v90
.LBB6_12445:                            ;   in Loop: Header=BB6_10858 Depth=3
	s_delay_alu instid0(VALU_DEP_1) | instskip(NEXT) | instid1(VALU_DEP_1)
	v_and_b32_e32 v90, 0x7f800000, v92
	v_cmp_ne_u32_e32 vcc_lo, 0x7f800000, v90
	v_mov_b32_e32 v90, 0x80
	s_and_saveexec_b32 s17, vcc_lo
	s_cbranch_execz .LBB6_12453
; %bb.12446:                            ;   in Loop: Header=BB6_10858 Depth=3
	v_mov_b32_e32 v90, 0
	s_mov_b32 s31, exec_lo
	v_cmpx_ne_u32_e32 0, v92
	s_cbranch_execz .LBB6_12452
; %bb.12447:                            ;   in Loop: Header=BB6_10858 Depth=3
	v_bfe_u32 v90, v92, 23, 8
	v_and_b32_e32 v91, 0x7fffff, v92
	s_delay_alu instid0(VALU_DEP_2) | instskip(SKIP_1) | instid1(VALU_DEP_3)
	v_sub_nc_u32_e32 v93, 0x78, v90
	v_cmp_gt_u32_e32 vcc_lo, 0x79, v90
	v_or_b32_e32 v94, 0x800000, v91
	s_delay_alu instid0(VALU_DEP_3) | instskip(SKIP_2) | instid1(VALU_DEP_3)
	v_cndmask_b32_e32 v93, 0, v93, vcc_lo
	v_cmp_eq_u32_e32 vcc_lo, 0, v90
	v_add_nc_u32_e32 v90, 0xffffff89, v90
	v_cndmask_b32_e64 v93, v93, 0x77, vcc_lo
	v_cndmask_b32_e32 v91, v94, v91, vcc_lo
	s_delay_alu instid0(VALU_DEP_3) | instskip(NEXT) | instid1(VALU_DEP_3)
	v_cndmask_b32_e64 v90, v90, 0xffffff8a, vcc_lo
	v_lshl_add_u32 v94, 0x100000, v93, -1
	s_delay_alu instid0(VALU_DEP_3) | instskip(SKIP_1) | instid1(VALU_DEP_4)
	v_lshrrev_b32_e32 v95, v93, v91
	v_lshlrev_b32_e64 v105, v93, 0x80000
	v_add_nc_u32_e32 v93, v93, v90
	s_delay_alu instid0(VALU_DEP_4) | instskip(NEXT) | instid1(VALU_DEP_4)
	v_and_b32_e32 v91, v94, v91
	v_bfe_u32 v104, v95, 20, 1
	s_delay_alu instid0(VALU_DEP_2) | instskip(NEXT) | instid1(VALU_DEP_2)
	v_cmp_eq_u32_e64 s13, v91, v105
	v_add_nc_u32_e32 v94, -1, v104
	s_delay_alu instid0(VALU_DEP_1) | instskip(SKIP_2) | instid1(VALU_DEP_2)
	v_cndmask_b32_e64 v91, 0, v94, s13
	v_lshrrev_b32_e32 v94, 23, v95
	s_mov_b32 s13, exec_lo
	v_add_nc_u32_e32 v91, v91, v95
	s_delay_alu instid0(VALU_DEP_2) | instskip(NEXT) | instid1(VALU_DEP_2)
	v_xor_b32_e32 v94, 1, v94
	v_and_b32_e32 v90, 0xfffff, v91
	s_delay_alu instid0(VALU_DEP_1) | instskip(NEXT) | instid1(VALU_DEP_3)
	v_add_nc_u32_e32 v91, v90, v95
                                        ; implicit-def: $vgpr90
	v_cmpx_ne_u32_e64 v93, v94
	s_xor_b32 s13, exec_lo, s13
; %bb.12448:                            ;   in Loop: Header=BB6_10858 Depth=3
	s_delay_alu instid0(VALU_DEP_2) | instskip(SKIP_2) | instid1(VALU_DEP_2)
	v_cmp_lt_u32_e32 vcc_lo, 0xffffff, v91
	v_sub_nc_u32_e32 v90, v93, v94
	v_cndmask_b32_e64 v93, 0, 1, vcc_lo
	v_add_co_ci_u32_e32 v90, vcc_lo, 0, v90, vcc_lo
	s_delay_alu instid0(VALU_DEP_2)
	v_lshrrev_b32_e32 v91, v93, v91
; %bb.12449:                            ;   in Loop: Header=BB6_10858 Depth=3
	s_and_not1_saveexec_b32 s13, s13
; %bb.12450:                            ;   in Loop: Header=BB6_10858 Depth=3
	s_delay_alu instid0(VALU_DEP_1)
	v_bfe_u32 v90, v91, 23, 1
; %bb.12451:                            ;   in Loop: Header=BB6_10858 Depth=3
	s_or_b32 exec_lo, exec_lo, s13
	v_lshrrev_b32_e32 v91, 20, v91
	s_delay_alu instid0(VALU_DEP_2) | instskip(SKIP_2) | instid1(VALU_DEP_2)
	v_cmp_gt_i32_e32 vcc_lo, 16, v90
	v_lshrrev_b32_e32 v92, 24, v92
	v_min_i32_e32 v93, 15, v90
	v_dual_cndmask_b32 v91, 7, v91 :: v_dual_and_b32 v92, 0x80, v92
	s_delay_alu instid0(VALU_DEP_1) | instskip(SKIP_1) | instid1(VALU_DEP_2)
	v_or_b32_e32 v90, v90, v91
	v_and_b32_e32 v94, 7, v91
	v_cmp_ne_u32_e32 vcc_lo, 0, v90
	v_lshlrev_b32_e32 v93, 3, v93
	s_delay_alu instid0(VALU_DEP_1) | instskip(NEXT) | instid1(VALU_DEP_1)
	v_and_b32_e32 v93, 0xf8, v93
	v_or3_b32 v91, v93, v92, v94
	s_delay_alu instid0(VALU_DEP_1)
	v_cndmask_b32_e32 v90, 0, v91, vcc_lo
.LBB6_12452:                            ;   in Loop: Header=BB6_10858 Depth=3
	s_or_b32 exec_lo, exec_lo, s31
.LBB6_12453:                            ;   in Loop: Header=BB6_10858 Depth=3
	s_delay_alu instid0(SALU_CYCLE_1)
	s_or_b32 exec_lo, exec_lo, s17
	v_lshrrev_b32_e32 v92, 24, v13
	v_lshrrev_b32_e32 v91, 24, v9
	s_and_not1_b32 vcc_lo, exec_lo, s16
	s_cbranch_vccnz .LBB6_12463
; %bb.12454:                            ;   in Loop: Header=BB6_10858 Depth=3
	s_mov_b32 s13, 0
	s_mov_b32 s31, exec_lo
                                        ; implicit-def: $sgpr17
	v_cmpx_lt_i16_e32 0x7f, v92
	s_xor_b32 s31, exec_lo, s31
	s_cbranch_execnz .LBB6_13592
; %bb.12455:                            ;   in Loop: Header=BB6_10858 Depth=3
	s_or_saveexec_b32 s31, s31
	v_mov_b32_e32 v93, s17
	s_xor_b32 exec_lo, exec_lo, s31
	s_cbranch_execnz .LBB6_13595
.LBB6_12456:                            ;   in Loop: Header=BB6_10858 Depth=3
	s_or_b32 exec_lo, exec_lo, s31
	s_and_saveexec_b32 s17, s13
	s_cbranch_execz .LBB6_12458
.LBB6_12457:                            ;   in Loop: Header=BB6_10858 Depth=3
	v_bfe_u32 v93, v13, 24, 3
	v_bfe_u32 v104, v13, 27, 4
	s_delay_alu instid0(VALU_DEP_2) | instskip(NEXT) | instid1(VALU_DEP_2)
	v_clz_i32_u32_e32 v94, v93
	v_cmp_eq_u32_e32 vcc_lo, 0, v104
	s_delay_alu instid0(VALU_DEP_2) | instskip(NEXT) | instid1(VALU_DEP_1)
	v_min_u32_e32 v94, 32, v94
	v_subrev_nc_u32_e32 v95, 28, v94
	v_sub_nc_u32_e32 v94, 29, v94
	s_delay_alu instid0(VALU_DEP_1) | instskip(NEXT) | instid1(VALU_DEP_1)
	v_dual_cndmask_b32 v94, v104, v94 :: v_dual_lshlrev_b32 v95, v95, v92
	v_and_b32_e32 v95, 7, v95
	s_delay_alu instid0(VALU_DEP_2) | instskip(NEXT) | instid1(VALU_DEP_2)
	v_lshl_add_u32 v94, v94, 23, 0x3b800000
	v_cndmask_b32_e32 v93, v93, v95, vcc_lo
	v_and_b32_e32 v95, 0x80000000, v13
	s_delay_alu instid0(VALU_DEP_2) | instskip(NEXT) | instid1(VALU_DEP_1)
	v_lshlrev_b32_e32 v93, 20, v93
	v_or3_b32 v93, v95, v94, v93
.LBB6_12458:                            ;   in Loop: Header=BB6_10858 Depth=3
	s_or_b32 exec_lo, exec_lo, s17
	s_mov_b32 s13, 0
	s_mov_b32 s31, exec_lo
                                        ; implicit-def: $sgpr17
	v_cmpx_lt_i16_e32 0x7f, v91
	s_xor_b32 s31, exec_lo, s31
	s_cbranch_execnz .LBB6_13596
; %bb.12459:                            ;   in Loop: Header=BB6_10858 Depth=3
	s_or_saveexec_b32 s31, s31
	v_mov_b32_e32 v94, s17
	s_xor_b32 exec_lo, exec_lo, s31
	s_cbranch_execnz .LBB6_13599
.LBB6_12460:                            ;   in Loop: Header=BB6_10858 Depth=3
	s_or_b32 exec_lo, exec_lo, s31
	s_and_saveexec_b32 s17, s13
	s_cbranch_execz .LBB6_12462
.LBB6_12461:                            ;   in Loop: Header=BB6_10858 Depth=3
	v_bfe_u32 v94, v9, 24, 3
	v_bfe_u32 v105, v9, 27, 4
	s_delay_alu instid0(VALU_DEP_2) | instskip(NEXT) | instid1(VALU_DEP_2)
	v_clz_i32_u32_e32 v95, v94
	v_cmp_eq_u32_e32 vcc_lo, 0, v105
	s_delay_alu instid0(VALU_DEP_2) | instskip(NEXT) | instid1(VALU_DEP_1)
	v_min_u32_e32 v95, 32, v95
	v_subrev_nc_u32_e32 v104, 28, v95
	v_sub_nc_u32_e32 v95, 29, v95
	s_delay_alu instid0(VALU_DEP_2) | instskip(NEXT) | instid1(VALU_DEP_1)
	v_lshlrev_b32_e32 v104, v104, v91
	v_dual_cndmask_b32 v95, v105, v95 :: v_dual_and_b32 v104, 7, v104
	s_delay_alu instid0(VALU_DEP_1) | instskip(NEXT) | instid1(VALU_DEP_2)
	v_lshl_add_u32 v95, v95, 23, 0x3b800000
	v_cndmask_b32_e32 v94, v94, v104, vcc_lo
	v_and_b32_e32 v104, 0x80000000, v9
	s_delay_alu instid0(VALU_DEP_2) | instskip(NEXT) | instid1(VALU_DEP_1)
	v_lshlrev_b32_e32 v94, 20, v94
	v_or3_b32 v94, v104, v95, v94
.LBB6_12462:                            ;   in Loop: Header=BB6_10858 Depth=3
	s_or_b32 exec_lo, exec_lo, s17
	s_delay_alu instid0(VALU_DEP_1) | instskip(SKIP_1) | instid1(VALU_DEP_1)
	v_dual_max_f32 v94, v94, v94 :: v_dual_max_f32 v93, v93, v93
	s_mov_b32 s13, 0
	v_max_f32_e32 v93, v93, v94
	s_branch .LBB6_12464
.LBB6_12463:                            ;   in Loop: Header=BB6_10858 Depth=3
	s_mov_b32 s13, -1
                                        ; implicit-def: $vgpr93
.LBB6_12464:                            ;   in Loop: Header=BB6_10858 Depth=3
	s_delay_alu instid0(SALU_CYCLE_1)
	s_and_b32 vcc_lo, exec_lo, s13
	s_cbranch_vccz .LBB6_12474
; %bb.12465:                            ;   in Loop: Header=BB6_10858 Depth=3
	s_mov_b32 s13, 0
	s_mov_b32 s31, exec_lo
                                        ; implicit-def: $sgpr17
	v_cmpx_lt_i16_e32 0x7f, v92
	s_xor_b32 s31, exec_lo, s31
	s_cbranch_execnz .LBB6_13600
; %bb.12466:                            ;   in Loop: Header=BB6_10858 Depth=3
	s_or_saveexec_b32 s31, s31
	v_mov_b32_e32 v93, s17
	s_xor_b32 exec_lo, exec_lo, s31
	s_cbranch_execnz .LBB6_13603
.LBB6_12467:                            ;   in Loop: Header=BB6_10858 Depth=3
	s_or_b32 exec_lo, exec_lo, s31
	s_and_saveexec_b32 s17, s13
	s_cbranch_execz .LBB6_12469
.LBB6_12468:                            ;   in Loop: Header=BB6_10858 Depth=3
	v_bfe_u32 v93, v13, 24, 3
	s_delay_alu instid0(VALU_DEP_1) | instskip(NEXT) | instid1(VALU_DEP_1)
	v_clz_i32_u32_e32 v94, v93
	v_min_u32_e32 v94, 32, v94
	s_delay_alu instid0(VALU_DEP_1) | instskip(SKIP_1) | instid1(VALU_DEP_2)
	v_subrev_nc_u32_e32 v95, 28, v94
	v_sub_nc_u32_e32 v94, 29, v94
	v_lshlrev_b32_e32 v92, v95, v92
	v_bfe_u32 v95, v13, 27, 4
	v_and_b32_e32 v13, 0x80000000, v13
	s_delay_alu instid0(VALU_DEP_3) | instskip(NEXT) | instid1(VALU_DEP_3)
	v_and_b32_e32 v92, 7, v92
	v_cmp_eq_u32_e32 vcc_lo, 0, v95
	v_cndmask_b32_e32 v94, v95, v94, vcc_lo
	s_delay_alu instid0(VALU_DEP_3) | instskip(NEXT) | instid1(VALU_DEP_2)
	v_cndmask_b32_e32 v92, v93, v92, vcc_lo
	v_lshl_add_u32 v93, v94, 23, 0x3b800000
	s_delay_alu instid0(VALU_DEP_2) | instskip(NEXT) | instid1(VALU_DEP_1)
	v_lshlrev_b32_e32 v92, 20, v92
	v_or3_b32 v93, v13, v93, v92
.LBB6_12469:                            ;   in Loop: Header=BB6_10858 Depth=3
	s_or_b32 exec_lo, exec_lo, s17
	s_mov_b32 s13, 0
	s_mov_b32 s31, exec_lo
                                        ; implicit-def: $sgpr17
	v_cmpx_lt_i16_e32 0x7f, v91
	s_xor_b32 s31, exec_lo, s31
	s_cbranch_execnz .LBB6_13604
; %bb.12470:                            ;   in Loop: Header=BB6_10858 Depth=3
	s_or_saveexec_b32 s31, s31
	v_mov_b32_e32 v13, s17
	s_xor_b32 exec_lo, exec_lo, s31
	s_cbranch_execnz .LBB6_13607
.LBB6_12471:                            ;   in Loop: Header=BB6_10858 Depth=3
	s_or_b32 exec_lo, exec_lo, s31
	s_and_saveexec_b32 s17, s13
	s_cbranch_execz .LBB6_12473
.LBB6_12472:                            ;   in Loop: Header=BB6_10858 Depth=3
	v_bfe_u32 v13, v9, 24, 3
	s_delay_alu instid0(VALU_DEP_1) | instskip(NEXT) | instid1(VALU_DEP_1)
	v_clz_i32_u32_e32 v92, v13
	v_min_u32_e32 v92, 32, v92
	s_delay_alu instid0(VALU_DEP_1) | instskip(SKIP_1) | instid1(VALU_DEP_2)
	v_subrev_nc_u32_e32 v94, 28, v92
	v_sub_nc_u32_e32 v92, 29, v92
	v_lshlrev_b32_e32 v91, v94, v91
	v_bfe_u32 v94, v9, 27, 4
	v_and_b32_e32 v9, 0x80000000, v9
	s_delay_alu instid0(VALU_DEP_2) | instskip(NEXT) | instid1(VALU_DEP_4)
	v_cmp_eq_u32_e32 vcc_lo, 0, v94
	v_dual_cndmask_b32 v92, v94, v92 :: v_dual_and_b32 v91, 7, v91
	s_delay_alu instid0(VALU_DEP_1) | instskip(NEXT) | instid1(VALU_DEP_2)
	v_cndmask_b32_e32 v13, v13, v91, vcc_lo
	v_lshl_add_u32 v91, v92, 23, 0x3b800000
	s_delay_alu instid0(VALU_DEP_2) | instskip(NEXT) | instid1(VALU_DEP_1)
	v_lshlrev_b32_e32 v13, 20, v13
	v_or3_b32 v13, v9, v91, v13
.LBB6_12473:                            ;   in Loop: Header=BB6_10858 Depth=3
	s_or_b32 exec_lo, exec_lo, s17
	s_delay_alu instid0(VALU_DEP_1) | instskip(SKIP_1) | instid1(VALU_DEP_1)
	v_max_f32_e32 v9, v13, v13
	v_max_f32_e32 v13, v93, v93
	v_min_f32_e32 v93, v13, v9
.LBB6_12474:                            ;   in Loop: Header=BB6_10858 Depth=3
	s_delay_alu instid0(VALU_DEP_1) | instskip(NEXT) | instid1(VALU_DEP_1)
	v_and_b32_e32 v9, 0x7f800000, v93
	v_cmp_ne_u32_e32 vcc_lo, 0x7f800000, v9
	v_mov_b32_e32 v9, 0x8000
	s_and_saveexec_b32 s17, vcc_lo
	s_cbranch_execz .LBB6_12482
; %bb.12475:                            ;   in Loop: Header=BB6_10858 Depth=3
	v_mov_b32_e32 v9, 0
	s_mov_b32 s31, exec_lo
	v_cmpx_ne_u32_e32 0, v93
	s_cbranch_execz .LBB6_12481
; %bb.12476:                            ;   in Loop: Header=BB6_10858 Depth=3
	v_bfe_u32 v9, v93, 23, 8
	v_and_b32_e32 v13, 0x7fffff, v93
	s_delay_alu instid0(VALU_DEP_2) | instskip(SKIP_1) | instid1(VALU_DEP_3)
	v_sub_nc_u32_e32 v91, 0x78, v9
	v_cmp_gt_u32_e32 vcc_lo, 0x79, v9
	v_or_b32_e32 v92, 0x800000, v13
	s_delay_alu instid0(VALU_DEP_3) | instskip(SKIP_2) | instid1(VALU_DEP_3)
	v_cndmask_b32_e32 v91, 0, v91, vcc_lo
	v_cmp_eq_u32_e32 vcc_lo, 0, v9
	v_add_nc_u32_e32 v9, 0xffffff89, v9
	v_cndmask_b32_e64 v91, v91, 0x77, vcc_lo
	v_cndmask_b32_e32 v13, v92, v13, vcc_lo
	s_delay_alu instid0(VALU_DEP_3) | instskip(NEXT) | instid1(VALU_DEP_3)
	v_cndmask_b32_e64 v9, v9, 0xffffff8a, vcc_lo
	v_lshl_add_u32 v92, 0x100000, v91, -1
	s_delay_alu instid0(VALU_DEP_3) | instskip(SKIP_1) | instid1(VALU_DEP_4)
	v_lshrrev_b32_e32 v94, v91, v13
	v_lshlrev_b32_e64 v104, v91, 0x80000
	v_add_nc_u32_e32 v91, v91, v9
	s_delay_alu instid0(VALU_DEP_4) | instskip(NEXT) | instid1(VALU_DEP_4)
	v_and_b32_e32 v13, v92, v13
	v_bfe_u32 v95, v94, 20, 1
	s_delay_alu instid0(VALU_DEP_2) | instskip(NEXT) | instid1(VALU_DEP_2)
	v_cmp_eq_u32_e64 s13, v13, v104
	v_add_nc_u32_e32 v92, -1, v95
	s_delay_alu instid0(VALU_DEP_1) | instskip(SKIP_2) | instid1(VALU_DEP_2)
	v_cndmask_b32_e64 v13, 0, v92, s13
	v_lshrrev_b32_e32 v92, 23, v94
	s_mov_b32 s13, exec_lo
	v_add_nc_u32_e32 v13, v13, v94
	s_delay_alu instid0(VALU_DEP_2) | instskip(NEXT) | instid1(VALU_DEP_2)
	v_xor_b32_e32 v92, 1, v92
	v_and_b32_e32 v9, 0xfffff, v13
	s_delay_alu instid0(VALU_DEP_1) | instskip(NEXT) | instid1(VALU_DEP_3)
	v_add_nc_u32_e32 v13, v9, v94
                                        ; implicit-def: $vgpr9
	v_cmpx_ne_u32_e64 v91, v92
	s_xor_b32 s13, exec_lo, s13
; %bb.12477:                            ;   in Loop: Header=BB6_10858 Depth=3
	s_delay_alu instid0(VALU_DEP_2) | instskip(SKIP_2) | instid1(VALU_DEP_2)
	v_cmp_lt_u32_e32 vcc_lo, 0xffffff, v13
	v_sub_nc_u32_e32 v9, v91, v92
	v_cndmask_b32_e64 v91, 0, 1, vcc_lo
	v_add_co_ci_u32_e32 v9, vcc_lo, 0, v9, vcc_lo
	s_delay_alu instid0(VALU_DEP_2)
	v_lshrrev_b32_e32 v13, v91, v13
; %bb.12478:                            ;   in Loop: Header=BB6_10858 Depth=3
	s_and_not1_saveexec_b32 s13, s13
; %bb.12479:                            ;   in Loop: Header=BB6_10858 Depth=3
	s_delay_alu instid0(VALU_DEP_1)
	v_bfe_u32 v9, v13, 23, 1
; %bb.12480:                            ;   in Loop: Header=BB6_10858 Depth=3
	s_or_b32 exec_lo, exec_lo, s13
	v_lshrrev_b32_e32 v13, 20, v13
	s_delay_alu instid0(VALU_DEP_2) | instskip(SKIP_2) | instid1(VALU_DEP_3)
	v_min_i32_e32 v91, 15, v9
	v_cmp_gt_i32_e32 vcc_lo, 16, v9
	v_lshrrev_b32_e32 v92, 24, v93
	v_lshlrev_b32_e32 v91, 3, v91
	s_delay_alu instid0(VALU_DEP_2) | instskip(NEXT) | instid1(VALU_DEP_2)
	v_dual_cndmask_b32 v13, 7, v13 :: v_dual_and_b32 v92, 0x80, v92
	v_and_b32_e32 v91, 0xf8, v91
	s_delay_alu instid0(VALU_DEP_2) | instskip(SKIP_1) | instid1(VALU_DEP_2)
	v_and_b32_e32 v93, 7, v13
	v_or_b32_e32 v9, v9, v13
	v_or3_b32 v91, v92, v91, v93
	s_delay_alu instid0(VALU_DEP_2) | instskip(NEXT) | instid1(VALU_DEP_2)
	v_cmp_ne_u32_e32 vcc_lo, 0, v9
	v_lshlrev_b32_e32 v13, 8, v91
	s_delay_alu instid0(VALU_DEP_1)
	v_cndmask_b32_e32 v9, 0, v13, vcc_lo
.LBB6_12481:                            ;   in Loop: Header=BB6_10858 Depth=3
	s_or_b32 exec_lo, exec_lo, s31
.LBB6_12482:                            ;   in Loop: Header=BB6_10858 Depth=3
	s_delay_alu instid0(SALU_CYCLE_1) | instskip(NEXT) | instid1(SALU_CYCLE_1)
	s_or_b32 exec_lo, exec_lo, s17
	s_and_not1_b32 vcc_lo, exec_lo, s16
	s_cbranch_vccnz .LBB6_12492
; %bb.12483:                            ;   in Loop: Header=BB6_10858 Depth=3
	v_and_b32_e32 v91, 0xff, v14
	s_mov_b32 s13, 0
	s_mov_b32 s31, exec_lo
                                        ; implicit-def: $sgpr17
	s_delay_alu instid0(VALU_DEP_1)
	v_cmpx_lt_i16_e32 0x7f, v91
	s_xor_b32 s31, exec_lo, s31
	s_cbranch_execnz .LBB6_13608
; %bb.12484:                            ;   in Loop: Header=BB6_10858 Depth=3
	s_or_saveexec_b32 s31, s31
	v_mov_b32_e32 v13, s17
	s_xor_b32 exec_lo, exec_lo, s31
	s_cbranch_execnz .LBB6_13611
.LBB6_12485:                            ;   in Loop: Header=BB6_10858 Depth=3
	s_or_b32 exec_lo, exec_lo, s31
	s_and_saveexec_b32 s17, s13
	s_cbranch_execz .LBB6_12487
.LBB6_12486:                            ;   in Loop: Header=BB6_10858 Depth=3
	v_and_b32_e32 v13, 7, v14
	v_bfe_u32 v93, v14, 3, 4
	s_delay_alu instid0(VALU_DEP_2) | instskip(NEXT) | instid1(VALU_DEP_2)
	v_clz_i32_u32_e32 v91, v13
	v_cmp_eq_u32_e32 vcc_lo, 0, v93
	s_delay_alu instid0(VALU_DEP_2) | instskip(NEXT) | instid1(VALU_DEP_1)
	v_min_u32_e32 v91, 32, v91
	v_subrev_nc_u32_e32 v92, 28, v91
	v_sub_nc_u32_e32 v91, 29, v91
	s_delay_alu instid0(VALU_DEP_1) | instskip(NEXT) | instid1(VALU_DEP_1)
	v_dual_cndmask_b32 v91, v93, v91 :: v_dual_lshlrev_b32 v92, v92, v14
	v_and_b32_e32 v92, 7, v92
	v_lshlrev_b32_e32 v94, 24, v14
	s_delay_alu instid0(VALU_DEP_3) | instskip(NEXT) | instid1(VALU_DEP_2)
	v_lshl_add_u32 v91, v91, 23, 0x3b800000
	v_dual_cndmask_b32 v13, v13, v92 :: v_dual_and_b32 v92, 0x80000000, v94
	s_delay_alu instid0(VALU_DEP_1) | instskip(NEXT) | instid1(VALU_DEP_1)
	v_lshlrev_b32_e32 v13, 20, v13
	v_or3_b32 v13, v92, v91, v13
.LBB6_12487:                            ;   in Loop: Header=BB6_10858 Depth=3
	s_or_b32 exec_lo, exec_lo, s17
	v_and_b32_e32 v92, 0xff, v10
	s_mov_b32 s13, 0
	s_mov_b32 s31, exec_lo
                                        ; implicit-def: $sgpr17
	s_delay_alu instid0(VALU_DEP_1)
	v_cmpx_lt_i16_e32 0x7f, v92
	s_xor_b32 s31, exec_lo, s31
	s_cbranch_execnz .LBB6_13612
; %bb.12488:                            ;   in Loop: Header=BB6_10858 Depth=3
	s_or_saveexec_b32 s31, s31
	v_mov_b32_e32 v91, s17
	s_xor_b32 exec_lo, exec_lo, s31
	s_cbranch_execnz .LBB6_13615
.LBB6_12489:                            ;   in Loop: Header=BB6_10858 Depth=3
	s_or_b32 exec_lo, exec_lo, s31
	s_and_saveexec_b32 s17, s13
	s_cbranch_execz .LBB6_12491
.LBB6_12490:                            ;   in Loop: Header=BB6_10858 Depth=3
	v_bfe_u32 v94, v10, 3, 4
	v_lshlrev_b32_e32 v95, 24, v10
	s_delay_alu instid0(VALU_DEP_2) | instskip(SKIP_1) | instid1(VALU_DEP_1)
	v_cmp_eq_u32_e32 vcc_lo, 0, v94
	v_and_b32_e32 v91, 7, v10
	v_clz_i32_u32_e32 v92, v91
	s_delay_alu instid0(VALU_DEP_1) | instskip(NEXT) | instid1(VALU_DEP_1)
	v_min_u32_e32 v92, 32, v92
	v_subrev_nc_u32_e32 v93, 28, v92
	v_sub_nc_u32_e32 v92, 29, v92
	s_delay_alu instid0(VALU_DEP_1) | instskip(NEXT) | instid1(VALU_DEP_1)
	v_dual_cndmask_b32 v92, v94, v92 :: v_dual_lshlrev_b32 v93, v93, v10
	v_and_b32_e32 v93, 7, v93
	s_delay_alu instid0(VALU_DEP_2) | instskip(NEXT) | instid1(VALU_DEP_2)
	v_lshl_add_u32 v92, v92, 23, 0x3b800000
	v_cndmask_b32_e32 v91, v91, v93, vcc_lo
	v_and_b32_e32 v93, 0x80000000, v95
	s_delay_alu instid0(VALU_DEP_2) | instskip(NEXT) | instid1(VALU_DEP_1)
	v_lshlrev_b32_e32 v91, 20, v91
	v_or3_b32 v91, v93, v92, v91
.LBB6_12491:                            ;   in Loop: Header=BB6_10858 Depth=3
	s_or_b32 exec_lo, exec_lo, s17
	s_delay_alu instid0(VALU_DEP_1) | instskip(SKIP_2) | instid1(VALU_DEP_1)
	v_max_f32_e32 v91, v91, v91
	v_max_f32_e32 v13, v13, v13
	s_mov_b32 s13, 0
	v_max_f32_e32 v91, v13, v91
	s_branch .LBB6_12493
.LBB6_12492:                            ;   in Loop: Header=BB6_10858 Depth=3
	s_mov_b32 s13, -1
                                        ; implicit-def: $vgpr91
.LBB6_12493:                            ;   in Loop: Header=BB6_10858 Depth=3
	s_delay_alu instid0(SALU_CYCLE_1)
	s_and_b32 vcc_lo, exec_lo, s13
	s_cbranch_vccz .LBB6_12503
; %bb.12494:                            ;   in Loop: Header=BB6_10858 Depth=3
	v_and_b32_e32 v91, 0xff, v14
	s_mov_b32 s13, 0
	s_mov_b32 s31, exec_lo
                                        ; implicit-def: $sgpr17
	s_delay_alu instid0(VALU_DEP_1)
	v_cmpx_lt_i16_e32 0x7f, v91
	s_xor_b32 s31, exec_lo, s31
	s_cbranch_execnz .LBB6_13616
; %bb.12495:                            ;   in Loop: Header=BB6_10858 Depth=3
	s_or_saveexec_b32 s31, s31
	v_mov_b32_e32 v13, s17
	s_xor_b32 exec_lo, exec_lo, s31
	s_cbranch_execnz .LBB6_13619
.LBB6_12496:                            ;   in Loop: Header=BB6_10858 Depth=3
	s_or_b32 exec_lo, exec_lo, s31
	s_and_saveexec_b32 s17, s13
	s_cbranch_execz .LBB6_12498
.LBB6_12497:                            ;   in Loop: Header=BB6_10858 Depth=3
	v_and_b32_e32 v13, 7, v14
	v_bfe_u32 v93, v14, 3, 4
	s_delay_alu instid0(VALU_DEP_2) | instskip(NEXT) | instid1(VALU_DEP_2)
	v_clz_i32_u32_e32 v91, v13
	v_cmp_eq_u32_e32 vcc_lo, 0, v93
	s_delay_alu instid0(VALU_DEP_2) | instskip(NEXT) | instid1(VALU_DEP_1)
	v_min_u32_e32 v91, 32, v91
	v_subrev_nc_u32_e32 v92, 28, v91
	v_sub_nc_u32_e32 v91, 29, v91
	s_delay_alu instid0(VALU_DEP_1) | instskip(NEXT) | instid1(VALU_DEP_1)
	v_dual_cndmask_b32 v91, v93, v91 :: v_dual_lshlrev_b32 v92, v92, v14
	v_and_b32_e32 v92, 7, v92
	v_lshlrev_b32_e32 v94, 24, v14
	s_delay_alu instid0(VALU_DEP_3) | instskip(NEXT) | instid1(VALU_DEP_2)
	v_lshl_add_u32 v91, v91, 23, 0x3b800000
	v_dual_cndmask_b32 v13, v13, v92 :: v_dual_and_b32 v92, 0x80000000, v94
	s_delay_alu instid0(VALU_DEP_1) | instskip(NEXT) | instid1(VALU_DEP_1)
	v_lshlrev_b32_e32 v13, 20, v13
	v_or3_b32 v13, v92, v91, v13
.LBB6_12498:                            ;   in Loop: Header=BB6_10858 Depth=3
	s_or_b32 exec_lo, exec_lo, s17
	v_and_b32_e32 v92, 0xff, v10
	s_mov_b32 s13, 0
	s_mov_b32 s31, exec_lo
                                        ; implicit-def: $sgpr17
	s_delay_alu instid0(VALU_DEP_1)
	v_cmpx_lt_i16_e32 0x7f, v92
	s_xor_b32 s31, exec_lo, s31
	s_cbranch_execnz .LBB6_13620
; %bb.12499:                            ;   in Loop: Header=BB6_10858 Depth=3
	s_or_saveexec_b32 s31, s31
	v_mov_b32_e32 v91, s17
	s_xor_b32 exec_lo, exec_lo, s31
	s_cbranch_execnz .LBB6_13623
.LBB6_12500:                            ;   in Loop: Header=BB6_10858 Depth=3
	s_or_b32 exec_lo, exec_lo, s31
	s_and_saveexec_b32 s17, s13
	s_cbranch_execz .LBB6_12502
.LBB6_12501:                            ;   in Loop: Header=BB6_10858 Depth=3
	v_bfe_u32 v94, v10, 3, 4
	v_lshlrev_b32_e32 v95, 24, v10
	s_delay_alu instid0(VALU_DEP_2) | instskip(SKIP_1) | instid1(VALU_DEP_1)
	v_cmp_eq_u32_e32 vcc_lo, 0, v94
	v_and_b32_e32 v91, 7, v10
	v_clz_i32_u32_e32 v92, v91
	s_delay_alu instid0(VALU_DEP_1) | instskip(NEXT) | instid1(VALU_DEP_1)
	v_min_u32_e32 v92, 32, v92
	v_subrev_nc_u32_e32 v93, 28, v92
	v_sub_nc_u32_e32 v92, 29, v92
	s_delay_alu instid0(VALU_DEP_1) | instskip(NEXT) | instid1(VALU_DEP_1)
	v_dual_cndmask_b32 v92, v94, v92 :: v_dual_lshlrev_b32 v93, v93, v10
	v_and_b32_e32 v93, 7, v93
	s_delay_alu instid0(VALU_DEP_2) | instskip(NEXT) | instid1(VALU_DEP_2)
	v_lshl_add_u32 v92, v92, 23, 0x3b800000
	v_cndmask_b32_e32 v91, v91, v93, vcc_lo
	v_and_b32_e32 v93, 0x80000000, v95
	s_delay_alu instid0(VALU_DEP_2) | instskip(NEXT) | instid1(VALU_DEP_1)
	v_lshlrev_b32_e32 v91, 20, v91
	v_or3_b32 v91, v93, v92, v91
.LBB6_12502:                            ;   in Loop: Header=BB6_10858 Depth=3
	s_or_b32 exec_lo, exec_lo, s17
	s_delay_alu instid0(VALU_DEP_1) | instskip(SKIP_1) | instid1(VALU_DEP_1)
	v_max_f32_e32 v91, v91, v91
	v_max_f32_e32 v13, v13, v13
	v_min_f32_e32 v91, v13, v91
.LBB6_12503:                            ;   in Loop: Header=BB6_10858 Depth=3
	s_delay_alu instid0(VALU_DEP_1) | instskip(NEXT) | instid1(VALU_DEP_1)
	v_and_b32_e32 v13, 0x7f800000, v91
	v_cmp_ne_u32_e32 vcc_lo, 0x7f800000, v13
	v_mov_b32_e32 v13, 0x80
	s_and_saveexec_b32 s17, vcc_lo
	s_cbranch_execz .LBB6_12511
; %bb.12504:                            ;   in Loop: Header=BB6_10858 Depth=3
	v_mov_b32_e32 v13, 0
	s_mov_b32 s31, exec_lo
	v_cmpx_ne_u32_e32 0, v91
	s_cbranch_execz .LBB6_12510
; %bb.12505:                            ;   in Loop: Header=BB6_10858 Depth=3
	v_bfe_u32 v13, v91, 23, 8
	s_delay_alu instid0(VALU_DEP_1) | instskip(SKIP_1) | instid1(VALU_DEP_2)
	v_sub_nc_u32_e32 v93, 0x78, v13
	v_cmp_gt_u32_e32 vcc_lo, 0x79, v13
	v_dual_cndmask_b32 v93, 0, v93 :: v_dual_and_b32 v92, 0x7fffff, v91
	s_delay_alu instid0(VALU_DEP_1) | instskip(SKIP_2) | instid1(VALU_DEP_4)
	v_or_b32_e32 v94, 0x800000, v92
	v_cmp_eq_u32_e32 vcc_lo, 0, v13
	v_add_nc_u32_e32 v13, 0xffffff89, v13
	v_cndmask_b32_e64 v93, v93, 0x77, vcc_lo
	s_delay_alu instid0(VALU_DEP_4) | instskip(NEXT) | instid1(VALU_DEP_3)
	v_cndmask_b32_e32 v92, v94, v92, vcc_lo
	v_cndmask_b32_e64 v13, v13, 0xffffff8a, vcc_lo
	s_delay_alu instid0(VALU_DEP_3) | instskip(NEXT) | instid1(VALU_DEP_3)
	v_lshl_add_u32 v94, 0x100000, v93, -1
	v_lshrrev_b32_e32 v95, v93, v92
	v_lshlrev_b32_e64 v105, v93, 0x80000
	s_delay_alu instid0(VALU_DEP_4) | instskip(NEXT) | instid1(VALU_DEP_4)
	v_add_nc_u32_e32 v93, v93, v13
	v_and_b32_e32 v92, v94, v92
	s_delay_alu instid0(VALU_DEP_4) | instskip(NEXT) | instid1(VALU_DEP_2)
	v_bfe_u32 v104, v95, 20, 1
	v_cmp_eq_u32_e64 s13, v92, v105
	s_delay_alu instid0(VALU_DEP_2) | instskip(NEXT) | instid1(VALU_DEP_1)
	v_add_nc_u32_e32 v94, -1, v104
	v_cndmask_b32_e64 v92, 0, v94, s13
	v_lshrrev_b32_e32 v94, 23, v95
	s_mov_b32 s13, exec_lo
	s_delay_alu instid0(VALU_DEP_2) | instskip(NEXT) | instid1(VALU_DEP_2)
	v_add_nc_u32_e32 v92, v92, v95
	v_xor_b32_e32 v94, 1, v94
	s_delay_alu instid0(VALU_DEP_2) | instskip(NEXT) | instid1(VALU_DEP_1)
	v_and_b32_e32 v13, 0xfffff, v92
	v_add_nc_u32_e32 v92, v13, v95
                                        ; implicit-def: $vgpr13
	s_delay_alu instid0(VALU_DEP_3)
	v_cmpx_ne_u32_e64 v93, v94
	s_xor_b32 s13, exec_lo, s13
; %bb.12506:                            ;   in Loop: Header=BB6_10858 Depth=3
	s_delay_alu instid0(VALU_DEP_2) | instskip(SKIP_2) | instid1(VALU_DEP_2)
	v_cmp_lt_u32_e32 vcc_lo, 0xffffff, v92
	v_sub_nc_u32_e32 v13, v93, v94
	v_cndmask_b32_e64 v93, 0, 1, vcc_lo
	v_add_co_ci_u32_e32 v13, vcc_lo, 0, v13, vcc_lo
	s_delay_alu instid0(VALU_DEP_2)
	v_lshrrev_b32_e32 v92, v93, v92
; %bb.12507:                            ;   in Loop: Header=BB6_10858 Depth=3
	s_and_not1_saveexec_b32 s13, s13
; %bb.12508:                            ;   in Loop: Header=BB6_10858 Depth=3
	s_delay_alu instid0(VALU_DEP_1)
	v_bfe_u32 v13, v92, 23, 1
; %bb.12509:                            ;   in Loop: Header=BB6_10858 Depth=3
	s_or_b32 exec_lo, exec_lo, s13
	v_lshrrev_b32_e32 v92, 20, v92
	s_delay_alu instid0(VALU_DEP_2) | instskip(SKIP_2) | instid1(VALU_DEP_2)
	v_cmp_gt_i32_e32 vcc_lo, 16, v13
	v_lshrrev_b32_e32 v91, 24, v91
	v_min_i32_e32 v93, 15, v13
	v_dual_cndmask_b32 v92, 7, v92 :: v_dual_and_b32 v91, 0x80, v91
	s_delay_alu instid0(VALU_DEP_2) | instskip(NEXT) | instid1(VALU_DEP_2)
	v_lshlrev_b32_e32 v93, 3, v93
	v_or_b32_e32 v13, v13, v92
	s_delay_alu instid0(VALU_DEP_1) | instskip(SKIP_1) | instid1(VALU_DEP_1)
	v_cmp_ne_u32_e32 vcc_lo, 0, v13
	v_and_b32_e32 v94, 7, v92
	v_or3_b32 v91, v93, v91, v94
	s_delay_alu instid0(VALU_DEP_1)
	v_cndmask_b32_e32 v13, 0, v91, vcc_lo
.LBB6_12510:                            ;   in Loop: Header=BB6_10858 Depth=3
	s_or_b32 exec_lo, exec_lo, s31
.LBB6_12511:                            ;   in Loop: Header=BB6_10858 Depth=3
	s_delay_alu instid0(SALU_CYCLE_1)
	s_or_b32 exec_lo, exec_lo, s17
	v_lshrrev_b16 v92, 8, v14
	v_lshrrev_b16 v91, 8, v10
	s_and_not1_b32 vcc_lo, exec_lo, s16
	s_cbranch_vccnz .LBB6_12521
; %bb.12512:                            ;   in Loop: Header=BB6_10858 Depth=3
	s_mov_b32 s13, 0
	s_mov_b32 s31, exec_lo
                                        ; implicit-def: $sgpr17
	v_cmpx_lt_i16_e32 0x7f, v92
	s_xor_b32 s31, exec_lo, s31
	s_cbranch_execnz .LBB6_13624
; %bb.12513:                            ;   in Loop: Header=BB6_10858 Depth=3
	s_or_saveexec_b32 s31, s31
	v_mov_b32_e32 v93, s17
	s_xor_b32 exec_lo, exec_lo, s31
	s_cbranch_execnz .LBB6_13627
.LBB6_12514:                            ;   in Loop: Header=BB6_10858 Depth=3
	s_or_b32 exec_lo, exec_lo, s31
	s_and_saveexec_b32 s17, s13
	s_cbranch_execz .LBB6_12516
.LBB6_12515:                            ;   in Loop: Header=BB6_10858 Depth=3
	v_and_b32_e32 v93, 0xffff, v92
	s_delay_alu instid0(VALU_DEP_1) | instskip(NEXT) | instid1(VALU_DEP_1)
	v_and_b32_e32 v94, 7, v93
	v_clz_i32_u32_e32 v95, v94
	s_delay_alu instid0(VALU_DEP_1) | instskip(NEXT) | instid1(VALU_DEP_1)
	v_min_u32_e32 v95, 32, v95
	v_subrev_nc_u32_e32 v104, 28, v95
	v_sub_nc_u32_e32 v95, 29, v95
	s_delay_alu instid0(VALU_DEP_2) | instskip(SKIP_1) | instid1(VALU_DEP_2)
	v_lshlrev_b32_e32 v104, v104, v93
	v_bfe_u32 v93, v93, 3, 4
	v_and_b32_e32 v104, 7, v104
	s_delay_alu instid0(VALU_DEP_2) | instskip(SKIP_1) | instid1(VALU_DEP_3)
	v_cmp_eq_u32_e32 vcc_lo, 0, v93
	v_cndmask_b32_e32 v93, v93, v95, vcc_lo
	v_dual_cndmask_b32 v94, v94, v104 :: v_dual_lshlrev_b32 v105, 16, v14
	s_delay_alu instid0(VALU_DEP_2) | instskip(NEXT) | instid1(VALU_DEP_2)
	v_lshl_add_u32 v93, v93, 23, 0x3b800000
	v_and_b32_e32 v95, 0x80000000, v105
	s_delay_alu instid0(VALU_DEP_3) | instskip(NEXT) | instid1(VALU_DEP_1)
	v_lshlrev_b32_e32 v94, 20, v94
	v_or3_b32 v93, v95, v93, v94
.LBB6_12516:                            ;   in Loop: Header=BB6_10858 Depth=3
	s_or_b32 exec_lo, exec_lo, s17
	s_mov_b32 s13, 0
	s_mov_b32 s31, exec_lo
                                        ; implicit-def: $sgpr17
	v_cmpx_lt_i16_e32 0x7f, v91
	s_xor_b32 s31, exec_lo, s31
	s_cbranch_execnz .LBB6_13628
; %bb.12517:                            ;   in Loop: Header=BB6_10858 Depth=3
	s_or_saveexec_b32 s31, s31
	v_mov_b32_e32 v94, s17
	s_xor_b32 exec_lo, exec_lo, s31
	s_cbranch_execnz .LBB6_13631
.LBB6_12518:                            ;   in Loop: Header=BB6_10858 Depth=3
	s_or_b32 exec_lo, exec_lo, s31
	s_and_saveexec_b32 s17, s13
	s_cbranch_execz .LBB6_12520
.LBB6_12519:                            ;   in Loop: Header=BB6_10858 Depth=3
	v_and_b32_e32 v94, 0xffff, v91
	v_lshlrev_b32_e32 v106, 16, v10
	s_delay_alu instid0(VALU_DEP_2) | instskip(NEXT) | instid1(VALU_DEP_1)
	v_and_b32_e32 v95, 7, v94
	v_clz_i32_u32_e32 v104, v95
	s_delay_alu instid0(VALU_DEP_1) | instskip(NEXT) | instid1(VALU_DEP_1)
	v_min_u32_e32 v104, 32, v104
	v_subrev_nc_u32_e32 v105, 28, v104
	v_sub_nc_u32_e32 v104, 29, v104
	s_delay_alu instid0(VALU_DEP_2) | instskip(SKIP_1) | instid1(VALU_DEP_2)
	v_lshlrev_b32_e32 v105, v105, v94
	v_bfe_u32 v94, v94, 3, 4
	v_and_b32_e32 v105, 7, v105
	s_delay_alu instid0(VALU_DEP_2) | instskip(NEXT) | instid1(VALU_DEP_2)
	v_cmp_eq_u32_e32 vcc_lo, 0, v94
	v_dual_cndmask_b32 v94, v94, v104 :: v_dual_cndmask_b32 v95, v95, v105
	v_and_b32_e32 v104, 0x80000000, v106
	s_delay_alu instid0(VALU_DEP_2) | instskip(NEXT) | instid1(VALU_DEP_3)
	v_lshl_add_u32 v94, v94, 23, 0x3b800000
	v_lshlrev_b32_e32 v95, 20, v95
	s_delay_alu instid0(VALU_DEP_1)
	v_or3_b32 v94, v104, v94, v95
.LBB6_12520:                            ;   in Loop: Header=BB6_10858 Depth=3
	s_or_b32 exec_lo, exec_lo, s17
	s_delay_alu instid0(VALU_DEP_1) | instskip(SKIP_1) | instid1(VALU_DEP_1)
	v_dual_max_f32 v94, v94, v94 :: v_dual_max_f32 v93, v93, v93
	s_mov_b32 s13, 0
	v_max_f32_e32 v93, v93, v94
	s_branch .LBB6_12522
.LBB6_12521:                            ;   in Loop: Header=BB6_10858 Depth=3
	s_mov_b32 s13, -1
                                        ; implicit-def: $vgpr93
.LBB6_12522:                            ;   in Loop: Header=BB6_10858 Depth=3
	s_delay_alu instid0(SALU_CYCLE_1)
	s_and_b32 vcc_lo, exec_lo, s13
	s_cbranch_vccz .LBB6_12532
; %bb.12523:                            ;   in Loop: Header=BB6_10858 Depth=3
	s_mov_b32 s13, 0
	s_mov_b32 s31, exec_lo
                                        ; implicit-def: $sgpr17
	v_cmpx_lt_i16_e32 0x7f, v92
	s_xor_b32 s31, exec_lo, s31
	s_cbranch_execnz .LBB6_13632
; %bb.12524:                            ;   in Loop: Header=BB6_10858 Depth=3
	s_or_saveexec_b32 s31, s31
	v_mov_b32_e32 v93, s17
	s_xor_b32 exec_lo, exec_lo, s31
	s_cbranch_execnz .LBB6_13635
.LBB6_12525:                            ;   in Loop: Header=BB6_10858 Depth=3
	s_or_b32 exec_lo, exec_lo, s31
	s_and_saveexec_b32 s17, s13
	s_cbranch_execz .LBB6_12527
.LBB6_12526:                            ;   in Loop: Header=BB6_10858 Depth=3
	v_and_b32_e32 v92, 0xffff, v92
	v_lshlrev_b32_e32 v104, 16, v14
	s_delay_alu instid0(VALU_DEP_2) | instskip(NEXT) | instid1(VALU_DEP_1)
	v_and_b32_e32 v93, 7, v92
	v_clz_i32_u32_e32 v94, v93
	s_delay_alu instid0(VALU_DEP_1) | instskip(NEXT) | instid1(VALU_DEP_1)
	v_min_u32_e32 v94, 32, v94
	v_subrev_nc_u32_e32 v95, 28, v94
	v_sub_nc_u32_e32 v94, 29, v94
	s_delay_alu instid0(VALU_DEP_2) | instskip(SKIP_1) | instid1(VALU_DEP_2)
	v_lshlrev_b32_e32 v95, v95, v92
	v_bfe_u32 v92, v92, 3, 4
	v_and_b32_e32 v95, 7, v95
	s_delay_alu instid0(VALU_DEP_2) | instskip(NEXT) | instid1(VALU_DEP_2)
	v_cmp_eq_u32_e32 vcc_lo, 0, v92
	v_dual_cndmask_b32 v92, v92, v94 :: v_dual_cndmask_b32 v93, v93, v95
	v_and_b32_e32 v94, 0x80000000, v104
	s_delay_alu instid0(VALU_DEP_2) | instskip(NEXT) | instid1(VALU_DEP_3)
	v_lshl_add_u32 v92, v92, 23, 0x3b800000
	v_lshlrev_b32_e32 v93, 20, v93
	s_delay_alu instid0(VALU_DEP_1)
	v_or3_b32 v93, v94, v92, v93
.LBB6_12527:                            ;   in Loop: Header=BB6_10858 Depth=3
	s_or_b32 exec_lo, exec_lo, s17
	s_mov_b32 s13, 0
	s_mov_b32 s31, exec_lo
                                        ; implicit-def: $sgpr17
	v_cmpx_lt_i16_e32 0x7f, v91
	s_xor_b32 s31, exec_lo, s31
	s_cbranch_execnz .LBB6_13636
; %bb.12528:                            ;   in Loop: Header=BB6_10858 Depth=3
	s_or_saveexec_b32 s31, s31
	v_mov_b32_e32 v92, s17
	s_xor_b32 exec_lo, exec_lo, s31
	s_cbranch_execnz .LBB6_13639
.LBB6_12529:                            ;   in Loop: Header=BB6_10858 Depth=3
	s_or_b32 exec_lo, exec_lo, s31
	s_and_saveexec_b32 s17, s13
	s_cbranch_execz .LBB6_12531
.LBB6_12530:                            ;   in Loop: Header=BB6_10858 Depth=3
	v_and_b32_e32 v91, 0xffff, v91
	v_lshlrev_b32_e32 v104, 16, v10
	s_delay_alu instid0(VALU_DEP_2) | instskip(NEXT) | instid1(VALU_DEP_1)
	v_and_b32_e32 v92, 7, v91
	v_clz_i32_u32_e32 v94, v92
	s_delay_alu instid0(VALU_DEP_1) | instskip(NEXT) | instid1(VALU_DEP_1)
	v_min_u32_e32 v94, 32, v94
	v_subrev_nc_u32_e32 v95, 28, v94
	v_sub_nc_u32_e32 v94, 29, v94
	s_delay_alu instid0(VALU_DEP_2) | instskip(SKIP_1) | instid1(VALU_DEP_2)
	v_lshlrev_b32_e32 v95, v95, v91
	v_bfe_u32 v91, v91, 3, 4
	v_and_b32_e32 v95, 7, v95
	s_delay_alu instid0(VALU_DEP_2) | instskip(NEXT) | instid1(VALU_DEP_2)
	v_cmp_eq_u32_e32 vcc_lo, 0, v91
	v_dual_cndmask_b32 v91, v91, v94 :: v_dual_cndmask_b32 v92, v92, v95
	v_and_b32_e32 v94, 0x80000000, v104
	s_delay_alu instid0(VALU_DEP_2) | instskip(NEXT) | instid1(VALU_DEP_3)
	v_lshl_add_u32 v91, v91, 23, 0x3b800000
	v_lshlrev_b32_e32 v92, 20, v92
	s_delay_alu instid0(VALU_DEP_1)
	v_or3_b32 v92, v94, v91, v92
.LBB6_12531:                            ;   in Loop: Header=BB6_10858 Depth=3
	s_or_b32 exec_lo, exec_lo, s17
	s_delay_alu instid0(VALU_DEP_1) | instskip(NEXT) | instid1(VALU_DEP_1)
	v_dual_max_f32 v91, v92, v92 :: v_dual_max_f32 v92, v93, v93
	v_min_f32_e32 v93, v92, v91
.LBB6_12532:                            ;   in Loop: Header=BB6_10858 Depth=3
	s_delay_alu instid0(VALU_DEP_1) | instskip(NEXT) | instid1(VALU_DEP_1)
	v_and_b32_e32 v91, 0x7f800000, v93
	v_cmp_ne_u32_e32 vcc_lo, 0x7f800000, v91
	v_mov_b32_e32 v91, 0x80
	s_and_saveexec_b32 s17, vcc_lo
	s_cbranch_execz .LBB6_12540
; %bb.12533:                            ;   in Loop: Header=BB6_10858 Depth=3
	v_mov_b32_e32 v91, 0
	s_mov_b32 s31, exec_lo
	v_cmpx_ne_u32_e32 0, v93
	s_cbranch_execz .LBB6_12539
; %bb.12534:                            ;   in Loop: Header=BB6_10858 Depth=3
	v_bfe_u32 v91, v93, 23, 8
	v_and_b32_e32 v92, 0x7fffff, v93
	s_delay_alu instid0(VALU_DEP_2) | instskip(SKIP_1) | instid1(VALU_DEP_3)
	v_sub_nc_u32_e32 v94, 0x78, v91
	v_cmp_gt_u32_e32 vcc_lo, 0x79, v91
	v_or_b32_e32 v95, 0x800000, v92
	s_delay_alu instid0(VALU_DEP_3) | instskip(SKIP_2) | instid1(VALU_DEP_3)
	v_cndmask_b32_e32 v94, 0, v94, vcc_lo
	v_cmp_eq_u32_e32 vcc_lo, 0, v91
	v_add_nc_u32_e32 v91, 0xffffff89, v91
	v_cndmask_b32_e64 v94, v94, 0x77, vcc_lo
	v_cndmask_b32_e32 v92, v95, v92, vcc_lo
	s_delay_alu instid0(VALU_DEP_3) | instskip(NEXT) | instid1(VALU_DEP_3)
	v_cndmask_b32_e64 v91, v91, 0xffffff8a, vcc_lo
	v_lshl_add_u32 v95, 0x100000, v94, -1
	s_delay_alu instid0(VALU_DEP_3) | instskip(SKIP_1) | instid1(VALU_DEP_4)
	v_lshrrev_b32_e32 v104, v94, v92
	v_lshlrev_b32_e64 v106, v94, 0x80000
	v_add_nc_u32_e32 v94, v94, v91
	s_delay_alu instid0(VALU_DEP_4) | instskip(NEXT) | instid1(VALU_DEP_4)
	v_and_b32_e32 v92, v95, v92
	v_bfe_u32 v105, v104, 20, 1
	s_delay_alu instid0(VALU_DEP_2) | instskip(NEXT) | instid1(VALU_DEP_2)
	v_cmp_eq_u32_e64 s13, v92, v106
	v_add_nc_u32_e32 v95, -1, v105
	s_delay_alu instid0(VALU_DEP_1) | instskip(SKIP_2) | instid1(VALU_DEP_2)
	v_cndmask_b32_e64 v92, 0, v95, s13
	v_lshrrev_b32_e32 v95, 23, v104
	s_mov_b32 s13, exec_lo
	v_add_nc_u32_e32 v92, v92, v104
	s_delay_alu instid0(VALU_DEP_2) | instskip(NEXT) | instid1(VALU_DEP_2)
	v_xor_b32_e32 v95, 1, v95
	v_and_b32_e32 v91, 0xfffff, v92
	s_delay_alu instid0(VALU_DEP_1) | instskip(NEXT) | instid1(VALU_DEP_3)
	v_add_nc_u32_e32 v92, v91, v104
                                        ; implicit-def: $vgpr91
	v_cmpx_ne_u32_e64 v94, v95
	s_xor_b32 s13, exec_lo, s13
; %bb.12535:                            ;   in Loop: Header=BB6_10858 Depth=3
	s_delay_alu instid0(VALU_DEP_2) | instskip(SKIP_2) | instid1(VALU_DEP_2)
	v_cmp_lt_u32_e32 vcc_lo, 0xffffff, v92
	v_sub_nc_u32_e32 v91, v94, v95
	v_cndmask_b32_e64 v94, 0, 1, vcc_lo
	v_add_co_ci_u32_e32 v91, vcc_lo, 0, v91, vcc_lo
	s_delay_alu instid0(VALU_DEP_2)
	v_lshrrev_b32_e32 v92, v94, v92
; %bb.12536:                            ;   in Loop: Header=BB6_10858 Depth=3
	s_and_not1_saveexec_b32 s13, s13
; %bb.12537:                            ;   in Loop: Header=BB6_10858 Depth=3
	s_delay_alu instid0(VALU_DEP_1)
	v_bfe_u32 v91, v92, 23, 1
; %bb.12538:                            ;   in Loop: Header=BB6_10858 Depth=3
	s_or_b32 exec_lo, exec_lo, s13
	v_lshrrev_b32_e32 v92, 20, v92
	s_delay_alu instid0(VALU_DEP_2) | instskip(SKIP_2) | instid1(VALU_DEP_2)
	v_cmp_gt_i32_e32 vcc_lo, 16, v91
	v_lshrrev_b32_e32 v93, 24, v93
	v_min_i32_e32 v94, 15, v91
	v_dual_cndmask_b32 v92, 7, v92 :: v_dual_and_b32 v93, 0x80, v93
	s_delay_alu instid0(VALU_DEP_1) | instskip(SKIP_1) | instid1(VALU_DEP_2)
	v_or_b32_e32 v91, v91, v92
	v_and_b32_e32 v95, 7, v92
	v_cmp_ne_u32_e32 vcc_lo, 0, v91
	v_lshlrev_b32_e32 v94, 3, v94
	s_delay_alu instid0(VALU_DEP_1) | instskip(NEXT) | instid1(VALU_DEP_1)
	v_or3_b32 v92, v94, v93, v95
	v_cndmask_b32_e32 v91, 0, v92, vcc_lo
.LBB6_12539:                            ;   in Loop: Header=BB6_10858 Depth=3
	s_or_b32 exec_lo, exec_lo, s31
.LBB6_12540:                            ;   in Loop: Header=BB6_10858 Depth=3
	s_delay_alu instid0(SALU_CYCLE_1)
	s_or_b32 exec_lo, exec_lo, s17
	v_lshrrev_b32_e32 v93, 16, v14
	v_lshrrev_b32_e32 v92, 16, v10
	s_and_not1_b32 vcc_lo, exec_lo, s16
	s_cbranch_vccnz .LBB6_12550
; %bb.12541:                            ;   in Loop: Header=BB6_10858 Depth=3
	s_delay_alu instid0(VALU_DEP_2) | instskip(SKIP_2) | instid1(VALU_DEP_1)
	v_and_b32_e32 v95, 0xff, v93
	s_mov_b32 s13, 0
	s_mov_b32 s31, exec_lo
                                        ; implicit-def: $sgpr17
	v_cmpx_lt_i16_e32 0x7f, v95
	s_xor_b32 s31, exec_lo, s31
	s_cbranch_execnz .LBB6_13640
; %bb.12542:                            ;   in Loop: Header=BB6_10858 Depth=3
	s_or_saveexec_b32 s31, s31
	v_mov_b32_e32 v94, s17
	s_xor_b32 exec_lo, exec_lo, s31
	s_cbranch_execnz .LBB6_13643
.LBB6_12543:                            ;   in Loop: Header=BB6_10858 Depth=3
	s_or_b32 exec_lo, exec_lo, s31
	s_and_saveexec_b32 s17, s13
	s_cbranch_execz .LBB6_12545
.LBB6_12544:                            ;   in Loop: Header=BB6_10858 Depth=3
	v_bfe_u32 v94, v14, 16, 3
	v_bfe_u32 v105, v14, 19, 4
	v_lshlrev_b32_e32 v106, 24, v93
	s_delay_alu instid0(VALU_DEP_3) | instskip(NEXT) | instid1(VALU_DEP_3)
	v_clz_i32_u32_e32 v95, v94
	v_cmp_eq_u32_e32 vcc_lo, 0, v105
	s_delay_alu instid0(VALU_DEP_2) | instskip(NEXT) | instid1(VALU_DEP_1)
	v_min_u32_e32 v95, 32, v95
	v_subrev_nc_u32_e32 v104, 28, v95
	v_sub_nc_u32_e32 v95, 29, v95
	s_delay_alu instid0(VALU_DEP_1) | instskip(NEXT) | instid1(VALU_DEP_1)
	v_dual_cndmask_b32 v95, v105, v95 :: v_dual_lshlrev_b32 v104, v104, v93
	v_and_b32_e32 v104, 7, v104
	s_delay_alu instid0(VALU_DEP_2) | instskip(NEXT) | instid1(VALU_DEP_2)
	v_lshl_add_u32 v95, v95, 23, 0x3b800000
	v_cndmask_b32_e32 v94, v94, v104, vcc_lo
	v_and_b32_e32 v104, 0x80000000, v106
	s_delay_alu instid0(VALU_DEP_2) | instskip(NEXT) | instid1(VALU_DEP_1)
	v_lshlrev_b32_e32 v94, 20, v94
	v_or3_b32 v94, v104, v95, v94
.LBB6_12545:                            ;   in Loop: Header=BB6_10858 Depth=3
	s_or_b32 exec_lo, exec_lo, s17
	v_and_b32_e32 v104, 0xff, v92
	s_mov_b32 s13, 0
	s_mov_b32 s31, exec_lo
                                        ; implicit-def: $sgpr17
	s_delay_alu instid0(VALU_DEP_1)
	v_cmpx_lt_i16_e32 0x7f, v104
	s_xor_b32 s31, exec_lo, s31
	s_cbranch_execnz .LBB6_13644
; %bb.12546:                            ;   in Loop: Header=BB6_10858 Depth=3
	s_or_saveexec_b32 s31, s31
	v_mov_b32_e32 v95, s17
	s_xor_b32 exec_lo, exec_lo, s31
	s_cbranch_execnz .LBB6_13647
.LBB6_12547:                            ;   in Loop: Header=BB6_10858 Depth=3
	s_or_b32 exec_lo, exec_lo, s31
	s_and_saveexec_b32 s17, s13
	s_cbranch_execz .LBB6_12549
.LBB6_12548:                            ;   in Loop: Header=BB6_10858 Depth=3
	v_bfe_u32 v95, v10, 16, 3
	v_bfe_u32 v106, v10, 19, 4
	v_lshlrev_b32_e32 v107, 24, v92
	s_delay_alu instid0(VALU_DEP_3) | instskip(NEXT) | instid1(VALU_DEP_3)
	v_clz_i32_u32_e32 v104, v95
	v_cmp_eq_u32_e32 vcc_lo, 0, v106
	s_delay_alu instid0(VALU_DEP_2) | instskip(NEXT) | instid1(VALU_DEP_1)
	v_min_u32_e32 v104, 32, v104
	v_subrev_nc_u32_e32 v105, 28, v104
	v_sub_nc_u32_e32 v104, 29, v104
	s_delay_alu instid0(VALU_DEP_2) | instskip(NEXT) | instid1(VALU_DEP_1)
	v_lshlrev_b32_e32 v105, v105, v92
	v_dual_cndmask_b32 v104, v106, v104 :: v_dual_and_b32 v105, 7, v105
	s_delay_alu instid0(VALU_DEP_1) | instskip(NEXT) | instid1(VALU_DEP_2)
	v_lshl_add_u32 v104, v104, 23, 0x3b800000
	v_cndmask_b32_e32 v95, v95, v105, vcc_lo
	v_and_b32_e32 v105, 0x80000000, v107
	s_delay_alu instid0(VALU_DEP_2) | instskip(NEXT) | instid1(VALU_DEP_1)
	v_lshlrev_b32_e32 v95, 20, v95
	v_or3_b32 v95, v105, v104, v95
.LBB6_12549:                            ;   in Loop: Header=BB6_10858 Depth=3
	s_or_b32 exec_lo, exec_lo, s17
	s_delay_alu instid0(VALU_DEP_1) | instskip(SKIP_1) | instid1(VALU_DEP_1)
	v_dual_max_f32 v95, v95, v95 :: v_dual_max_f32 v94, v94, v94
	s_mov_b32 s13, 0
	v_max_f32_e32 v94, v94, v95
	s_branch .LBB6_12551
.LBB6_12550:                            ;   in Loop: Header=BB6_10858 Depth=3
	s_mov_b32 s13, -1
                                        ; implicit-def: $vgpr94
.LBB6_12551:                            ;   in Loop: Header=BB6_10858 Depth=3
	s_delay_alu instid0(SALU_CYCLE_1)
	s_and_b32 vcc_lo, exec_lo, s13
	s_cbranch_vccz .LBB6_12561
; %bb.12552:                            ;   in Loop: Header=BB6_10858 Depth=3
	v_and_b32_e32 v95, 0xff, v93
	s_mov_b32 s13, 0
	s_mov_b32 s31, exec_lo
                                        ; implicit-def: $sgpr17
	s_delay_alu instid0(VALU_DEP_1)
	v_cmpx_lt_i16_e32 0x7f, v95
	s_xor_b32 s31, exec_lo, s31
	s_cbranch_execnz .LBB6_13648
; %bb.12553:                            ;   in Loop: Header=BB6_10858 Depth=3
	s_or_saveexec_b32 s31, s31
	v_mov_b32_e32 v94, s17
	s_xor_b32 exec_lo, exec_lo, s31
	s_cbranch_execnz .LBB6_13651
.LBB6_12554:                            ;   in Loop: Header=BB6_10858 Depth=3
	s_or_b32 exec_lo, exec_lo, s31
	s_and_saveexec_b32 s17, s13
	s_cbranch_execz .LBB6_12556
.LBB6_12555:                            ;   in Loop: Header=BB6_10858 Depth=3
	v_bfe_u32 v94, v14, 16, 3
	v_bfe_u32 v105, v14, 19, 4
	s_delay_alu instid0(VALU_DEP_2) | instskip(NEXT) | instid1(VALU_DEP_2)
	v_clz_i32_u32_e32 v95, v94
	v_cmp_eq_u32_e32 vcc_lo, 0, v105
	s_delay_alu instid0(VALU_DEP_2) | instskip(NEXT) | instid1(VALU_DEP_1)
	v_min_u32_e32 v95, 32, v95
	v_subrev_nc_u32_e32 v104, 28, v95
	v_sub_nc_u32_e32 v95, 29, v95
	s_delay_alu instid0(VALU_DEP_1) | instskip(NEXT) | instid1(VALU_DEP_1)
	v_dual_cndmask_b32 v95, v105, v95 :: v_dual_lshlrev_b32 v104, v104, v93
	v_and_b32_e32 v104, 7, v104
	v_lshlrev_b32_e32 v93, 24, v93
	s_delay_alu instid0(VALU_DEP_3) | instskip(NEXT) | instid1(VALU_DEP_2)
	v_lshl_add_u32 v95, v95, 23, 0x3b800000
	v_dual_cndmask_b32 v94, v94, v104 :: v_dual_and_b32 v93, 0x80000000, v93
	s_delay_alu instid0(VALU_DEP_1) | instskip(NEXT) | instid1(VALU_DEP_1)
	v_lshlrev_b32_e32 v94, 20, v94
	v_or3_b32 v94, v93, v95, v94
.LBB6_12556:                            ;   in Loop: Header=BB6_10858 Depth=3
	s_or_b32 exec_lo, exec_lo, s17
	v_and_b32_e32 v95, 0xff, v92
	s_mov_b32 s13, 0
	s_mov_b32 s31, exec_lo
                                        ; implicit-def: $sgpr17
	s_delay_alu instid0(VALU_DEP_1)
	v_cmpx_lt_i16_e32 0x7f, v95
	s_xor_b32 s31, exec_lo, s31
	s_cbranch_execnz .LBB6_13652
; %bb.12557:                            ;   in Loop: Header=BB6_10858 Depth=3
	s_or_saveexec_b32 s31, s31
	v_mov_b32_e32 v93, s17
	s_xor_b32 exec_lo, exec_lo, s31
	s_cbranch_execnz .LBB6_13655
.LBB6_12558:                            ;   in Loop: Header=BB6_10858 Depth=3
	s_or_b32 exec_lo, exec_lo, s31
	s_and_saveexec_b32 s17, s13
	s_cbranch_execz .LBB6_12560
.LBB6_12559:                            ;   in Loop: Header=BB6_10858 Depth=3
	v_bfe_u32 v93, v10, 16, 3
	v_bfe_u32 v105, v10, 19, 4
	s_delay_alu instid0(VALU_DEP_2) | instskip(NEXT) | instid1(VALU_DEP_2)
	v_clz_i32_u32_e32 v95, v93
	v_cmp_eq_u32_e32 vcc_lo, 0, v105
	s_delay_alu instid0(VALU_DEP_2) | instskip(NEXT) | instid1(VALU_DEP_1)
	v_min_u32_e32 v95, 32, v95
	v_subrev_nc_u32_e32 v104, 28, v95
	v_sub_nc_u32_e32 v95, 29, v95
	s_delay_alu instid0(VALU_DEP_1) | instskip(SKIP_1) | instid1(VALU_DEP_2)
	v_dual_cndmask_b32 v95, v105, v95 :: v_dual_lshlrev_b32 v104, v104, v92
	v_lshlrev_b32_e32 v92, 24, v92
	v_and_b32_e32 v104, 7, v104
	s_delay_alu instid0(VALU_DEP_3) | instskip(NEXT) | instid1(VALU_DEP_3)
	v_lshl_add_u32 v95, v95, 23, 0x3b800000
	v_and_b32_e32 v92, 0x80000000, v92
	s_delay_alu instid0(VALU_DEP_3) | instskip(NEXT) | instid1(VALU_DEP_1)
	v_cndmask_b32_e32 v93, v93, v104, vcc_lo
	v_lshlrev_b32_e32 v93, 20, v93
	s_delay_alu instid0(VALU_DEP_1)
	v_or3_b32 v93, v92, v95, v93
.LBB6_12560:                            ;   in Loop: Header=BB6_10858 Depth=3
	s_or_b32 exec_lo, exec_lo, s17
	s_delay_alu instid0(VALU_DEP_1) | instskip(NEXT) | instid1(VALU_DEP_1)
	v_dual_max_f32 v92, v93, v93 :: v_dual_max_f32 v93, v94, v94
	v_min_f32_e32 v94, v93, v92
.LBB6_12561:                            ;   in Loop: Header=BB6_10858 Depth=3
	s_delay_alu instid0(VALU_DEP_1) | instskip(NEXT) | instid1(VALU_DEP_1)
	v_and_b32_e32 v92, 0x7f800000, v94
	v_cmp_ne_u32_e32 vcc_lo, 0x7f800000, v92
	v_mov_b32_e32 v92, 0x80
	s_and_saveexec_b32 s17, vcc_lo
	s_cbranch_execz .LBB6_12569
; %bb.12562:                            ;   in Loop: Header=BB6_10858 Depth=3
	v_mov_b32_e32 v92, 0
	s_mov_b32 s31, exec_lo
	v_cmpx_ne_u32_e32 0, v94
	s_cbranch_execz .LBB6_12568
; %bb.12563:                            ;   in Loop: Header=BB6_10858 Depth=3
	v_bfe_u32 v92, v94, 23, 8
	v_and_b32_e32 v93, 0x7fffff, v94
	s_delay_alu instid0(VALU_DEP_2) | instskip(SKIP_1) | instid1(VALU_DEP_3)
	v_sub_nc_u32_e32 v95, 0x78, v92
	v_cmp_gt_u32_e32 vcc_lo, 0x79, v92
	v_or_b32_e32 v104, 0x800000, v93
	s_delay_alu instid0(VALU_DEP_3) | instskip(SKIP_2) | instid1(VALU_DEP_3)
	v_cndmask_b32_e32 v95, 0, v95, vcc_lo
	v_cmp_eq_u32_e32 vcc_lo, 0, v92
	v_add_nc_u32_e32 v92, 0xffffff89, v92
	v_cndmask_b32_e64 v95, v95, 0x77, vcc_lo
	v_cndmask_b32_e32 v93, v104, v93, vcc_lo
	s_delay_alu instid0(VALU_DEP_3) | instskip(NEXT) | instid1(VALU_DEP_3)
	v_cndmask_b32_e64 v92, v92, 0xffffff8a, vcc_lo
	v_lshl_add_u32 v104, 0x100000, v95, -1
	s_delay_alu instid0(VALU_DEP_3) | instskip(SKIP_1) | instid1(VALU_DEP_4)
	v_lshrrev_b32_e32 v105, v95, v93
	v_lshlrev_b32_e64 v107, v95, 0x80000
	v_add_nc_u32_e32 v95, v95, v92
	s_delay_alu instid0(VALU_DEP_4) | instskip(NEXT) | instid1(VALU_DEP_4)
	v_and_b32_e32 v93, v104, v93
	v_bfe_u32 v106, v105, 20, 1
	s_delay_alu instid0(VALU_DEP_2) | instskip(NEXT) | instid1(VALU_DEP_2)
	v_cmp_eq_u32_e64 s13, v93, v107
	v_add_nc_u32_e32 v104, -1, v106
	s_delay_alu instid0(VALU_DEP_1) | instskip(SKIP_2) | instid1(VALU_DEP_2)
	v_cndmask_b32_e64 v93, 0, v104, s13
	v_lshrrev_b32_e32 v104, 23, v105
	s_mov_b32 s13, exec_lo
	v_add_nc_u32_e32 v93, v93, v105
	s_delay_alu instid0(VALU_DEP_2) | instskip(NEXT) | instid1(VALU_DEP_2)
	v_xor_b32_e32 v104, 1, v104
	v_and_b32_e32 v92, 0xfffff, v93
	s_delay_alu instid0(VALU_DEP_1) | instskip(NEXT) | instid1(VALU_DEP_3)
	v_add_nc_u32_e32 v93, v92, v105
                                        ; implicit-def: $vgpr92
	v_cmpx_ne_u32_e64 v95, v104
	s_xor_b32 s13, exec_lo, s13
; %bb.12564:                            ;   in Loop: Header=BB6_10858 Depth=3
	s_delay_alu instid0(VALU_DEP_2) | instskip(SKIP_2) | instid1(VALU_DEP_2)
	v_cmp_lt_u32_e32 vcc_lo, 0xffffff, v93
	v_sub_nc_u32_e32 v92, v95, v104
	v_cndmask_b32_e64 v95, 0, 1, vcc_lo
	v_add_co_ci_u32_e32 v92, vcc_lo, 0, v92, vcc_lo
	s_delay_alu instid0(VALU_DEP_2)
	v_lshrrev_b32_e32 v93, v95, v93
; %bb.12565:                            ;   in Loop: Header=BB6_10858 Depth=3
	s_and_not1_saveexec_b32 s13, s13
; %bb.12566:                            ;   in Loop: Header=BB6_10858 Depth=3
	s_delay_alu instid0(VALU_DEP_1)
	v_bfe_u32 v92, v93, 23, 1
; %bb.12567:                            ;   in Loop: Header=BB6_10858 Depth=3
	s_or_b32 exec_lo, exec_lo, s13
	v_lshrrev_b32_e32 v93, 20, v93
	s_delay_alu instid0(VALU_DEP_2) | instskip(SKIP_2) | instid1(VALU_DEP_2)
	v_cmp_gt_i32_e32 vcc_lo, 16, v92
	v_lshrrev_b32_e32 v94, 24, v94
	v_min_i32_e32 v95, 15, v92
	v_dual_cndmask_b32 v93, 7, v93 :: v_dual_and_b32 v94, 0x80, v94
	s_delay_alu instid0(VALU_DEP_1) | instskip(SKIP_1) | instid1(VALU_DEP_2)
	v_or_b32_e32 v92, v92, v93
	v_and_b32_e32 v104, 7, v93
	v_cmp_ne_u32_e32 vcc_lo, 0, v92
	v_lshlrev_b32_e32 v95, 3, v95
	s_delay_alu instid0(VALU_DEP_1) | instskip(NEXT) | instid1(VALU_DEP_1)
	v_or3_b32 v93, v95, v94, v104
	v_cndmask_b32_e32 v92, 0, v93, vcc_lo
.LBB6_12568:                            ;   in Loop: Header=BB6_10858 Depth=3
	s_or_b32 exec_lo, exec_lo, s31
.LBB6_12569:                            ;   in Loop: Header=BB6_10858 Depth=3
	s_delay_alu instid0(SALU_CYCLE_1)
	s_or_b32 exec_lo, exec_lo, s17
	v_lshrrev_b32_e32 v94, 24, v14
	v_lshrrev_b32_e32 v93, 24, v10
	s_and_not1_b32 vcc_lo, exec_lo, s16
	s_cbranch_vccnz .LBB6_12579
; %bb.12570:                            ;   in Loop: Header=BB6_10858 Depth=3
	s_mov_b32 s13, 0
	s_mov_b32 s31, exec_lo
                                        ; implicit-def: $sgpr17
	v_cmpx_lt_i16_e32 0x7f, v94
	s_xor_b32 s31, exec_lo, s31
	s_cbranch_execnz .LBB6_13656
; %bb.12571:                            ;   in Loop: Header=BB6_10858 Depth=3
	s_or_saveexec_b32 s31, s31
	v_mov_b32_e32 v95, s17
	s_xor_b32 exec_lo, exec_lo, s31
	s_cbranch_execnz .LBB6_13659
.LBB6_12572:                            ;   in Loop: Header=BB6_10858 Depth=3
	s_or_b32 exec_lo, exec_lo, s31
	s_and_saveexec_b32 s17, s13
	s_cbranch_execz .LBB6_12574
.LBB6_12573:                            ;   in Loop: Header=BB6_10858 Depth=3
	v_bfe_u32 v95, v14, 24, 3
	v_bfe_u32 v106, v14, 27, 4
	s_delay_alu instid0(VALU_DEP_2) | instskip(NEXT) | instid1(VALU_DEP_2)
	v_clz_i32_u32_e32 v104, v95
	v_cmp_eq_u32_e32 vcc_lo, 0, v106
	s_delay_alu instid0(VALU_DEP_2) | instskip(NEXT) | instid1(VALU_DEP_1)
	v_min_u32_e32 v104, 32, v104
	v_subrev_nc_u32_e32 v105, 28, v104
	v_sub_nc_u32_e32 v104, 29, v104
	s_delay_alu instid0(VALU_DEP_1) | instskip(NEXT) | instid1(VALU_DEP_1)
	v_dual_cndmask_b32 v104, v106, v104 :: v_dual_lshlrev_b32 v105, v105, v94
	v_and_b32_e32 v105, 7, v105
	s_delay_alu instid0(VALU_DEP_2) | instskip(NEXT) | instid1(VALU_DEP_2)
	v_lshl_add_u32 v104, v104, 23, 0x3b800000
	v_cndmask_b32_e32 v95, v95, v105, vcc_lo
	v_and_b32_e32 v105, 0x80000000, v14
	s_delay_alu instid0(VALU_DEP_2) | instskip(NEXT) | instid1(VALU_DEP_1)
	v_lshlrev_b32_e32 v95, 20, v95
	v_or3_b32 v95, v105, v104, v95
.LBB6_12574:                            ;   in Loop: Header=BB6_10858 Depth=3
	s_or_b32 exec_lo, exec_lo, s17
	s_mov_b32 s13, 0
	s_mov_b32 s31, exec_lo
                                        ; implicit-def: $sgpr17
	v_cmpx_lt_i16_e32 0x7f, v93
	s_xor_b32 s31, exec_lo, s31
	s_cbranch_execnz .LBB6_13660
; %bb.12575:                            ;   in Loop: Header=BB6_10858 Depth=3
	s_or_saveexec_b32 s31, s31
	v_mov_b32_e32 v104, s17
	s_xor_b32 exec_lo, exec_lo, s31
	s_cbranch_execnz .LBB6_13663
.LBB6_12576:                            ;   in Loop: Header=BB6_10858 Depth=3
	s_or_b32 exec_lo, exec_lo, s31
	s_and_saveexec_b32 s17, s13
	s_cbranch_execz .LBB6_12578
.LBB6_12577:                            ;   in Loop: Header=BB6_10858 Depth=3
	v_bfe_u32 v104, v10, 24, 3
	v_bfe_u32 v107, v10, 27, 4
	s_delay_alu instid0(VALU_DEP_2) | instskip(NEXT) | instid1(VALU_DEP_2)
	v_clz_i32_u32_e32 v105, v104
	v_cmp_eq_u32_e32 vcc_lo, 0, v107
	s_delay_alu instid0(VALU_DEP_2) | instskip(NEXT) | instid1(VALU_DEP_1)
	v_min_u32_e32 v105, 32, v105
	v_subrev_nc_u32_e32 v106, 28, v105
	v_sub_nc_u32_e32 v105, 29, v105
	s_delay_alu instid0(VALU_DEP_2) | instskip(NEXT) | instid1(VALU_DEP_1)
	v_lshlrev_b32_e32 v106, v106, v93
	v_dual_cndmask_b32 v105, v107, v105 :: v_dual_and_b32 v106, 7, v106
	s_delay_alu instid0(VALU_DEP_1) | instskip(NEXT) | instid1(VALU_DEP_2)
	v_lshl_add_u32 v105, v105, 23, 0x3b800000
	v_cndmask_b32_e32 v104, v104, v106, vcc_lo
	v_and_b32_e32 v106, 0x80000000, v10
	s_delay_alu instid0(VALU_DEP_2) | instskip(NEXT) | instid1(VALU_DEP_1)
	v_lshlrev_b32_e32 v104, 20, v104
	v_or3_b32 v104, v106, v105, v104
.LBB6_12578:                            ;   in Loop: Header=BB6_10858 Depth=3
	s_or_b32 exec_lo, exec_lo, s17
	s_delay_alu instid0(VALU_DEP_1) | instskip(SKIP_1) | instid1(VALU_DEP_1)
	v_dual_max_f32 v104, v104, v104 :: v_dual_max_f32 v95, v95, v95
	s_mov_b32 s13, 0
	v_max_f32_e32 v95, v95, v104
	s_branch .LBB6_12580
.LBB6_12579:                            ;   in Loop: Header=BB6_10858 Depth=3
	s_mov_b32 s13, -1
                                        ; implicit-def: $vgpr95
.LBB6_12580:                            ;   in Loop: Header=BB6_10858 Depth=3
	s_delay_alu instid0(SALU_CYCLE_1)
	s_and_b32 vcc_lo, exec_lo, s13
	s_cbranch_vccz .LBB6_12590
; %bb.12581:                            ;   in Loop: Header=BB6_10858 Depth=3
	s_mov_b32 s13, 0
	s_mov_b32 s31, exec_lo
                                        ; implicit-def: $sgpr17
	v_cmpx_lt_i16_e32 0x7f, v94
	s_xor_b32 s31, exec_lo, s31
	s_cbranch_execnz .LBB6_13664
; %bb.12582:                            ;   in Loop: Header=BB6_10858 Depth=3
	s_or_saveexec_b32 s31, s31
	v_mov_b32_e32 v95, s17
	s_xor_b32 exec_lo, exec_lo, s31
	s_cbranch_execnz .LBB6_13667
.LBB6_12583:                            ;   in Loop: Header=BB6_10858 Depth=3
	s_or_b32 exec_lo, exec_lo, s31
	s_and_saveexec_b32 s17, s13
	s_cbranch_execz .LBB6_12585
.LBB6_12584:                            ;   in Loop: Header=BB6_10858 Depth=3
	v_bfe_u32 v95, v14, 24, 3
	s_delay_alu instid0(VALU_DEP_1) | instskip(NEXT) | instid1(VALU_DEP_1)
	v_clz_i32_u32_e32 v104, v95
	v_min_u32_e32 v104, 32, v104
	s_delay_alu instid0(VALU_DEP_1) | instskip(SKIP_1) | instid1(VALU_DEP_2)
	v_subrev_nc_u32_e32 v105, 28, v104
	v_sub_nc_u32_e32 v104, 29, v104
	v_lshlrev_b32_e32 v94, v105, v94
	v_bfe_u32 v105, v14, 27, 4
	v_and_b32_e32 v14, 0x80000000, v14
	s_delay_alu instid0(VALU_DEP_3) | instskip(NEXT) | instid1(VALU_DEP_3)
	v_and_b32_e32 v94, 7, v94
	v_cmp_eq_u32_e32 vcc_lo, 0, v105
	v_cndmask_b32_e32 v104, v105, v104, vcc_lo
	s_delay_alu instid0(VALU_DEP_3) | instskip(NEXT) | instid1(VALU_DEP_2)
	v_cndmask_b32_e32 v94, v95, v94, vcc_lo
	v_lshl_add_u32 v95, v104, 23, 0x3b800000
	s_delay_alu instid0(VALU_DEP_2) | instskip(NEXT) | instid1(VALU_DEP_1)
	v_lshlrev_b32_e32 v94, 20, v94
	v_or3_b32 v95, v14, v95, v94
.LBB6_12585:                            ;   in Loop: Header=BB6_10858 Depth=3
	s_or_b32 exec_lo, exec_lo, s17
	s_mov_b32 s13, 0
	s_mov_b32 s31, exec_lo
                                        ; implicit-def: $sgpr17
	v_cmpx_lt_i16_e32 0x7f, v93
	s_xor_b32 s31, exec_lo, s31
	s_cbranch_execnz .LBB6_13668
; %bb.12586:                            ;   in Loop: Header=BB6_10858 Depth=3
	s_or_saveexec_b32 s31, s31
	v_mov_b32_e32 v14, s17
	s_xor_b32 exec_lo, exec_lo, s31
	s_cbranch_execnz .LBB6_13671
.LBB6_12587:                            ;   in Loop: Header=BB6_10858 Depth=3
	s_or_b32 exec_lo, exec_lo, s31
	s_and_saveexec_b32 s17, s13
	s_cbranch_execz .LBB6_12589
.LBB6_12588:                            ;   in Loop: Header=BB6_10858 Depth=3
	v_bfe_u32 v14, v10, 24, 3
	s_delay_alu instid0(VALU_DEP_1) | instskip(NEXT) | instid1(VALU_DEP_1)
	v_clz_i32_u32_e32 v94, v14
	v_min_u32_e32 v94, 32, v94
	s_delay_alu instid0(VALU_DEP_1) | instskip(SKIP_1) | instid1(VALU_DEP_2)
	v_subrev_nc_u32_e32 v104, 28, v94
	v_sub_nc_u32_e32 v94, 29, v94
	v_lshlrev_b32_e32 v93, v104, v93
	v_bfe_u32 v104, v10, 27, 4
	v_and_b32_e32 v10, 0x80000000, v10
	s_delay_alu instid0(VALU_DEP_2) | instskip(NEXT) | instid1(VALU_DEP_4)
	v_cmp_eq_u32_e32 vcc_lo, 0, v104
	v_dual_cndmask_b32 v94, v104, v94 :: v_dual_and_b32 v93, 7, v93
	s_delay_alu instid0(VALU_DEP_1) | instskip(NEXT) | instid1(VALU_DEP_2)
	v_cndmask_b32_e32 v14, v14, v93, vcc_lo
	v_lshl_add_u32 v93, v94, 23, 0x3b800000
	s_delay_alu instid0(VALU_DEP_2) | instskip(NEXT) | instid1(VALU_DEP_1)
	v_lshlrev_b32_e32 v14, 20, v14
	v_or3_b32 v14, v10, v93, v14
.LBB6_12589:                            ;   in Loop: Header=BB6_10858 Depth=3
	s_or_b32 exec_lo, exec_lo, s17
	s_delay_alu instid0(VALU_DEP_1) | instskip(SKIP_1) | instid1(VALU_DEP_1)
	v_max_f32_e32 v10, v14, v14
	v_max_f32_e32 v14, v95, v95
	v_min_f32_e32 v95, v14, v10
.LBB6_12590:                            ;   in Loop: Header=BB6_10858 Depth=3
	s_delay_alu instid0(VALU_DEP_1) | instskip(NEXT) | instid1(VALU_DEP_1)
	v_and_b32_e32 v10, 0x7f800000, v95
	v_cmp_ne_u32_e32 vcc_lo, 0x7f800000, v10
	v_mov_b32_e32 v10, 0x80
	s_and_saveexec_b32 s17, vcc_lo
	s_cbranch_execz .LBB6_12598
; %bb.12591:                            ;   in Loop: Header=BB6_10858 Depth=3
	v_mov_b32_e32 v10, 0
	s_mov_b32 s31, exec_lo
	v_cmpx_ne_u32_e32 0, v95
	s_cbranch_execz .LBB6_12597
; %bb.12592:                            ;   in Loop: Header=BB6_10858 Depth=3
	v_bfe_u32 v10, v95, 23, 8
	s_delay_alu instid0(VALU_DEP_1) | instskip(SKIP_1) | instid1(VALU_DEP_2)
	v_sub_nc_u32_e32 v93, 0x78, v10
	v_cmp_gt_u32_e32 vcc_lo, 0x79, v10
	v_dual_cndmask_b32 v93, 0, v93 :: v_dual_and_b32 v14, 0x7fffff, v95
	s_delay_alu instid0(VALU_DEP_1) | instskip(SKIP_2) | instid1(VALU_DEP_4)
	v_or_b32_e32 v94, 0x800000, v14
	v_cmp_eq_u32_e32 vcc_lo, 0, v10
	v_add_nc_u32_e32 v10, 0xffffff89, v10
	v_cndmask_b32_e64 v93, v93, 0x77, vcc_lo
	s_delay_alu instid0(VALU_DEP_4) | instskip(NEXT) | instid1(VALU_DEP_3)
	v_cndmask_b32_e32 v14, v94, v14, vcc_lo
	v_cndmask_b32_e64 v10, v10, 0xffffff8a, vcc_lo
	s_delay_alu instid0(VALU_DEP_3) | instskip(NEXT) | instid1(VALU_DEP_3)
	v_lshl_add_u32 v94, 0x100000, v93, -1
	v_lshrrev_b32_e32 v104, v93, v14
	v_lshlrev_b32_e64 v106, v93, 0x80000
	s_delay_alu instid0(VALU_DEP_4) | instskip(NEXT) | instid1(VALU_DEP_4)
	v_add_nc_u32_e32 v93, v93, v10
	v_and_b32_e32 v14, v94, v14
	s_delay_alu instid0(VALU_DEP_4) | instskip(NEXT) | instid1(VALU_DEP_2)
	v_bfe_u32 v105, v104, 20, 1
	v_cmp_eq_u32_e64 s13, v14, v106
	s_delay_alu instid0(VALU_DEP_2) | instskip(NEXT) | instid1(VALU_DEP_1)
	v_add_nc_u32_e32 v94, -1, v105
	v_cndmask_b32_e64 v14, 0, v94, s13
	v_lshrrev_b32_e32 v94, 23, v104
	s_mov_b32 s13, exec_lo
	s_delay_alu instid0(VALU_DEP_2) | instskip(NEXT) | instid1(VALU_DEP_2)
	v_add_nc_u32_e32 v14, v14, v104
	v_xor_b32_e32 v94, 1, v94
	s_delay_alu instid0(VALU_DEP_2) | instskip(NEXT) | instid1(VALU_DEP_1)
	v_and_b32_e32 v10, 0xfffff, v14
	v_add_nc_u32_e32 v14, v10, v104
                                        ; implicit-def: $vgpr10
	s_delay_alu instid0(VALU_DEP_3)
	v_cmpx_ne_u32_e64 v93, v94
	s_xor_b32 s13, exec_lo, s13
; %bb.12593:                            ;   in Loop: Header=BB6_10858 Depth=3
	s_delay_alu instid0(VALU_DEP_2) | instskip(SKIP_2) | instid1(VALU_DEP_2)
	v_cmp_lt_u32_e32 vcc_lo, 0xffffff, v14
	v_sub_nc_u32_e32 v10, v93, v94
	v_cndmask_b32_e64 v93, 0, 1, vcc_lo
	v_add_co_ci_u32_e32 v10, vcc_lo, 0, v10, vcc_lo
	s_delay_alu instid0(VALU_DEP_2)
	v_lshrrev_b32_e32 v14, v93, v14
; %bb.12594:                            ;   in Loop: Header=BB6_10858 Depth=3
	s_and_not1_saveexec_b32 s13, s13
; %bb.12595:                            ;   in Loop: Header=BB6_10858 Depth=3
	s_delay_alu instid0(VALU_DEP_1)
	v_bfe_u32 v10, v14, 23, 1
; %bb.12596:                            ;   in Loop: Header=BB6_10858 Depth=3
	s_or_b32 exec_lo, exec_lo, s13
	v_lshrrev_b32_e32 v14, 20, v14
	s_delay_alu instid0(VALU_DEP_2) | instskip(SKIP_2) | instid1(VALU_DEP_2)
	v_cmp_gt_i32_e32 vcc_lo, 16, v10
	v_lshrrev_b32_e32 v93, 24, v95
	v_min_i32_e32 v94, 15, v10
	v_dual_cndmask_b32 v14, 7, v14 :: v_dual_and_b32 v93, 0x80, v93
	s_delay_alu instid0(VALU_DEP_2) | instskip(NEXT) | instid1(VALU_DEP_2)
	v_lshlrev_b32_e32 v94, 3, v94
	v_and_b32_e32 v95, 7, v14
	v_or_b32_e32 v10, v10, v14
	s_delay_alu instid0(VALU_DEP_2) | instskip(NEXT) | instid1(VALU_DEP_2)
	v_or3_b32 v14, v94, v93, v95
	v_cmp_ne_u32_e32 vcc_lo, 0, v10
	s_delay_alu instid0(VALU_DEP_2)
	v_cndmask_b32_e32 v10, 0, v14, vcc_lo
.LBB6_12597:                            ;   in Loop: Header=BB6_10858 Depth=3
	s_or_b32 exec_lo, exec_lo, s31
.LBB6_12598:                            ;   in Loop: Header=BB6_10858 Depth=3
	s_delay_alu instid0(SALU_CYCLE_1) | instskip(NEXT) | instid1(SALU_CYCLE_1)
	s_or_b32 exec_lo, exec_lo, s17
	s_and_not1_b32 vcc_lo, exec_lo, s16
	s_cbranch_vccnz .LBB6_12608
; %bb.12599:                            ;   in Loop: Header=BB6_10858 Depth=3
	v_and_b32_e32 v93, 0xff, v15
	s_mov_b32 s13, 0
	s_mov_b32 s31, exec_lo
                                        ; implicit-def: $sgpr17
	s_delay_alu instid0(VALU_DEP_1)
	v_cmpx_lt_i16_e32 0x7f, v93
	s_xor_b32 s31, exec_lo, s31
	s_cbranch_execnz .LBB6_13672
; %bb.12600:                            ;   in Loop: Header=BB6_10858 Depth=3
	s_or_saveexec_b32 s31, s31
	v_mov_b32_e32 v14, s17
	s_xor_b32 exec_lo, exec_lo, s31
	s_cbranch_execnz .LBB6_13675
.LBB6_12601:                            ;   in Loop: Header=BB6_10858 Depth=3
	s_or_b32 exec_lo, exec_lo, s31
	s_and_saveexec_b32 s17, s13
	s_cbranch_execz .LBB6_12603
.LBB6_12602:                            ;   in Loop: Header=BB6_10858 Depth=3
	v_bfe_u32 v95, v15, 3, 4
	v_lshlrev_b32_e32 v104, 24, v15
	s_delay_alu instid0(VALU_DEP_2) | instskip(SKIP_1) | instid1(VALU_DEP_1)
	v_cmp_eq_u32_e32 vcc_lo, 0, v95
	v_and_b32_e32 v14, 7, v15
	v_clz_i32_u32_e32 v93, v14
	s_delay_alu instid0(VALU_DEP_1) | instskip(NEXT) | instid1(VALU_DEP_1)
	v_min_u32_e32 v93, 32, v93
	v_subrev_nc_u32_e32 v94, 28, v93
	v_sub_nc_u32_e32 v93, 29, v93
	s_delay_alu instid0(VALU_DEP_1) | instskip(NEXT) | instid1(VALU_DEP_1)
	v_dual_cndmask_b32 v93, v95, v93 :: v_dual_lshlrev_b32 v94, v94, v15
	v_and_b32_e32 v94, 7, v94
	s_delay_alu instid0(VALU_DEP_2) | instskip(NEXT) | instid1(VALU_DEP_2)
	v_lshl_add_u32 v93, v93, 23, 0x3b800000
	v_cndmask_b32_e32 v14, v14, v94, vcc_lo
	v_and_b32_e32 v94, 0x80000000, v104
	s_delay_alu instid0(VALU_DEP_2) | instskip(NEXT) | instid1(VALU_DEP_1)
	v_lshlrev_b32_e32 v14, 20, v14
	v_or3_b32 v14, v94, v93, v14
.LBB6_12603:                            ;   in Loop: Header=BB6_10858 Depth=3
	s_or_b32 exec_lo, exec_lo, s17
	v_and_b32_e32 v94, 0xff, v11
	s_mov_b32 s13, 0
	s_mov_b32 s31, exec_lo
                                        ; implicit-def: $sgpr17
	s_delay_alu instid0(VALU_DEP_1)
	v_cmpx_lt_i16_e32 0x7f, v94
	s_xor_b32 s31, exec_lo, s31
	s_cbranch_execnz .LBB6_13676
; %bb.12604:                            ;   in Loop: Header=BB6_10858 Depth=3
	s_or_saveexec_b32 s31, s31
	v_mov_b32_e32 v93, s17
	s_xor_b32 exec_lo, exec_lo, s31
	s_cbranch_execnz .LBB6_13679
.LBB6_12605:                            ;   in Loop: Header=BB6_10858 Depth=3
	s_or_b32 exec_lo, exec_lo, s31
	s_and_saveexec_b32 s17, s13
	s_cbranch_execz .LBB6_12607
.LBB6_12606:                            ;   in Loop: Header=BB6_10858 Depth=3
	v_bfe_u32 v104, v11, 3, 4
	v_lshlrev_b32_e32 v105, 24, v11
	s_delay_alu instid0(VALU_DEP_2) | instskip(SKIP_1) | instid1(VALU_DEP_1)
	v_cmp_eq_u32_e32 vcc_lo, 0, v104
	v_and_b32_e32 v93, 7, v11
	v_clz_i32_u32_e32 v94, v93
	s_delay_alu instid0(VALU_DEP_1) | instskip(NEXT) | instid1(VALU_DEP_1)
	v_min_u32_e32 v94, 32, v94
	v_subrev_nc_u32_e32 v95, 28, v94
	v_sub_nc_u32_e32 v94, 29, v94
	s_delay_alu instid0(VALU_DEP_1) | instskip(NEXT) | instid1(VALU_DEP_1)
	v_dual_cndmask_b32 v94, v104, v94 :: v_dual_lshlrev_b32 v95, v95, v11
	v_and_b32_e32 v95, 7, v95
	s_delay_alu instid0(VALU_DEP_2) | instskip(NEXT) | instid1(VALU_DEP_2)
	v_lshl_add_u32 v94, v94, 23, 0x3b800000
	v_cndmask_b32_e32 v93, v93, v95, vcc_lo
	v_and_b32_e32 v95, 0x80000000, v105
	s_delay_alu instid0(VALU_DEP_2) | instskip(NEXT) | instid1(VALU_DEP_1)
	v_lshlrev_b32_e32 v93, 20, v93
	v_or3_b32 v93, v95, v94, v93
.LBB6_12607:                            ;   in Loop: Header=BB6_10858 Depth=3
	s_or_b32 exec_lo, exec_lo, s17
	s_delay_alu instid0(VALU_DEP_1) | instskip(SKIP_1) | instid1(VALU_DEP_1)
	v_dual_max_f32 v93, v93, v93 :: v_dual_max_f32 v14, v14, v14
	s_mov_b32 s13, 0
	v_max_f32_e32 v93, v14, v93
	s_branch .LBB6_12609
.LBB6_12608:                            ;   in Loop: Header=BB6_10858 Depth=3
	s_mov_b32 s13, -1
                                        ; implicit-def: $vgpr93
.LBB6_12609:                            ;   in Loop: Header=BB6_10858 Depth=3
	s_delay_alu instid0(SALU_CYCLE_1)
	s_and_b32 vcc_lo, exec_lo, s13
	s_cbranch_vccz .LBB6_12619
; %bb.12610:                            ;   in Loop: Header=BB6_10858 Depth=3
	v_and_b32_e32 v93, 0xff, v15
	s_mov_b32 s13, 0
	s_mov_b32 s31, exec_lo
                                        ; implicit-def: $sgpr17
	s_delay_alu instid0(VALU_DEP_1)
	v_cmpx_lt_i16_e32 0x7f, v93
	s_xor_b32 s31, exec_lo, s31
	s_cbranch_execnz .LBB6_13680
; %bb.12611:                            ;   in Loop: Header=BB6_10858 Depth=3
	s_or_saveexec_b32 s31, s31
	v_mov_b32_e32 v14, s17
	s_xor_b32 exec_lo, exec_lo, s31
	s_cbranch_execnz .LBB6_13683
.LBB6_12612:                            ;   in Loop: Header=BB6_10858 Depth=3
	s_or_b32 exec_lo, exec_lo, s31
	s_and_saveexec_b32 s17, s13
	s_cbranch_execz .LBB6_12614
.LBB6_12613:                            ;   in Loop: Header=BB6_10858 Depth=3
	v_bfe_u32 v95, v15, 3, 4
	v_lshlrev_b32_e32 v104, 24, v15
	s_delay_alu instid0(VALU_DEP_2) | instskip(SKIP_1) | instid1(VALU_DEP_1)
	v_cmp_eq_u32_e32 vcc_lo, 0, v95
	v_and_b32_e32 v14, 7, v15
	v_clz_i32_u32_e32 v93, v14
	s_delay_alu instid0(VALU_DEP_1) | instskip(NEXT) | instid1(VALU_DEP_1)
	v_min_u32_e32 v93, 32, v93
	v_subrev_nc_u32_e32 v94, 28, v93
	v_sub_nc_u32_e32 v93, 29, v93
	s_delay_alu instid0(VALU_DEP_1) | instskip(NEXT) | instid1(VALU_DEP_1)
	v_dual_cndmask_b32 v93, v95, v93 :: v_dual_lshlrev_b32 v94, v94, v15
	v_and_b32_e32 v94, 7, v94
	s_delay_alu instid0(VALU_DEP_2) | instskip(NEXT) | instid1(VALU_DEP_2)
	v_lshl_add_u32 v93, v93, 23, 0x3b800000
	v_cndmask_b32_e32 v14, v14, v94, vcc_lo
	v_and_b32_e32 v94, 0x80000000, v104
	s_delay_alu instid0(VALU_DEP_2) | instskip(NEXT) | instid1(VALU_DEP_1)
	v_lshlrev_b32_e32 v14, 20, v14
	v_or3_b32 v14, v94, v93, v14
.LBB6_12614:                            ;   in Loop: Header=BB6_10858 Depth=3
	s_or_b32 exec_lo, exec_lo, s17
	v_and_b32_e32 v94, 0xff, v11
	s_mov_b32 s13, 0
	s_mov_b32 s31, exec_lo
                                        ; implicit-def: $sgpr17
	s_delay_alu instid0(VALU_DEP_1)
	v_cmpx_lt_i16_e32 0x7f, v94
	s_xor_b32 s31, exec_lo, s31
	s_cbranch_execnz .LBB6_13684
; %bb.12615:                            ;   in Loop: Header=BB6_10858 Depth=3
	s_or_saveexec_b32 s31, s31
	v_mov_b32_e32 v93, s17
	s_xor_b32 exec_lo, exec_lo, s31
	s_cbranch_execnz .LBB6_13687
.LBB6_12616:                            ;   in Loop: Header=BB6_10858 Depth=3
	s_or_b32 exec_lo, exec_lo, s31
	s_and_saveexec_b32 s17, s13
	s_cbranch_execz .LBB6_12618
.LBB6_12617:                            ;   in Loop: Header=BB6_10858 Depth=3
	v_bfe_u32 v104, v11, 3, 4
	v_lshlrev_b32_e32 v105, 24, v11
	s_delay_alu instid0(VALU_DEP_2) | instskip(SKIP_1) | instid1(VALU_DEP_1)
	v_cmp_eq_u32_e32 vcc_lo, 0, v104
	v_and_b32_e32 v93, 7, v11
	v_clz_i32_u32_e32 v94, v93
	s_delay_alu instid0(VALU_DEP_1) | instskip(NEXT) | instid1(VALU_DEP_1)
	v_min_u32_e32 v94, 32, v94
	v_subrev_nc_u32_e32 v95, 28, v94
	v_sub_nc_u32_e32 v94, 29, v94
	s_delay_alu instid0(VALU_DEP_1) | instskip(NEXT) | instid1(VALU_DEP_1)
	v_dual_cndmask_b32 v94, v104, v94 :: v_dual_lshlrev_b32 v95, v95, v11
	v_and_b32_e32 v95, 7, v95
	s_delay_alu instid0(VALU_DEP_2) | instskip(NEXT) | instid1(VALU_DEP_2)
	v_lshl_add_u32 v94, v94, 23, 0x3b800000
	v_cndmask_b32_e32 v93, v93, v95, vcc_lo
	v_and_b32_e32 v95, 0x80000000, v105
	s_delay_alu instid0(VALU_DEP_2) | instskip(NEXT) | instid1(VALU_DEP_1)
	v_lshlrev_b32_e32 v93, 20, v93
	v_or3_b32 v93, v95, v94, v93
.LBB6_12618:                            ;   in Loop: Header=BB6_10858 Depth=3
	s_or_b32 exec_lo, exec_lo, s17
	s_delay_alu instid0(VALU_DEP_1) | instskip(NEXT) | instid1(VALU_DEP_1)
	v_dual_max_f32 v93, v93, v93 :: v_dual_max_f32 v14, v14, v14
	v_min_f32_e32 v93, v14, v93
.LBB6_12619:                            ;   in Loop: Header=BB6_10858 Depth=3
	s_delay_alu instid0(VALU_DEP_1) | instskip(NEXT) | instid1(VALU_DEP_1)
	v_and_b32_e32 v14, 0x7f800000, v93
	v_cmp_ne_u32_e32 vcc_lo, 0x7f800000, v14
	v_mov_b32_e32 v14, 0x80
	s_and_saveexec_b32 s17, vcc_lo
	s_cbranch_execz .LBB6_12627
; %bb.12620:                            ;   in Loop: Header=BB6_10858 Depth=3
	v_mov_b32_e32 v14, 0
	s_mov_b32 s31, exec_lo
	v_cmpx_ne_u32_e32 0, v93
	s_cbranch_execz .LBB6_12626
; %bb.12621:                            ;   in Loop: Header=BB6_10858 Depth=3
	v_bfe_u32 v14, v93, 23, 8
	s_delay_alu instid0(VALU_DEP_1) | instskip(SKIP_1) | instid1(VALU_DEP_2)
	v_sub_nc_u32_e32 v95, 0x78, v14
	v_cmp_gt_u32_e32 vcc_lo, 0x79, v14
	v_dual_cndmask_b32 v95, 0, v95 :: v_dual_and_b32 v94, 0x7fffff, v93
	s_delay_alu instid0(VALU_DEP_1) | instskip(SKIP_2) | instid1(VALU_DEP_4)
	v_or_b32_e32 v104, 0x800000, v94
	v_cmp_eq_u32_e32 vcc_lo, 0, v14
	v_add_nc_u32_e32 v14, 0xffffff89, v14
	v_cndmask_b32_e64 v95, v95, 0x77, vcc_lo
	s_delay_alu instid0(VALU_DEP_4) | instskip(NEXT) | instid1(VALU_DEP_3)
	v_cndmask_b32_e32 v94, v104, v94, vcc_lo
	v_cndmask_b32_e64 v14, v14, 0xffffff8a, vcc_lo
	s_delay_alu instid0(VALU_DEP_3) | instskip(NEXT) | instid1(VALU_DEP_3)
	v_lshl_add_u32 v104, 0x100000, v95, -1
	v_lshrrev_b32_e32 v105, v95, v94
	v_lshlrev_b32_e64 v107, v95, 0x80000
	s_delay_alu instid0(VALU_DEP_4) | instskip(NEXT) | instid1(VALU_DEP_4)
	v_add_nc_u32_e32 v95, v95, v14
	v_and_b32_e32 v94, v104, v94
	s_delay_alu instid0(VALU_DEP_4) | instskip(NEXT) | instid1(VALU_DEP_2)
	v_bfe_u32 v106, v105, 20, 1
	v_cmp_eq_u32_e64 s13, v94, v107
	s_delay_alu instid0(VALU_DEP_2) | instskip(NEXT) | instid1(VALU_DEP_1)
	v_add_nc_u32_e32 v104, -1, v106
	v_cndmask_b32_e64 v94, 0, v104, s13
	v_lshrrev_b32_e32 v104, 23, v105
	s_mov_b32 s13, exec_lo
	s_delay_alu instid0(VALU_DEP_2) | instskip(NEXT) | instid1(VALU_DEP_2)
	v_add_nc_u32_e32 v94, v94, v105
	v_xor_b32_e32 v104, 1, v104
	s_delay_alu instid0(VALU_DEP_2) | instskip(NEXT) | instid1(VALU_DEP_1)
	v_and_b32_e32 v14, 0xfffff, v94
	v_add_nc_u32_e32 v94, v14, v105
                                        ; implicit-def: $vgpr14
	s_delay_alu instid0(VALU_DEP_3)
	v_cmpx_ne_u32_e64 v95, v104
	s_xor_b32 s13, exec_lo, s13
; %bb.12622:                            ;   in Loop: Header=BB6_10858 Depth=3
	s_delay_alu instid0(VALU_DEP_2) | instskip(SKIP_2) | instid1(VALU_DEP_2)
	v_cmp_lt_u32_e32 vcc_lo, 0xffffff, v94
	v_sub_nc_u32_e32 v14, v95, v104
	v_cndmask_b32_e64 v95, 0, 1, vcc_lo
	v_add_co_ci_u32_e32 v14, vcc_lo, 0, v14, vcc_lo
	s_delay_alu instid0(VALU_DEP_2)
	v_lshrrev_b32_e32 v94, v95, v94
; %bb.12623:                            ;   in Loop: Header=BB6_10858 Depth=3
	s_and_not1_saveexec_b32 s13, s13
; %bb.12624:                            ;   in Loop: Header=BB6_10858 Depth=3
	s_delay_alu instid0(VALU_DEP_1)
	v_bfe_u32 v14, v94, 23, 1
; %bb.12625:                            ;   in Loop: Header=BB6_10858 Depth=3
	s_or_b32 exec_lo, exec_lo, s13
	v_lshrrev_b32_e32 v94, 20, v94
	s_delay_alu instid0(VALU_DEP_2) | instskip(SKIP_2) | instid1(VALU_DEP_2)
	v_cmp_gt_i32_e32 vcc_lo, 16, v14
	v_lshrrev_b32_e32 v93, 24, v93
	v_min_i32_e32 v95, 15, v14
	v_dual_cndmask_b32 v94, 7, v94 :: v_dual_and_b32 v93, 0x80, v93
	s_delay_alu instid0(VALU_DEP_1) | instskip(SKIP_1) | instid1(VALU_DEP_2)
	v_or_b32_e32 v14, v14, v94
	v_and_b32_e32 v104, 7, v94
	v_cmp_ne_u32_e32 vcc_lo, 0, v14
	v_lshlrev_b32_e32 v95, 3, v95
	s_delay_alu instid0(VALU_DEP_1) | instskip(NEXT) | instid1(VALU_DEP_1)
	v_or3_b32 v93, v95, v93, v104
	v_cndmask_b32_e32 v14, 0, v93, vcc_lo
.LBB6_12626:                            ;   in Loop: Header=BB6_10858 Depth=3
	s_or_b32 exec_lo, exec_lo, s31
.LBB6_12627:                            ;   in Loop: Header=BB6_10858 Depth=3
	s_delay_alu instid0(SALU_CYCLE_1)
	s_or_b32 exec_lo, exec_lo, s17
	v_lshrrev_b16 v94, 8, v15
	v_lshrrev_b16 v93, 8, v11
	s_and_not1_b32 vcc_lo, exec_lo, s16
	s_cbranch_vccnz .LBB6_12637
; %bb.12628:                            ;   in Loop: Header=BB6_10858 Depth=3
	s_mov_b32 s13, 0
	s_mov_b32 s31, exec_lo
                                        ; implicit-def: $sgpr17
	v_cmpx_lt_i16_e32 0x7f, v94
	s_xor_b32 s31, exec_lo, s31
	s_cbranch_execnz .LBB6_13688
; %bb.12629:                            ;   in Loop: Header=BB6_10858 Depth=3
	s_or_saveexec_b32 s31, s31
	v_mov_b32_e32 v95, s17
	s_xor_b32 exec_lo, exec_lo, s31
	s_cbranch_execnz .LBB6_13691
.LBB6_12630:                            ;   in Loop: Header=BB6_10858 Depth=3
	s_or_b32 exec_lo, exec_lo, s31
	s_and_saveexec_b32 s17, s13
	s_cbranch_execz .LBB6_12632
.LBB6_12631:                            ;   in Loop: Header=BB6_10858 Depth=3
	v_and_b32_e32 v95, 0xffff, v94
	s_delay_alu instid0(VALU_DEP_1) | instskip(NEXT) | instid1(VALU_DEP_1)
	v_and_b32_e32 v104, 7, v95
	v_clz_i32_u32_e32 v105, v104
	s_delay_alu instid0(VALU_DEP_1) | instskip(NEXT) | instid1(VALU_DEP_1)
	v_min_u32_e32 v105, 32, v105
	v_subrev_nc_u32_e32 v106, 28, v105
	v_sub_nc_u32_e32 v105, 29, v105
	s_delay_alu instid0(VALU_DEP_2) | instskip(SKIP_1) | instid1(VALU_DEP_2)
	v_lshlrev_b32_e32 v106, v106, v95
	v_bfe_u32 v95, v95, 3, 4
	v_and_b32_e32 v106, 7, v106
	s_delay_alu instid0(VALU_DEP_2) | instskip(SKIP_1) | instid1(VALU_DEP_3)
	v_cmp_eq_u32_e32 vcc_lo, 0, v95
	v_cndmask_b32_e32 v95, v95, v105, vcc_lo
	v_dual_cndmask_b32 v104, v104, v106 :: v_dual_lshlrev_b32 v107, 16, v15
	s_delay_alu instid0(VALU_DEP_2) | instskip(NEXT) | instid1(VALU_DEP_2)
	v_lshl_add_u32 v95, v95, 23, 0x3b800000
	v_and_b32_e32 v105, 0x80000000, v107
	s_delay_alu instid0(VALU_DEP_3) | instskip(NEXT) | instid1(VALU_DEP_1)
	v_lshlrev_b32_e32 v104, 20, v104
	v_or3_b32 v95, v105, v95, v104
.LBB6_12632:                            ;   in Loop: Header=BB6_10858 Depth=3
	s_or_b32 exec_lo, exec_lo, s17
	s_mov_b32 s13, 0
	s_mov_b32 s31, exec_lo
                                        ; implicit-def: $sgpr17
	v_cmpx_lt_i16_e32 0x7f, v93
	s_xor_b32 s31, exec_lo, s31
	s_cbranch_execnz .LBB6_13692
; %bb.12633:                            ;   in Loop: Header=BB6_10858 Depth=3
	s_or_saveexec_b32 s31, s31
	v_mov_b32_e32 v104, s17
	s_xor_b32 exec_lo, exec_lo, s31
	s_cbranch_execnz .LBB6_13695
.LBB6_12634:                            ;   in Loop: Header=BB6_10858 Depth=3
	s_or_b32 exec_lo, exec_lo, s31
	s_and_saveexec_b32 s17, s13
	s_cbranch_execz .LBB6_12636
.LBB6_12635:                            ;   in Loop: Header=BB6_10858 Depth=3
	v_and_b32_e32 v104, 0xffff, v93
	v_lshlrev_b32_e32 v108, 16, v11
	s_delay_alu instid0(VALU_DEP_2) | instskip(NEXT) | instid1(VALU_DEP_1)
	v_and_b32_e32 v105, 7, v104
	v_clz_i32_u32_e32 v106, v105
	s_delay_alu instid0(VALU_DEP_1) | instskip(NEXT) | instid1(VALU_DEP_1)
	v_min_u32_e32 v106, 32, v106
	v_subrev_nc_u32_e32 v107, 28, v106
	v_sub_nc_u32_e32 v106, 29, v106
	s_delay_alu instid0(VALU_DEP_2) | instskip(SKIP_1) | instid1(VALU_DEP_2)
	v_lshlrev_b32_e32 v107, v107, v104
	v_bfe_u32 v104, v104, 3, 4
	v_and_b32_e32 v107, 7, v107
	s_delay_alu instid0(VALU_DEP_2) | instskip(NEXT) | instid1(VALU_DEP_2)
	v_cmp_eq_u32_e32 vcc_lo, 0, v104
	v_dual_cndmask_b32 v104, v104, v106 :: v_dual_cndmask_b32 v105, v105, v107
	v_and_b32_e32 v106, 0x80000000, v108
	s_delay_alu instid0(VALU_DEP_2) | instskip(NEXT) | instid1(VALU_DEP_3)
	v_lshl_add_u32 v104, v104, 23, 0x3b800000
	v_lshlrev_b32_e32 v105, 20, v105
	s_delay_alu instid0(VALU_DEP_1)
	v_or3_b32 v104, v106, v104, v105
.LBB6_12636:                            ;   in Loop: Header=BB6_10858 Depth=3
	s_or_b32 exec_lo, exec_lo, s17
	s_delay_alu instid0(VALU_DEP_1) | instskip(SKIP_1) | instid1(VALU_DEP_1)
	v_dual_max_f32 v104, v104, v104 :: v_dual_max_f32 v95, v95, v95
	s_mov_b32 s13, 0
	v_max_f32_e32 v95, v95, v104
	s_branch .LBB6_12638
.LBB6_12637:                            ;   in Loop: Header=BB6_10858 Depth=3
	s_mov_b32 s13, -1
                                        ; implicit-def: $vgpr95
.LBB6_12638:                            ;   in Loop: Header=BB6_10858 Depth=3
	s_delay_alu instid0(SALU_CYCLE_1)
	s_and_b32 vcc_lo, exec_lo, s13
	s_cbranch_vccz .LBB6_12648
; %bb.12639:                            ;   in Loop: Header=BB6_10858 Depth=3
	s_mov_b32 s13, 0
	s_mov_b32 s31, exec_lo
                                        ; implicit-def: $sgpr17
	v_cmpx_lt_i16_e32 0x7f, v94
	s_xor_b32 s31, exec_lo, s31
	s_cbranch_execnz .LBB6_13696
; %bb.12640:                            ;   in Loop: Header=BB6_10858 Depth=3
	s_or_saveexec_b32 s31, s31
	v_mov_b32_e32 v95, s17
	s_xor_b32 exec_lo, exec_lo, s31
	s_cbranch_execnz .LBB6_13699
.LBB6_12641:                            ;   in Loop: Header=BB6_10858 Depth=3
	s_or_b32 exec_lo, exec_lo, s31
	s_and_saveexec_b32 s17, s13
	s_cbranch_execz .LBB6_12643
.LBB6_12642:                            ;   in Loop: Header=BB6_10858 Depth=3
	v_and_b32_e32 v94, 0xffff, v94
	v_lshlrev_b32_e32 v106, 16, v15
	s_delay_alu instid0(VALU_DEP_2) | instskip(NEXT) | instid1(VALU_DEP_1)
	v_and_b32_e32 v95, 7, v94
	v_clz_i32_u32_e32 v104, v95
	s_delay_alu instid0(VALU_DEP_1) | instskip(NEXT) | instid1(VALU_DEP_1)
	v_min_u32_e32 v104, 32, v104
	v_subrev_nc_u32_e32 v105, 28, v104
	v_sub_nc_u32_e32 v104, 29, v104
	s_delay_alu instid0(VALU_DEP_2) | instskip(SKIP_1) | instid1(VALU_DEP_2)
	v_lshlrev_b32_e32 v105, v105, v94
	v_bfe_u32 v94, v94, 3, 4
	v_and_b32_e32 v105, 7, v105
	s_delay_alu instid0(VALU_DEP_2) | instskip(NEXT) | instid1(VALU_DEP_2)
	v_cmp_eq_u32_e32 vcc_lo, 0, v94
	v_dual_cndmask_b32 v94, v94, v104 :: v_dual_cndmask_b32 v95, v95, v105
	v_and_b32_e32 v104, 0x80000000, v106
	s_delay_alu instid0(VALU_DEP_2) | instskip(NEXT) | instid1(VALU_DEP_3)
	v_lshl_add_u32 v94, v94, 23, 0x3b800000
	v_lshlrev_b32_e32 v95, 20, v95
	s_delay_alu instid0(VALU_DEP_1)
	v_or3_b32 v95, v104, v94, v95
.LBB6_12643:                            ;   in Loop: Header=BB6_10858 Depth=3
	s_or_b32 exec_lo, exec_lo, s17
	s_mov_b32 s13, 0
	s_mov_b32 s31, exec_lo
                                        ; implicit-def: $sgpr17
	v_cmpx_lt_i16_e32 0x7f, v93
	s_xor_b32 s31, exec_lo, s31
	s_cbranch_execnz .LBB6_13700
; %bb.12644:                            ;   in Loop: Header=BB6_10858 Depth=3
	s_or_saveexec_b32 s31, s31
	v_mov_b32_e32 v94, s17
	s_xor_b32 exec_lo, exec_lo, s31
	s_cbranch_execnz .LBB6_13703
.LBB6_12645:                            ;   in Loop: Header=BB6_10858 Depth=3
	s_or_b32 exec_lo, exec_lo, s31
	s_and_saveexec_b32 s17, s13
	s_cbranch_execz .LBB6_12647
.LBB6_12646:                            ;   in Loop: Header=BB6_10858 Depth=3
	v_and_b32_e32 v93, 0xffff, v93
	v_lshlrev_b32_e32 v106, 16, v11
	s_delay_alu instid0(VALU_DEP_2) | instskip(NEXT) | instid1(VALU_DEP_1)
	v_and_b32_e32 v94, 7, v93
	v_clz_i32_u32_e32 v104, v94
	s_delay_alu instid0(VALU_DEP_1) | instskip(NEXT) | instid1(VALU_DEP_1)
	v_min_u32_e32 v104, 32, v104
	v_subrev_nc_u32_e32 v105, 28, v104
	v_sub_nc_u32_e32 v104, 29, v104
	s_delay_alu instid0(VALU_DEP_2) | instskip(SKIP_1) | instid1(VALU_DEP_2)
	v_lshlrev_b32_e32 v105, v105, v93
	v_bfe_u32 v93, v93, 3, 4
	v_and_b32_e32 v105, 7, v105
	s_delay_alu instid0(VALU_DEP_2) | instskip(NEXT) | instid1(VALU_DEP_2)
	v_cmp_eq_u32_e32 vcc_lo, 0, v93
	v_dual_cndmask_b32 v93, v93, v104 :: v_dual_cndmask_b32 v94, v94, v105
	v_and_b32_e32 v104, 0x80000000, v106
	s_delay_alu instid0(VALU_DEP_2) | instskip(NEXT) | instid1(VALU_DEP_3)
	v_lshl_add_u32 v93, v93, 23, 0x3b800000
	v_lshlrev_b32_e32 v94, 20, v94
	s_delay_alu instid0(VALU_DEP_1)
	v_or3_b32 v94, v104, v93, v94
.LBB6_12647:                            ;   in Loop: Header=BB6_10858 Depth=3
	s_or_b32 exec_lo, exec_lo, s17
	s_delay_alu instid0(VALU_DEP_1) | instskip(NEXT) | instid1(VALU_DEP_1)
	v_dual_max_f32 v93, v94, v94 :: v_dual_max_f32 v94, v95, v95
	v_min_f32_e32 v95, v94, v93
.LBB6_12648:                            ;   in Loop: Header=BB6_10858 Depth=3
	s_delay_alu instid0(VALU_DEP_1) | instskip(NEXT) | instid1(VALU_DEP_1)
	v_and_b32_e32 v93, 0x7f800000, v95
	v_cmp_ne_u32_e32 vcc_lo, 0x7f800000, v93
	v_mov_b32_e32 v93, 0x80
	s_and_saveexec_b32 s17, vcc_lo
	s_cbranch_execz .LBB6_12656
; %bb.12649:                            ;   in Loop: Header=BB6_10858 Depth=3
	v_mov_b32_e32 v93, 0
	s_mov_b32 s31, exec_lo
	v_cmpx_ne_u32_e32 0, v95
	s_cbranch_execz .LBB6_12655
; %bb.12650:                            ;   in Loop: Header=BB6_10858 Depth=3
	v_bfe_u32 v93, v95, 23, 8
	v_and_b32_e32 v94, 0x7fffff, v95
	s_delay_alu instid0(VALU_DEP_2) | instskip(SKIP_1) | instid1(VALU_DEP_3)
	v_sub_nc_u32_e32 v104, 0x78, v93
	v_cmp_gt_u32_e32 vcc_lo, 0x79, v93
	v_or_b32_e32 v105, 0x800000, v94
	s_delay_alu instid0(VALU_DEP_3) | instskip(SKIP_2) | instid1(VALU_DEP_3)
	v_cndmask_b32_e32 v104, 0, v104, vcc_lo
	v_cmp_eq_u32_e32 vcc_lo, 0, v93
	v_add_nc_u32_e32 v93, 0xffffff89, v93
	v_cndmask_b32_e64 v104, v104, 0x77, vcc_lo
	v_cndmask_b32_e32 v94, v105, v94, vcc_lo
	s_delay_alu instid0(VALU_DEP_3) | instskip(NEXT) | instid1(VALU_DEP_3)
	v_cndmask_b32_e64 v93, v93, 0xffffff8a, vcc_lo
	v_lshl_add_u32 v105, 0x100000, v104, -1
	s_delay_alu instid0(VALU_DEP_3) | instskip(SKIP_1) | instid1(VALU_DEP_4)
	v_lshrrev_b32_e32 v106, v104, v94
	v_lshlrev_b32_e64 v108, v104, 0x80000
	v_add_nc_u32_e32 v104, v104, v93
	s_delay_alu instid0(VALU_DEP_4) | instskip(NEXT) | instid1(VALU_DEP_4)
	v_and_b32_e32 v94, v105, v94
	v_bfe_u32 v107, v106, 20, 1
	s_delay_alu instid0(VALU_DEP_2) | instskip(NEXT) | instid1(VALU_DEP_2)
	v_cmp_eq_u32_e64 s13, v94, v108
	v_add_nc_u32_e32 v105, -1, v107
	s_delay_alu instid0(VALU_DEP_1) | instskip(SKIP_2) | instid1(VALU_DEP_2)
	v_cndmask_b32_e64 v94, 0, v105, s13
	v_lshrrev_b32_e32 v105, 23, v106
	s_mov_b32 s13, exec_lo
	v_add_nc_u32_e32 v94, v94, v106
	s_delay_alu instid0(VALU_DEP_2) | instskip(NEXT) | instid1(VALU_DEP_2)
	v_xor_b32_e32 v105, 1, v105
	v_and_b32_e32 v93, 0xfffff, v94
	s_delay_alu instid0(VALU_DEP_1) | instskip(NEXT) | instid1(VALU_DEP_3)
	v_add_nc_u32_e32 v94, v93, v106
                                        ; implicit-def: $vgpr93
	v_cmpx_ne_u32_e64 v104, v105
	s_xor_b32 s13, exec_lo, s13
; %bb.12651:                            ;   in Loop: Header=BB6_10858 Depth=3
	s_delay_alu instid0(VALU_DEP_2) | instskip(SKIP_2) | instid1(VALU_DEP_2)
	v_cmp_lt_u32_e32 vcc_lo, 0xffffff, v94
	v_sub_nc_u32_e32 v93, v104, v105
	v_cndmask_b32_e64 v104, 0, 1, vcc_lo
	v_add_co_ci_u32_e32 v93, vcc_lo, 0, v93, vcc_lo
	s_delay_alu instid0(VALU_DEP_2)
	v_lshrrev_b32_e32 v94, v104, v94
; %bb.12652:                            ;   in Loop: Header=BB6_10858 Depth=3
	s_and_not1_saveexec_b32 s13, s13
; %bb.12653:                            ;   in Loop: Header=BB6_10858 Depth=3
	s_delay_alu instid0(VALU_DEP_1)
	v_bfe_u32 v93, v94, 23, 1
; %bb.12654:                            ;   in Loop: Header=BB6_10858 Depth=3
	s_or_b32 exec_lo, exec_lo, s13
	v_lshrrev_b32_e32 v94, 20, v94
	s_delay_alu instid0(VALU_DEP_2) | instskip(SKIP_2) | instid1(VALU_DEP_2)
	v_cmp_gt_i32_e32 vcc_lo, 16, v93
	v_lshrrev_b32_e32 v95, 24, v95
	v_min_i32_e32 v104, 15, v93
	v_dual_cndmask_b32 v94, 7, v94 :: v_dual_and_b32 v95, 0x80, v95
	s_delay_alu instid0(VALU_DEP_1) | instskip(SKIP_1) | instid1(VALU_DEP_2)
	v_or_b32_e32 v93, v93, v94
	v_and_b32_e32 v105, 7, v94
	v_cmp_ne_u32_e32 vcc_lo, 0, v93
	v_lshlrev_b32_e32 v104, 3, v104
	s_delay_alu instid0(VALU_DEP_1) | instskip(NEXT) | instid1(VALU_DEP_1)
	v_or3_b32 v94, v104, v95, v105
	v_cndmask_b32_e32 v93, 0, v94, vcc_lo
.LBB6_12655:                            ;   in Loop: Header=BB6_10858 Depth=3
	s_or_b32 exec_lo, exec_lo, s31
.LBB6_12656:                            ;   in Loop: Header=BB6_10858 Depth=3
	s_delay_alu instid0(SALU_CYCLE_1)
	s_or_b32 exec_lo, exec_lo, s17
	v_lshrrev_b32_e32 v95, 16, v15
	v_lshrrev_b32_e32 v94, 16, v11
	s_and_not1_b32 vcc_lo, exec_lo, s16
	s_cbranch_vccnz .LBB6_12666
; %bb.12657:                            ;   in Loop: Header=BB6_10858 Depth=3
	s_delay_alu instid0(VALU_DEP_2) | instskip(SKIP_2) | instid1(VALU_DEP_1)
	v_and_b32_e32 v105, 0xff, v95
	s_mov_b32 s13, 0
	s_mov_b32 s31, exec_lo
                                        ; implicit-def: $sgpr17
	v_cmpx_lt_i16_e32 0x7f, v105
	s_xor_b32 s31, exec_lo, s31
	s_cbranch_execnz .LBB6_13704
; %bb.12658:                            ;   in Loop: Header=BB6_10858 Depth=3
	s_or_saveexec_b32 s31, s31
	v_mov_b32_e32 v104, s17
	s_xor_b32 exec_lo, exec_lo, s31
	s_cbranch_execnz .LBB6_13707
.LBB6_12659:                            ;   in Loop: Header=BB6_10858 Depth=3
	s_or_b32 exec_lo, exec_lo, s31
	s_and_saveexec_b32 s17, s13
	s_cbranch_execz .LBB6_12661
.LBB6_12660:                            ;   in Loop: Header=BB6_10858 Depth=3
	v_bfe_u32 v104, v15, 16, 3
	v_bfe_u32 v107, v15, 19, 4
	v_lshlrev_b32_e32 v108, 24, v95
	s_delay_alu instid0(VALU_DEP_3) | instskip(NEXT) | instid1(VALU_DEP_3)
	v_clz_i32_u32_e32 v105, v104
	v_cmp_eq_u32_e32 vcc_lo, 0, v107
	s_delay_alu instid0(VALU_DEP_2) | instskip(NEXT) | instid1(VALU_DEP_1)
	v_min_u32_e32 v105, 32, v105
	v_subrev_nc_u32_e32 v106, 28, v105
	v_sub_nc_u32_e32 v105, 29, v105
	s_delay_alu instid0(VALU_DEP_1) | instskip(NEXT) | instid1(VALU_DEP_1)
	v_dual_cndmask_b32 v105, v107, v105 :: v_dual_lshlrev_b32 v106, v106, v95
	v_and_b32_e32 v106, 7, v106
	s_delay_alu instid0(VALU_DEP_2) | instskip(NEXT) | instid1(VALU_DEP_2)
	v_lshl_add_u32 v105, v105, 23, 0x3b800000
	v_cndmask_b32_e32 v104, v104, v106, vcc_lo
	v_and_b32_e32 v106, 0x80000000, v108
	s_delay_alu instid0(VALU_DEP_2) | instskip(NEXT) | instid1(VALU_DEP_1)
	v_lshlrev_b32_e32 v104, 20, v104
	v_or3_b32 v104, v106, v105, v104
.LBB6_12661:                            ;   in Loop: Header=BB6_10858 Depth=3
	s_or_b32 exec_lo, exec_lo, s17
	v_and_b32_e32 v106, 0xff, v94
	s_mov_b32 s13, 0
	s_mov_b32 s31, exec_lo
                                        ; implicit-def: $sgpr17
	s_delay_alu instid0(VALU_DEP_1)
	v_cmpx_lt_i16_e32 0x7f, v106
	s_xor_b32 s31, exec_lo, s31
	s_cbranch_execnz .LBB6_13708
; %bb.12662:                            ;   in Loop: Header=BB6_10858 Depth=3
	s_or_saveexec_b32 s31, s31
	v_mov_b32_e32 v105, s17
	s_xor_b32 exec_lo, exec_lo, s31
	s_cbranch_execnz .LBB6_13711
.LBB6_12663:                            ;   in Loop: Header=BB6_10858 Depth=3
	s_or_b32 exec_lo, exec_lo, s31
	s_and_saveexec_b32 s17, s13
	s_cbranch_execz .LBB6_12665
.LBB6_12664:                            ;   in Loop: Header=BB6_10858 Depth=3
	v_bfe_u32 v105, v11, 16, 3
	v_bfe_u32 v108, v11, 19, 4
	v_lshlrev_b32_e32 v109, 24, v94
	s_delay_alu instid0(VALU_DEP_3) | instskip(NEXT) | instid1(VALU_DEP_3)
	v_clz_i32_u32_e32 v106, v105
	v_cmp_eq_u32_e32 vcc_lo, 0, v108
	s_delay_alu instid0(VALU_DEP_2) | instskip(NEXT) | instid1(VALU_DEP_1)
	v_min_u32_e32 v106, 32, v106
	v_subrev_nc_u32_e32 v107, 28, v106
	v_sub_nc_u32_e32 v106, 29, v106
	s_delay_alu instid0(VALU_DEP_2) | instskip(NEXT) | instid1(VALU_DEP_1)
	v_lshlrev_b32_e32 v107, v107, v94
	v_dual_cndmask_b32 v106, v108, v106 :: v_dual_and_b32 v107, 7, v107
	s_delay_alu instid0(VALU_DEP_1) | instskip(NEXT) | instid1(VALU_DEP_2)
	v_lshl_add_u32 v106, v106, 23, 0x3b800000
	v_cndmask_b32_e32 v105, v105, v107, vcc_lo
	v_and_b32_e32 v107, 0x80000000, v109
	s_delay_alu instid0(VALU_DEP_2) | instskip(NEXT) | instid1(VALU_DEP_1)
	v_lshlrev_b32_e32 v105, 20, v105
	v_or3_b32 v105, v107, v106, v105
.LBB6_12665:                            ;   in Loop: Header=BB6_10858 Depth=3
	s_or_b32 exec_lo, exec_lo, s17
	s_delay_alu instid0(VALU_DEP_1) | instskip(SKIP_1) | instid1(VALU_DEP_1)
	v_dual_max_f32 v105, v105, v105 :: v_dual_max_f32 v104, v104, v104
	s_mov_b32 s13, 0
	v_max_f32_e32 v104, v104, v105
	s_branch .LBB6_12667
.LBB6_12666:                            ;   in Loop: Header=BB6_10858 Depth=3
	s_mov_b32 s13, -1
                                        ; implicit-def: $vgpr104
.LBB6_12667:                            ;   in Loop: Header=BB6_10858 Depth=3
	s_delay_alu instid0(SALU_CYCLE_1)
	s_and_b32 vcc_lo, exec_lo, s13
	s_cbranch_vccz .LBB6_12677
; %bb.12668:                            ;   in Loop: Header=BB6_10858 Depth=3
	v_and_b32_e32 v105, 0xff, v95
	s_mov_b32 s13, 0
	s_mov_b32 s31, exec_lo
                                        ; implicit-def: $sgpr17
	s_delay_alu instid0(VALU_DEP_1)
	v_cmpx_lt_i16_e32 0x7f, v105
	s_xor_b32 s31, exec_lo, s31
	s_cbranch_execnz .LBB6_13712
; %bb.12669:                            ;   in Loop: Header=BB6_10858 Depth=3
	s_or_saveexec_b32 s31, s31
	v_mov_b32_e32 v104, s17
	s_xor_b32 exec_lo, exec_lo, s31
	s_cbranch_execnz .LBB6_13715
.LBB6_12670:                            ;   in Loop: Header=BB6_10858 Depth=3
	s_or_b32 exec_lo, exec_lo, s31
	s_and_saveexec_b32 s17, s13
	s_cbranch_execz .LBB6_12672
.LBB6_12671:                            ;   in Loop: Header=BB6_10858 Depth=3
	v_bfe_u32 v104, v15, 16, 3
	v_bfe_u32 v107, v15, 19, 4
	s_delay_alu instid0(VALU_DEP_2) | instskip(NEXT) | instid1(VALU_DEP_2)
	v_clz_i32_u32_e32 v105, v104
	v_cmp_eq_u32_e32 vcc_lo, 0, v107
	s_delay_alu instid0(VALU_DEP_2) | instskip(NEXT) | instid1(VALU_DEP_1)
	v_min_u32_e32 v105, 32, v105
	v_subrev_nc_u32_e32 v106, 28, v105
	v_sub_nc_u32_e32 v105, 29, v105
	s_delay_alu instid0(VALU_DEP_1) | instskip(NEXT) | instid1(VALU_DEP_1)
	v_dual_cndmask_b32 v105, v107, v105 :: v_dual_lshlrev_b32 v106, v106, v95
	v_and_b32_e32 v106, 7, v106
	v_lshlrev_b32_e32 v95, 24, v95
	s_delay_alu instid0(VALU_DEP_3) | instskip(NEXT) | instid1(VALU_DEP_2)
	v_lshl_add_u32 v105, v105, 23, 0x3b800000
	v_dual_cndmask_b32 v104, v104, v106 :: v_dual_and_b32 v95, 0x80000000, v95
	s_delay_alu instid0(VALU_DEP_1) | instskip(NEXT) | instid1(VALU_DEP_1)
	v_lshlrev_b32_e32 v104, 20, v104
	v_or3_b32 v104, v95, v105, v104
.LBB6_12672:                            ;   in Loop: Header=BB6_10858 Depth=3
	s_or_b32 exec_lo, exec_lo, s17
	v_and_b32_e32 v105, 0xff, v94
	s_mov_b32 s13, 0
	s_mov_b32 s31, exec_lo
                                        ; implicit-def: $sgpr17
	s_delay_alu instid0(VALU_DEP_1)
	v_cmpx_lt_i16_e32 0x7f, v105
	s_xor_b32 s31, exec_lo, s31
	s_cbranch_execnz .LBB6_13716
; %bb.12673:                            ;   in Loop: Header=BB6_10858 Depth=3
	s_or_saveexec_b32 s31, s31
	v_mov_b32_e32 v95, s17
	s_xor_b32 exec_lo, exec_lo, s31
	s_cbranch_execnz .LBB6_13719
.LBB6_12674:                            ;   in Loop: Header=BB6_10858 Depth=3
	s_or_b32 exec_lo, exec_lo, s31
	s_and_saveexec_b32 s17, s13
	s_cbranch_execz .LBB6_12676
.LBB6_12675:                            ;   in Loop: Header=BB6_10858 Depth=3
	v_bfe_u32 v95, v11, 16, 3
	v_bfe_u32 v107, v11, 19, 4
	s_delay_alu instid0(VALU_DEP_2) | instskip(NEXT) | instid1(VALU_DEP_2)
	v_clz_i32_u32_e32 v105, v95
	v_cmp_eq_u32_e32 vcc_lo, 0, v107
	s_delay_alu instid0(VALU_DEP_2) | instskip(NEXT) | instid1(VALU_DEP_1)
	v_min_u32_e32 v105, 32, v105
	v_subrev_nc_u32_e32 v106, 28, v105
	v_sub_nc_u32_e32 v105, 29, v105
	s_delay_alu instid0(VALU_DEP_1) | instskip(SKIP_1) | instid1(VALU_DEP_2)
	v_dual_cndmask_b32 v105, v107, v105 :: v_dual_lshlrev_b32 v106, v106, v94
	v_lshlrev_b32_e32 v94, 24, v94
	v_and_b32_e32 v106, 7, v106
	s_delay_alu instid0(VALU_DEP_3) | instskip(NEXT) | instid1(VALU_DEP_3)
	v_lshl_add_u32 v105, v105, 23, 0x3b800000
	v_and_b32_e32 v94, 0x80000000, v94
	s_delay_alu instid0(VALU_DEP_3) | instskip(NEXT) | instid1(VALU_DEP_1)
	v_cndmask_b32_e32 v95, v95, v106, vcc_lo
	v_lshlrev_b32_e32 v95, 20, v95
	s_delay_alu instid0(VALU_DEP_1)
	v_or3_b32 v95, v94, v105, v95
.LBB6_12676:                            ;   in Loop: Header=BB6_10858 Depth=3
	s_or_b32 exec_lo, exec_lo, s17
	s_delay_alu instid0(VALU_DEP_1) | instskip(NEXT) | instid1(VALU_DEP_1)
	v_dual_max_f32 v94, v95, v95 :: v_dual_max_f32 v95, v104, v104
	v_min_f32_e32 v104, v95, v94
.LBB6_12677:                            ;   in Loop: Header=BB6_10858 Depth=3
	s_delay_alu instid0(VALU_DEP_1) | instskip(NEXT) | instid1(VALU_DEP_1)
	v_and_b32_e32 v94, 0x7f800000, v104
	v_cmp_ne_u32_e32 vcc_lo, 0x7f800000, v94
	v_mov_b32_e32 v94, 0x80
	s_and_saveexec_b32 s17, vcc_lo
	s_cbranch_execz .LBB6_12685
; %bb.12678:                            ;   in Loop: Header=BB6_10858 Depth=3
	v_mov_b32_e32 v94, 0
	s_mov_b32 s31, exec_lo
	v_cmpx_ne_u32_e32 0, v104
	s_cbranch_execz .LBB6_12684
; %bb.12679:                            ;   in Loop: Header=BB6_10858 Depth=3
	v_bfe_u32 v94, v104, 23, 8
	v_and_b32_e32 v95, 0x7fffff, v104
	s_delay_alu instid0(VALU_DEP_2) | instskip(SKIP_1) | instid1(VALU_DEP_3)
	v_sub_nc_u32_e32 v105, 0x78, v94
	v_cmp_gt_u32_e32 vcc_lo, 0x79, v94
	v_or_b32_e32 v106, 0x800000, v95
	s_delay_alu instid0(VALU_DEP_3) | instskip(SKIP_2) | instid1(VALU_DEP_3)
	v_cndmask_b32_e32 v105, 0, v105, vcc_lo
	v_cmp_eq_u32_e32 vcc_lo, 0, v94
	v_add_nc_u32_e32 v94, 0xffffff89, v94
	v_cndmask_b32_e64 v105, v105, 0x77, vcc_lo
	v_cndmask_b32_e32 v95, v106, v95, vcc_lo
	s_delay_alu instid0(VALU_DEP_3) | instskip(NEXT) | instid1(VALU_DEP_3)
	v_cndmask_b32_e64 v94, v94, 0xffffff8a, vcc_lo
	v_lshl_add_u32 v106, 0x100000, v105, -1
	s_delay_alu instid0(VALU_DEP_3) | instskip(SKIP_1) | instid1(VALU_DEP_4)
	v_lshrrev_b32_e32 v107, v105, v95
	v_lshlrev_b32_e64 v109, v105, 0x80000
	v_add_nc_u32_e32 v105, v105, v94
	s_delay_alu instid0(VALU_DEP_4) | instskip(NEXT) | instid1(VALU_DEP_4)
	v_and_b32_e32 v95, v106, v95
	v_bfe_u32 v108, v107, 20, 1
	s_delay_alu instid0(VALU_DEP_2) | instskip(NEXT) | instid1(VALU_DEP_2)
	v_cmp_eq_u32_e64 s13, v95, v109
	v_add_nc_u32_e32 v106, -1, v108
	s_delay_alu instid0(VALU_DEP_1) | instskip(SKIP_2) | instid1(VALU_DEP_2)
	v_cndmask_b32_e64 v95, 0, v106, s13
	v_lshrrev_b32_e32 v106, 23, v107
	s_mov_b32 s13, exec_lo
	v_add_nc_u32_e32 v95, v95, v107
	s_delay_alu instid0(VALU_DEP_2) | instskip(NEXT) | instid1(VALU_DEP_2)
	v_xor_b32_e32 v106, 1, v106
	v_and_b32_e32 v94, 0xfffff, v95
	s_delay_alu instid0(VALU_DEP_1) | instskip(NEXT) | instid1(VALU_DEP_3)
	v_add_nc_u32_e32 v95, v94, v107
                                        ; implicit-def: $vgpr94
	v_cmpx_ne_u32_e64 v105, v106
	s_xor_b32 s13, exec_lo, s13
; %bb.12680:                            ;   in Loop: Header=BB6_10858 Depth=3
	s_delay_alu instid0(VALU_DEP_2) | instskip(SKIP_2) | instid1(VALU_DEP_2)
	v_cmp_lt_u32_e32 vcc_lo, 0xffffff, v95
	v_sub_nc_u32_e32 v94, v105, v106
	v_cndmask_b32_e64 v105, 0, 1, vcc_lo
	v_add_co_ci_u32_e32 v94, vcc_lo, 0, v94, vcc_lo
	s_delay_alu instid0(VALU_DEP_2)
	v_lshrrev_b32_e32 v95, v105, v95
; %bb.12681:                            ;   in Loop: Header=BB6_10858 Depth=3
	s_and_not1_saveexec_b32 s13, s13
; %bb.12682:                            ;   in Loop: Header=BB6_10858 Depth=3
	s_delay_alu instid0(VALU_DEP_1)
	v_bfe_u32 v94, v95, 23, 1
; %bb.12683:                            ;   in Loop: Header=BB6_10858 Depth=3
	s_or_b32 exec_lo, exec_lo, s13
	v_lshrrev_b32_e32 v95, 20, v95
	s_delay_alu instid0(VALU_DEP_2) | instskip(SKIP_2) | instid1(VALU_DEP_2)
	v_cmp_gt_i32_e32 vcc_lo, 16, v94
	v_lshrrev_b32_e32 v104, 24, v104
	v_min_i32_e32 v105, 15, v94
	v_dual_cndmask_b32 v95, 7, v95 :: v_dual_and_b32 v104, 0x80, v104
	s_delay_alu instid0(VALU_DEP_1) | instskip(SKIP_1) | instid1(VALU_DEP_2)
	v_or_b32_e32 v94, v94, v95
	v_and_b32_e32 v106, 7, v95
	v_cmp_ne_u32_e32 vcc_lo, 0, v94
	v_lshlrev_b32_e32 v105, 3, v105
	s_delay_alu instid0(VALU_DEP_1) | instskip(NEXT) | instid1(VALU_DEP_1)
	v_and_b32_e32 v105, 0xf8, v105
	v_or3_b32 v95, v105, v104, v106
	s_delay_alu instid0(VALU_DEP_1)
	v_cndmask_b32_e32 v94, 0, v95, vcc_lo
.LBB6_12684:                            ;   in Loop: Header=BB6_10858 Depth=3
	s_or_b32 exec_lo, exec_lo, s31
.LBB6_12685:                            ;   in Loop: Header=BB6_10858 Depth=3
	s_delay_alu instid0(SALU_CYCLE_1)
	s_or_b32 exec_lo, exec_lo, s17
	v_lshrrev_b32_e32 v104, 24, v15
	v_lshrrev_b32_e32 v95, 24, v11
	s_and_not1_b32 vcc_lo, exec_lo, s16
	s_cbranch_vccnz .LBB6_12695
; %bb.12686:                            ;   in Loop: Header=BB6_10858 Depth=3
	s_mov_b32 s13, 0
	s_mov_b32 s31, exec_lo
                                        ; implicit-def: $sgpr17
	v_cmpx_lt_i16_e32 0x7f, v104
	s_xor_b32 s31, exec_lo, s31
	s_cbranch_execnz .LBB6_13720
; %bb.12687:                            ;   in Loop: Header=BB6_10858 Depth=3
	s_or_saveexec_b32 s31, s31
	v_mov_b32_e32 v105, s17
	s_xor_b32 exec_lo, exec_lo, s31
	s_cbranch_execnz .LBB6_13723
.LBB6_12688:                            ;   in Loop: Header=BB6_10858 Depth=3
	s_or_b32 exec_lo, exec_lo, s31
	s_and_saveexec_b32 s17, s13
	s_cbranch_execz .LBB6_12690
.LBB6_12689:                            ;   in Loop: Header=BB6_10858 Depth=3
	v_bfe_u32 v105, v15, 24, 3
	v_bfe_u32 v108, v15, 27, 4
	s_delay_alu instid0(VALU_DEP_2) | instskip(NEXT) | instid1(VALU_DEP_2)
	v_clz_i32_u32_e32 v106, v105
	v_cmp_eq_u32_e32 vcc_lo, 0, v108
	s_delay_alu instid0(VALU_DEP_2) | instskip(NEXT) | instid1(VALU_DEP_1)
	v_min_u32_e32 v106, 32, v106
	v_subrev_nc_u32_e32 v107, 28, v106
	v_sub_nc_u32_e32 v106, 29, v106
	s_delay_alu instid0(VALU_DEP_1) | instskip(NEXT) | instid1(VALU_DEP_1)
	v_dual_cndmask_b32 v106, v108, v106 :: v_dual_lshlrev_b32 v107, v107, v104
	v_and_b32_e32 v107, 7, v107
	s_delay_alu instid0(VALU_DEP_2) | instskip(NEXT) | instid1(VALU_DEP_2)
	v_lshl_add_u32 v106, v106, 23, 0x3b800000
	v_cndmask_b32_e32 v105, v105, v107, vcc_lo
	v_and_b32_e32 v107, 0x80000000, v15
	s_delay_alu instid0(VALU_DEP_2) | instskip(NEXT) | instid1(VALU_DEP_1)
	v_lshlrev_b32_e32 v105, 20, v105
	v_or3_b32 v105, v107, v106, v105
.LBB6_12690:                            ;   in Loop: Header=BB6_10858 Depth=3
	s_or_b32 exec_lo, exec_lo, s17
	s_mov_b32 s13, 0
	s_mov_b32 s31, exec_lo
                                        ; implicit-def: $sgpr17
	v_cmpx_lt_i16_e32 0x7f, v95
	s_xor_b32 s31, exec_lo, s31
	s_cbranch_execnz .LBB6_13724
; %bb.12691:                            ;   in Loop: Header=BB6_10858 Depth=3
	s_or_saveexec_b32 s31, s31
	v_mov_b32_e32 v106, s17
	s_xor_b32 exec_lo, exec_lo, s31
	s_cbranch_execnz .LBB6_13727
.LBB6_12692:                            ;   in Loop: Header=BB6_10858 Depth=3
	s_or_b32 exec_lo, exec_lo, s31
	s_and_saveexec_b32 s17, s13
	s_cbranch_execz .LBB6_12694
.LBB6_12693:                            ;   in Loop: Header=BB6_10858 Depth=3
	v_bfe_u32 v106, v11, 24, 3
	v_bfe_u32 v109, v11, 27, 4
	s_delay_alu instid0(VALU_DEP_2) | instskip(NEXT) | instid1(VALU_DEP_2)
	v_clz_i32_u32_e32 v107, v106
	v_cmp_eq_u32_e32 vcc_lo, 0, v109
	s_delay_alu instid0(VALU_DEP_2) | instskip(NEXT) | instid1(VALU_DEP_1)
	v_min_u32_e32 v107, 32, v107
	v_subrev_nc_u32_e32 v108, 28, v107
	v_sub_nc_u32_e32 v107, 29, v107
	s_delay_alu instid0(VALU_DEP_2) | instskip(NEXT) | instid1(VALU_DEP_1)
	v_lshlrev_b32_e32 v108, v108, v95
	v_dual_cndmask_b32 v107, v109, v107 :: v_dual_and_b32 v108, 7, v108
	s_delay_alu instid0(VALU_DEP_1) | instskip(NEXT) | instid1(VALU_DEP_2)
	v_lshl_add_u32 v107, v107, 23, 0x3b800000
	v_cndmask_b32_e32 v106, v106, v108, vcc_lo
	v_and_b32_e32 v108, 0x80000000, v11
	s_delay_alu instid0(VALU_DEP_2) | instskip(NEXT) | instid1(VALU_DEP_1)
	v_lshlrev_b32_e32 v106, 20, v106
	v_or3_b32 v106, v108, v107, v106
.LBB6_12694:                            ;   in Loop: Header=BB6_10858 Depth=3
	s_or_b32 exec_lo, exec_lo, s17
	s_delay_alu instid0(VALU_DEP_1) | instskip(SKIP_1) | instid1(VALU_DEP_1)
	v_dual_max_f32 v106, v106, v106 :: v_dual_max_f32 v105, v105, v105
	s_mov_b32 s13, 0
	v_max_f32_e32 v105, v105, v106
	s_branch .LBB6_12696
.LBB6_12695:                            ;   in Loop: Header=BB6_10858 Depth=3
	s_mov_b32 s13, -1
                                        ; implicit-def: $vgpr105
.LBB6_12696:                            ;   in Loop: Header=BB6_10858 Depth=3
	s_delay_alu instid0(SALU_CYCLE_1)
	s_and_b32 vcc_lo, exec_lo, s13
	s_cbranch_vccz .LBB6_12706
; %bb.12697:                            ;   in Loop: Header=BB6_10858 Depth=3
	s_mov_b32 s13, 0
	s_mov_b32 s31, exec_lo
                                        ; implicit-def: $sgpr17
	v_cmpx_lt_i16_e32 0x7f, v104
	s_xor_b32 s31, exec_lo, s31
	s_cbranch_execnz .LBB6_13728
; %bb.12698:                            ;   in Loop: Header=BB6_10858 Depth=3
	s_or_saveexec_b32 s31, s31
	v_mov_b32_e32 v105, s17
	s_xor_b32 exec_lo, exec_lo, s31
	s_cbranch_execnz .LBB6_13731
.LBB6_12699:                            ;   in Loop: Header=BB6_10858 Depth=3
	s_or_b32 exec_lo, exec_lo, s31
	s_and_saveexec_b32 s17, s13
	s_cbranch_execz .LBB6_12701
.LBB6_12700:                            ;   in Loop: Header=BB6_10858 Depth=3
	v_bfe_u32 v105, v15, 24, 3
	s_delay_alu instid0(VALU_DEP_1) | instskip(NEXT) | instid1(VALU_DEP_1)
	v_clz_i32_u32_e32 v106, v105
	v_min_u32_e32 v106, 32, v106
	s_delay_alu instid0(VALU_DEP_1) | instskip(SKIP_1) | instid1(VALU_DEP_2)
	v_subrev_nc_u32_e32 v107, 28, v106
	v_sub_nc_u32_e32 v106, 29, v106
	v_lshlrev_b32_e32 v104, v107, v104
	v_bfe_u32 v107, v15, 27, 4
	v_and_b32_e32 v15, 0x80000000, v15
	s_delay_alu instid0(VALU_DEP_3) | instskip(NEXT) | instid1(VALU_DEP_3)
	v_and_b32_e32 v104, 7, v104
	v_cmp_eq_u32_e32 vcc_lo, 0, v107
	v_cndmask_b32_e32 v106, v107, v106, vcc_lo
	s_delay_alu instid0(VALU_DEP_3) | instskip(NEXT) | instid1(VALU_DEP_2)
	v_cndmask_b32_e32 v104, v105, v104, vcc_lo
	v_lshl_add_u32 v105, v106, 23, 0x3b800000
	s_delay_alu instid0(VALU_DEP_2) | instskip(NEXT) | instid1(VALU_DEP_1)
	v_lshlrev_b32_e32 v104, 20, v104
	v_or3_b32 v105, v15, v105, v104
.LBB6_12701:                            ;   in Loop: Header=BB6_10858 Depth=3
	s_or_b32 exec_lo, exec_lo, s17
	s_mov_b32 s13, 0
	s_mov_b32 s31, exec_lo
                                        ; implicit-def: $sgpr17
	v_cmpx_lt_i16_e32 0x7f, v95
	s_xor_b32 s31, exec_lo, s31
	s_cbranch_execnz .LBB6_13732
; %bb.12702:                            ;   in Loop: Header=BB6_10858 Depth=3
	s_or_saveexec_b32 s31, s31
	v_mov_b32_e32 v15, s17
	s_xor_b32 exec_lo, exec_lo, s31
	s_cbranch_execnz .LBB6_13735
.LBB6_12703:                            ;   in Loop: Header=BB6_10858 Depth=3
	s_or_b32 exec_lo, exec_lo, s31
	s_and_saveexec_b32 s17, s13
	s_cbranch_execz .LBB6_12705
.LBB6_12704:                            ;   in Loop: Header=BB6_10858 Depth=3
	v_bfe_u32 v15, v11, 24, 3
	s_delay_alu instid0(VALU_DEP_1) | instskip(NEXT) | instid1(VALU_DEP_1)
	v_clz_i32_u32_e32 v104, v15
	v_min_u32_e32 v104, 32, v104
	s_delay_alu instid0(VALU_DEP_1) | instskip(SKIP_1) | instid1(VALU_DEP_2)
	v_subrev_nc_u32_e32 v106, 28, v104
	v_sub_nc_u32_e32 v104, 29, v104
	v_lshlrev_b32_e32 v95, v106, v95
	v_bfe_u32 v106, v11, 27, 4
	v_and_b32_e32 v11, 0x80000000, v11
	s_delay_alu instid0(VALU_DEP_2) | instskip(NEXT) | instid1(VALU_DEP_4)
	v_cmp_eq_u32_e32 vcc_lo, 0, v106
	v_dual_cndmask_b32 v104, v106, v104 :: v_dual_and_b32 v95, 7, v95
	s_delay_alu instid0(VALU_DEP_1) | instskip(NEXT) | instid1(VALU_DEP_2)
	v_cndmask_b32_e32 v15, v15, v95, vcc_lo
	v_lshl_add_u32 v95, v104, 23, 0x3b800000
	s_delay_alu instid0(VALU_DEP_2) | instskip(NEXT) | instid1(VALU_DEP_1)
	v_lshlrev_b32_e32 v15, 20, v15
	v_or3_b32 v15, v11, v95, v15
.LBB6_12705:                            ;   in Loop: Header=BB6_10858 Depth=3
	s_or_b32 exec_lo, exec_lo, s17
	s_delay_alu instid0(VALU_DEP_1) | instskip(SKIP_1) | instid1(VALU_DEP_1)
	v_max_f32_e32 v11, v15, v15
	v_max_f32_e32 v15, v105, v105
	v_min_f32_e32 v105, v15, v11
.LBB6_12706:                            ;   in Loop: Header=BB6_10858 Depth=3
	s_delay_alu instid0(VALU_DEP_1) | instskip(NEXT) | instid1(VALU_DEP_1)
	v_and_b32_e32 v11, 0x7f800000, v105
	v_cmp_ne_u32_e32 vcc_lo, 0x7f800000, v11
	v_mov_b32_e32 v11, 0x8000
	s_and_saveexec_b32 s17, vcc_lo
	s_cbranch_execz .LBB6_10857
; %bb.12707:                            ;   in Loop: Header=BB6_10858 Depth=3
	v_mov_b32_e32 v11, 0
	s_mov_b32 s31, exec_lo
	v_cmpx_ne_u32_e32 0, v105
	s_cbranch_execz .LBB6_10856
; %bb.12708:                            ;   in Loop: Header=BB6_10858 Depth=3
	v_bfe_u32 v11, v105, 23, 8
	v_and_b32_e32 v15, 0x7fffff, v105
	s_delay_alu instid0(VALU_DEP_2) | instskip(SKIP_1) | instid1(VALU_DEP_3)
	v_sub_nc_u32_e32 v95, 0x78, v11
	v_cmp_gt_u32_e32 vcc_lo, 0x79, v11
	v_or_b32_e32 v104, 0x800000, v15
	s_delay_alu instid0(VALU_DEP_3) | instskip(SKIP_2) | instid1(VALU_DEP_3)
	v_cndmask_b32_e32 v95, 0, v95, vcc_lo
	v_cmp_eq_u32_e32 vcc_lo, 0, v11
	v_add_nc_u32_e32 v11, 0xffffff89, v11
	v_cndmask_b32_e64 v95, v95, 0x77, vcc_lo
	v_cndmask_b32_e32 v15, v104, v15, vcc_lo
	s_delay_alu instid0(VALU_DEP_3) | instskip(NEXT) | instid1(VALU_DEP_3)
	v_cndmask_b32_e64 v11, v11, 0xffffff8a, vcc_lo
	v_lshl_add_u32 v104, 0x100000, v95, -1
	s_delay_alu instid0(VALU_DEP_3) | instskip(SKIP_1) | instid1(VALU_DEP_4)
	v_lshrrev_b32_e32 v106, v95, v15
	v_lshlrev_b32_e64 v108, v95, 0x80000
	v_add_nc_u32_e32 v95, v95, v11
	s_delay_alu instid0(VALU_DEP_4) | instskip(NEXT) | instid1(VALU_DEP_4)
	v_and_b32_e32 v15, v104, v15
	v_bfe_u32 v107, v106, 20, 1
	s_delay_alu instid0(VALU_DEP_2) | instskip(NEXT) | instid1(VALU_DEP_2)
	v_cmp_eq_u32_e64 s13, v15, v108
	v_add_nc_u32_e32 v104, -1, v107
	s_delay_alu instid0(VALU_DEP_1) | instskip(SKIP_2) | instid1(VALU_DEP_2)
	v_cndmask_b32_e64 v15, 0, v104, s13
	v_lshrrev_b32_e32 v104, 23, v106
	s_mov_b32 s13, exec_lo
	v_add_nc_u32_e32 v15, v15, v106
	s_delay_alu instid0(VALU_DEP_2) | instskip(NEXT) | instid1(VALU_DEP_2)
	v_xor_b32_e32 v104, 1, v104
	v_and_b32_e32 v11, 0xfffff, v15
	s_delay_alu instid0(VALU_DEP_1) | instskip(NEXT) | instid1(VALU_DEP_3)
	v_add_nc_u32_e32 v15, v11, v106
                                        ; implicit-def: $vgpr11
	v_cmpx_ne_u32_e64 v95, v104
	s_xor_b32 s13, exec_lo, s13
; %bb.12709:                            ;   in Loop: Header=BB6_10858 Depth=3
	s_delay_alu instid0(VALU_DEP_2) | instskip(SKIP_2) | instid1(VALU_DEP_2)
	v_cmp_lt_u32_e32 vcc_lo, 0xffffff, v15
	v_sub_nc_u32_e32 v11, v95, v104
	v_cndmask_b32_e64 v95, 0, 1, vcc_lo
	v_add_co_ci_u32_e32 v11, vcc_lo, 0, v11, vcc_lo
	s_delay_alu instid0(VALU_DEP_2)
	v_lshrrev_b32_e32 v15, v95, v15
; %bb.12710:                            ;   in Loop: Header=BB6_10858 Depth=3
	s_and_not1_saveexec_b32 s13, s13
	s_cbranch_execz .LBB6_10855
; %bb.12711:                            ;   in Loop: Header=BB6_10858 Depth=3
	s_delay_alu instid0(VALU_DEP_1)
	v_bfe_u32 v11, v15, 23, 1
	s_branch .LBB6_10855
.LBB6_12712:                            ;   in Loop: Header=BB6_10858 Depth=3
	s_mov_b32 s13, -1
	s_mov_b32 s34, exec_lo
                                        ; implicit-def: $sgpr17
	v_cmpx_eq_u16_e64 0x80, v183
; %bb.12713:                            ;   in Loop: Header=BB6_10858 Depth=3
	s_mov_b32 s17, 0x7f800001
	s_xor_b32 s13, exec_lo, -1
; %bb.12714:                            ;   in Loop: Header=BB6_10858 Depth=3
	s_or_b32 exec_lo, exec_lo, s34
	s_delay_alu instid0(SALU_CYCLE_1)
	s_and_b32 s13, s13, exec_lo
                                        ; implicit-def: $vgpr183
	s_or_saveexec_b32 s31, s31
	v_mov_b32_e32 v117, s17
	s_xor_b32 exec_lo, exec_lo, s31
	s_cbranch_execz .LBB6_10861
.LBB6_12715:                            ;   in Loop: Header=BB6_10858 Depth=3
	v_cmp_ne_u16_e64 vcc_lo, 0, v183
	v_mov_b32_e32 v117, 0
	s_and_not1_b32 s13, s13, exec_lo
	s_delay_alu instid0(VALU_DEP_2) | instskip(NEXT) | instid1(SALU_CYCLE_1)
	s_and_b32 s17, vcc_lo, exec_lo
	s_or_b32 s13, s13, s17
	s_or_b32 exec_lo, exec_lo, s31
	s_and_saveexec_b32 s17, s13
	s_cbranch_execnz .LBB6_10862
	s_branch .LBB6_10863
.LBB6_12716:                            ;   in Loop: Header=BB6_10858 Depth=3
	s_mov_b32 s13, -1
	s_mov_b32 s34, exec_lo
                                        ; implicit-def: $sgpr17
	v_cmpx_eq_u16_e32 0x80, v40
; %bb.12717:                            ;   in Loop: Header=BB6_10858 Depth=3
	s_mov_b32 s17, 0x7f800001
	s_xor_b32 s13, exec_lo, -1
; %bb.12718:                            ;   in Loop: Header=BB6_10858 Depth=3
	s_or_b32 exec_lo, exec_lo, s34
	s_delay_alu instid0(SALU_CYCLE_1)
	s_and_b32 s13, s13, exec_lo
                                        ; implicit-def: $vgpr40
	s_or_saveexec_b32 s31, s31
	v_mov_b32_e32 v183, s17
	s_xor_b32 exec_lo, exec_lo, s31
	s_cbranch_execz .LBB6_10865
.LBB6_12719:                            ;   in Loop: Header=BB6_10858 Depth=3
	v_cmp_ne_u16_e32 vcc_lo, 0, v40
	v_mov_b32_e32 v183, 0
	s_and_not1_b32 s13, s13, exec_lo
	s_and_b32 s17, vcc_lo, exec_lo
	s_delay_alu instid0(SALU_CYCLE_1)
	s_or_b32 s13, s13, s17
	s_or_b32 exec_lo, exec_lo, s31
	s_and_saveexec_b32 s17, s13
	s_cbranch_execnz .LBB6_10866
	s_branch .LBB6_10867
.LBB6_12720:                            ;   in Loop: Header=BB6_10858 Depth=3
	s_mov_b32 s13, -1
	s_mov_b32 s34, exec_lo
                                        ; implicit-def: $sgpr17
	v_cmpx_eq_u16_e64 0x80, v183
; %bb.12721:                            ;   in Loop: Header=BB6_10858 Depth=3
	s_mov_b32 s17, 0x7f800001
	s_xor_b32 s13, exec_lo, -1
; %bb.12722:                            ;   in Loop: Header=BB6_10858 Depth=3
	s_or_b32 exec_lo, exec_lo, s34
	s_delay_alu instid0(SALU_CYCLE_1)
	s_and_b32 s13, s13, exec_lo
                                        ; implicit-def: $vgpr183
	s_or_saveexec_b32 s31, s31
	v_mov_b32_e32 v117, s17
	s_xor_b32 exec_lo, exec_lo, s31
	s_cbranch_execz .LBB6_10872
.LBB6_12723:                            ;   in Loop: Header=BB6_10858 Depth=3
	v_cmp_ne_u16_e64 vcc_lo, 0, v183
	v_mov_b32_e32 v117, 0
	s_and_not1_b32 s13, s13, exec_lo
	s_delay_alu instid0(VALU_DEP_2) | instskip(NEXT) | instid1(SALU_CYCLE_1)
	s_and_b32 s17, vcc_lo, exec_lo
	s_or_b32 s13, s13, s17
	s_or_b32 exec_lo, exec_lo, s31
	s_and_saveexec_b32 s17, s13
	s_cbranch_execnz .LBB6_10873
	s_branch .LBB6_10874
.LBB6_12724:                            ;   in Loop: Header=BB6_10858 Depth=3
	s_mov_b32 s13, -1
	s_mov_b32 s34, exec_lo
                                        ; implicit-def: $sgpr17
	v_cmpx_eq_u16_e32 0x80, v40
; %bb.12725:                            ;   in Loop: Header=BB6_10858 Depth=3
	s_mov_b32 s17, 0x7f800001
	s_xor_b32 s13, exec_lo, -1
; %bb.12726:                            ;   in Loop: Header=BB6_10858 Depth=3
	s_or_b32 exec_lo, exec_lo, s34
	s_delay_alu instid0(SALU_CYCLE_1)
	s_and_b32 s13, s13, exec_lo
                                        ; implicit-def: $vgpr40
	s_or_saveexec_b32 s31, s31
	v_mov_b32_e32 v183, s17
	s_xor_b32 exec_lo, exec_lo, s31
	s_cbranch_execz .LBB6_10876
.LBB6_12727:                            ;   in Loop: Header=BB6_10858 Depth=3
	v_cmp_ne_u16_e32 vcc_lo, 0, v40
	v_mov_b32_e32 v183, 0
	s_and_not1_b32 s13, s13, exec_lo
	s_and_b32 s17, vcc_lo, exec_lo
	s_delay_alu instid0(SALU_CYCLE_1)
	s_or_b32 s13, s13, s17
	s_or_b32 exec_lo, exec_lo, s31
	s_and_saveexec_b32 s17, s13
	s_cbranch_execnz .LBB6_10877
	s_branch .LBB6_10878
.LBB6_12728:                            ;   in Loop: Header=BB6_10858 Depth=3
	s_mov_b32 s13, -1
	s_mov_b32 s34, exec_lo
                                        ; implicit-def: $sgpr17
	v_cmpx_eq_u16_e32 0x80, v40
; %bb.12729:                            ;   in Loop: Header=BB6_10858 Depth=3
	s_mov_b32 s17, 0x7f800001
	s_xor_b32 s13, exec_lo, -1
; %bb.12730:                            ;   in Loop: Header=BB6_10858 Depth=3
	s_or_b32 exec_lo, exec_lo, s34
	s_delay_alu instid0(SALU_CYCLE_1)
	s_and_b32 s13, s13, exec_lo
	s_or_saveexec_b32 s31, s31
	v_mov_b32_e32 v41, s17
	s_xor_b32 exec_lo, exec_lo, s31
	s_cbranch_execz .LBB6_10890
.LBB6_12731:                            ;   in Loop: Header=BB6_10858 Depth=3
	v_cmp_ne_u16_e32 vcc_lo, 0, v40
	v_mov_b32_e32 v41, 0
	s_and_not1_b32 s13, s13, exec_lo
	s_and_b32 s17, vcc_lo, exec_lo
	s_delay_alu instid0(SALU_CYCLE_1)
	s_or_b32 s13, s13, s17
	s_or_b32 exec_lo, exec_lo, s31
	s_and_saveexec_b32 s17, s13
	s_cbranch_execnz .LBB6_10891
	s_branch .LBB6_10892
.LBB6_12732:                            ;   in Loop: Header=BB6_10858 Depth=3
	s_mov_b32 s13, -1
	s_mov_b32 s34, exec_lo
                                        ; implicit-def: $sgpr17
	v_cmpx_eq_u16_e64 0x80, v183
; %bb.12733:                            ;   in Loop: Header=BB6_10858 Depth=3
	s_mov_b32 s17, 0x7f800001
	s_xor_b32 s13, exec_lo, -1
; %bb.12734:                            ;   in Loop: Header=BB6_10858 Depth=3
	s_or_b32 exec_lo, exec_lo, s34
	s_delay_alu instid0(SALU_CYCLE_1)
	s_and_b32 s13, s13, exec_lo
	s_or_saveexec_b32 s31, s31
	v_mov_b32_e32 v42, s17
	s_xor_b32 exec_lo, exec_lo, s31
	s_cbranch_execz .LBB6_10894
.LBB6_12735:                            ;   in Loop: Header=BB6_10858 Depth=3
	v_cmp_ne_u16_e64 vcc_lo, 0, v183
	v_mov_b32_e32 v42, 0
	s_and_not1_b32 s13, s13, exec_lo
	s_delay_alu instid0(VALU_DEP_2) | instskip(NEXT) | instid1(SALU_CYCLE_1)
	s_and_b32 s17, vcc_lo, exec_lo
	s_or_b32 s13, s13, s17
	s_or_b32 exec_lo, exec_lo, s31
	s_and_saveexec_b32 s17, s13
	s_cbranch_execnz .LBB6_10895
	s_branch .LBB6_10896
.LBB6_12736:                            ;   in Loop: Header=BB6_10858 Depth=3
	s_mov_b32 s13, -1
	s_mov_b32 s34, exec_lo
                                        ; implicit-def: $sgpr17
	v_cmpx_eq_u16_e32 0x80, v40
; %bb.12737:                            ;   in Loop: Header=BB6_10858 Depth=3
	s_mov_b32 s17, 0x7f800001
	s_xor_b32 s13, exec_lo, -1
; %bb.12738:                            ;   in Loop: Header=BB6_10858 Depth=3
	s_or_b32 exec_lo, exec_lo, s34
	s_delay_alu instid0(SALU_CYCLE_1)
	s_and_b32 s13, s13, exec_lo
	s_or_saveexec_b32 s31, s31
	v_mov_b32_e32 v41, s17
	s_xor_b32 exec_lo, exec_lo, s31
	s_cbranch_execz .LBB6_10901
.LBB6_12739:                            ;   in Loop: Header=BB6_10858 Depth=3
	v_cmp_ne_u16_e32 vcc_lo, 0, v40
	v_mov_b32_e32 v41, 0
	s_and_not1_b32 s13, s13, exec_lo
	s_and_b32 s17, vcc_lo, exec_lo
	s_delay_alu instid0(SALU_CYCLE_1)
	s_or_b32 s13, s13, s17
	s_or_b32 exec_lo, exec_lo, s31
	s_and_saveexec_b32 s17, s13
	s_cbranch_execnz .LBB6_10902
	s_branch .LBB6_10903
.LBB6_12740:                            ;   in Loop: Header=BB6_10858 Depth=3
	s_mov_b32 s13, -1
	s_mov_b32 s34, exec_lo
                                        ; implicit-def: $sgpr17
	v_cmpx_eq_u16_e64 0x80, v183
; %bb.12741:                            ;   in Loop: Header=BB6_10858 Depth=3
	s_mov_b32 s17, 0x7f800001
	s_xor_b32 s13, exec_lo, -1
; %bb.12742:                            ;   in Loop: Header=BB6_10858 Depth=3
	s_or_b32 exec_lo, exec_lo, s34
	s_delay_alu instid0(SALU_CYCLE_1)
	s_and_b32 s13, s13, exec_lo
	s_or_saveexec_b32 s31, s31
	v_mov_b32_e32 v40, s17
	s_xor_b32 exec_lo, exec_lo, s31
	s_cbranch_execz .LBB6_10905
.LBB6_12743:                            ;   in Loop: Header=BB6_10858 Depth=3
	v_cmp_ne_u16_e64 vcc_lo, 0, v183
	v_mov_b32_e32 v40, 0
	s_and_not1_b32 s13, s13, exec_lo
	s_delay_alu instid0(VALU_DEP_2) | instskip(NEXT) | instid1(SALU_CYCLE_1)
	s_and_b32 s17, vcc_lo, exec_lo
	s_or_b32 s13, s13, s17
	s_or_b32 exec_lo, exec_lo, s31
	s_and_saveexec_b32 s17, s13
	s_cbranch_execnz .LBB6_10906
	s_branch .LBB6_10907
.LBB6_12744:                            ;   in Loop: Header=BB6_10858 Depth=3
	s_mov_b32 s13, -1
	s_mov_b32 s34, exec_lo
                                        ; implicit-def: $sgpr17
	v_cmpx_eq_u16_e32 0x80, v43
; %bb.12745:                            ;   in Loop: Header=BB6_10858 Depth=3
	s_mov_b32 s17, 0x7f800001
	s_xor_b32 s13, exec_lo, -1
; %bb.12746:                            ;   in Loop: Header=BB6_10858 Depth=3
	s_or_b32 exec_lo, exec_lo, s34
	s_delay_alu instid0(SALU_CYCLE_1)
	s_and_b32 s13, s13, exec_lo
                                        ; implicit-def: $vgpr43
	s_or_saveexec_b32 s31, s31
	v_mov_b32_e32 v42, s17
	s_xor_b32 exec_lo, exec_lo, s31
	s_cbranch_execz .LBB6_10919
.LBB6_12747:                            ;   in Loop: Header=BB6_10858 Depth=3
	v_cmp_ne_u16_e32 vcc_lo, 0, v43
	v_mov_b32_e32 v42, 0
	s_and_not1_b32 s13, s13, exec_lo
	s_and_b32 s17, vcc_lo, exec_lo
	s_delay_alu instid0(SALU_CYCLE_1)
	s_or_b32 s13, s13, s17
	s_or_b32 exec_lo, exec_lo, s31
	s_and_saveexec_b32 s17, s13
	s_cbranch_execnz .LBB6_10920
	s_branch .LBB6_10921
.LBB6_12748:                            ;   in Loop: Header=BB6_10858 Depth=3
	s_mov_b32 s13, -1
	s_mov_b32 s34, exec_lo
                                        ; implicit-def: $sgpr17
	v_cmpx_eq_u16_e32 0x80, v44
; %bb.12749:                            ;   in Loop: Header=BB6_10858 Depth=3
	s_mov_b32 s17, 0x7f800001
	s_xor_b32 s13, exec_lo, -1
; %bb.12750:                            ;   in Loop: Header=BB6_10858 Depth=3
	s_or_b32 exec_lo, exec_lo, s34
	s_delay_alu instid0(SALU_CYCLE_1)
	s_and_b32 s13, s13, exec_lo
                                        ; implicit-def: $vgpr44
	s_or_saveexec_b32 s31, s31
	v_mov_b32_e32 v43, s17
	s_xor_b32 exec_lo, exec_lo, s31
	s_cbranch_execz .LBB6_10923
.LBB6_12751:                            ;   in Loop: Header=BB6_10858 Depth=3
	v_cmp_ne_u16_e32 vcc_lo, 0, v44
	v_mov_b32_e32 v43, 0
	s_and_not1_b32 s13, s13, exec_lo
	s_and_b32 s17, vcc_lo, exec_lo
	s_delay_alu instid0(SALU_CYCLE_1)
	s_or_b32 s13, s13, s17
	s_or_b32 exec_lo, exec_lo, s31
	s_and_saveexec_b32 s17, s13
	s_cbranch_execnz .LBB6_10924
	s_branch .LBB6_10925
.LBB6_12752:                            ;   in Loop: Header=BB6_10858 Depth=3
	s_mov_b32 s13, -1
	s_mov_b32 s34, exec_lo
                                        ; implicit-def: $sgpr17
	v_cmpx_eq_u16_e32 0x80, v43
; %bb.12753:                            ;   in Loop: Header=BB6_10858 Depth=3
	s_mov_b32 s17, 0x7f800001
	s_xor_b32 s13, exec_lo, -1
; %bb.12754:                            ;   in Loop: Header=BB6_10858 Depth=3
	s_or_b32 exec_lo, exec_lo, s34
	s_delay_alu instid0(SALU_CYCLE_1)
	s_and_b32 s13, s13, exec_lo
                                        ; implicit-def: $vgpr43
	s_or_saveexec_b32 s31, s31
	v_mov_b32_e32 v42, s17
	s_xor_b32 exec_lo, exec_lo, s31
	s_cbranch_execz .LBB6_10930
.LBB6_12755:                            ;   in Loop: Header=BB6_10858 Depth=3
	v_cmp_ne_u16_e32 vcc_lo, 0, v43
	v_mov_b32_e32 v42, 0
	s_and_not1_b32 s13, s13, exec_lo
	s_and_b32 s17, vcc_lo, exec_lo
	s_delay_alu instid0(SALU_CYCLE_1)
	s_or_b32 s13, s13, s17
	s_or_b32 exec_lo, exec_lo, s31
	s_and_saveexec_b32 s17, s13
	s_cbranch_execnz .LBB6_10931
	s_branch .LBB6_10932
.LBB6_12756:                            ;   in Loop: Header=BB6_10858 Depth=3
	s_mov_b32 s13, -1
	s_mov_b32 s34, exec_lo
                                        ; implicit-def: $sgpr17
	v_cmpx_eq_u16_e32 0x80, v43
; %bb.12757:                            ;   in Loop: Header=BB6_10858 Depth=3
	s_mov_b32 s17, 0x7f800001
	s_xor_b32 s13, exec_lo, -1
; %bb.12758:                            ;   in Loop: Header=BB6_10858 Depth=3
	s_or_b32 exec_lo, exec_lo, s34
	s_delay_alu instid0(SALU_CYCLE_1)
	s_and_b32 s13, s13, exec_lo
                                        ; implicit-def: $vgpr43
	s_or_saveexec_b32 s31, s31
	v_mov_b32_e32 v41, s17
	s_xor_b32 exec_lo, exec_lo, s31
	s_cbranch_execz .LBB6_10934
.LBB6_12759:                            ;   in Loop: Header=BB6_10858 Depth=3
	v_cmp_ne_u16_e32 vcc_lo, 0, v43
	v_mov_b32_e32 v41, 0
	s_and_not1_b32 s13, s13, exec_lo
	s_and_b32 s17, vcc_lo, exec_lo
	s_delay_alu instid0(SALU_CYCLE_1)
	s_or_b32 s13, s13, s17
	s_or_b32 exec_lo, exec_lo, s31
	s_and_saveexec_b32 s17, s13
	s_cbranch_execnz .LBB6_10935
	s_branch .LBB6_10936
.LBB6_12760:                            ;   in Loop: Header=BB6_10858 Depth=3
	s_mov_b32 s13, -1
	s_mov_b32 s34, exec_lo
                                        ; implicit-def: $sgpr17
	v_cmpx_eq_u16_e32 0x80, v42
; %bb.12761:                            ;   in Loop: Header=BB6_10858 Depth=3
	s_mov_b32 s17, 0x7f800001
	s_xor_b32 s13, exec_lo, -1
; %bb.12762:                            ;   in Loop: Header=BB6_10858 Depth=3
	s_or_b32 exec_lo, exec_lo, s34
	s_delay_alu instid0(SALU_CYCLE_1)
	s_and_b32 s13, s13, exec_lo
	s_or_saveexec_b32 s31, s31
	v_mov_b32_e32 v43, s17
	s_xor_b32 exec_lo, exec_lo, s31
	s_cbranch_execz .LBB6_10948
.LBB6_12763:                            ;   in Loop: Header=BB6_10858 Depth=3
	v_cmp_ne_u16_e32 vcc_lo, 0, v42
	v_mov_b32_e32 v43, 0
	s_and_not1_b32 s13, s13, exec_lo
	s_and_b32 s17, vcc_lo, exec_lo
	s_delay_alu instid0(SALU_CYCLE_1)
	s_or_b32 s13, s13, s17
	s_or_b32 exec_lo, exec_lo, s31
	s_and_saveexec_b32 s17, s13
	s_cbranch_execnz .LBB6_10949
	s_branch .LBB6_10950
.LBB6_12764:                            ;   in Loop: Header=BB6_10858 Depth=3
	s_mov_b32 s13, -1
	s_mov_b32 s34, exec_lo
                                        ; implicit-def: $sgpr17
	v_cmpx_eq_u16_e32 0x80, v41
; %bb.12765:                            ;   in Loop: Header=BB6_10858 Depth=3
	s_mov_b32 s17, 0x7f800001
	s_xor_b32 s13, exec_lo, -1
; %bb.12766:                            ;   in Loop: Header=BB6_10858 Depth=3
	s_or_b32 exec_lo, exec_lo, s34
	s_delay_alu instid0(SALU_CYCLE_1)
	s_and_b32 s13, s13, exec_lo
	s_or_saveexec_b32 s31, s31
	v_mov_b32_e32 v44, s17
	s_xor_b32 exec_lo, exec_lo, s31
	s_cbranch_execz .LBB6_10952
.LBB6_12767:                            ;   in Loop: Header=BB6_10858 Depth=3
	v_cmp_ne_u16_e32 vcc_lo, 0, v41
	v_mov_b32_e32 v44, 0
	s_and_not1_b32 s13, s13, exec_lo
	s_and_b32 s17, vcc_lo, exec_lo
	s_delay_alu instid0(SALU_CYCLE_1)
	s_or_b32 s13, s13, s17
	s_or_b32 exec_lo, exec_lo, s31
	s_and_saveexec_b32 s17, s13
	s_cbranch_execnz .LBB6_10953
	s_branch .LBB6_10954
.LBB6_12768:                            ;   in Loop: Header=BB6_10858 Depth=3
	s_mov_b32 s13, -1
	s_mov_b32 s34, exec_lo
                                        ; implicit-def: $sgpr17
	v_cmpx_eq_u16_e32 0x80, v42
; %bb.12769:                            ;   in Loop: Header=BB6_10858 Depth=3
	s_mov_b32 s17, 0x7f800001
	s_xor_b32 s13, exec_lo, -1
; %bb.12770:                            ;   in Loop: Header=BB6_10858 Depth=3
	s_or_b32 exec_lo, exec_lo, s34
	s_delay_alu instid0(SALU_CYCLE_1)
	s_and_b32 s13, s13, exec_lo
	s_or_saveexec_b32 s31, s31
	v_mov_b32_e32 v43, s17
	s_xor_b32 exec_lo, exec_lo, s31
	s_cbranch_execz .LBB6_10959
.LBB6_12771:                            ;   in Loop: Header=BB6_10858 Depth=3
	v_cmp_ne_u16_e32 vcc_lo, 0, v42
	v_mov_b32_e32 v43, 0
	s_and_not1_b32 s13, s13, exec_lo
	s_and_b32 s17, vcc_lo, exec_lo
	s_delay_alu instid0(SALU_CYCLE_1)
	s_or_b32 s13, s13, s17
	s_or_b32 exec_lo, exec_lo, s31
	s_and_saveexec_b32 s17, s13
	s_cbranch_execnz .LBB6_10960
	s_branch .LBB6_10961
.LBB6_12772:                            ;   in Loop: Header=BB6_10858 Depth=3
	s_mov_b32 s13, -1
	s_mov_b32 s34, exec_lo
                                        ; implicit-def: $sgpr17
	v_cmpx_eq_u16_e32 0x80, v41
; %bb.12773:                            ;   in Loop: Header=BB6_10858 Depth=3
	s_mov_b32 s17, 0x7f800001
	s_xor_b32 s13, exec_lo, -1
; %bb.12774:                            ;   in Loop: Header=BB6_10858 Depth=3
	s_or_b32 exec_lo, exec_lo, s34
	s_delay_alu instid0(SALU_CYCLE_1)
	s_and_b32 s13, s13, exec_lo
	s_or_saveexec_b32 s31, s31
	v_mov_b32_e32 v48, s17
	s_xor_b32 exec_lo, exec_lo, s31
	s_cbranch_execz .LBB6_10963
.LBB6_12775:                            ;   in Loop: Header=BB6_10858 Depth=3
	v_cmp_ne_u16_e32 vcc_lo, 0, v41
	v_mov_b32_e32 v48, 0
	s_and_not1_b32 s13, s13, exec_lo
	s_and_b32 s17, vcc_lo, exec_lo
	s_delay_alu instid0(SALU_CYCLE_1)
	s_or_b32 s13, s13, s17
	s_or_b32 exec_lo, exec_lo, s31
	s_and_saveexec_b32 s17, s13
	s_cbranch_execnz .LBB6_10964
	s_branch .LBB6_10965
.LBB6_12776:                            ;   in Loop: Header=BB6_10858 Depth=3
	s_mov_b32 s13, -1
	s_mov_b32 s34, exec_lo
                                        ; implicit-def: $sgpr17
	v_cmpx_eq_u16_e32 0x80, v41
; %bb.12777:                            ;   in Loop: Header=BB6_10858 Depth=3
	s_mov_b32 s17, 0x7f800001
	s_xor_b32 s13, exec_lo, -1
; %bb.12778:                            ;   in Loop: Header=BB6_10858 Depth=3
	s_or_b32 exec_lo, exec_lo, s34
	s_delay_alu instid0(SALU_CYCLE_1)
	s_and_b32 s13, s13, exec_lo
                                        ; implicit-def: $vgpr41
	s_or_saveexec_b32 s31, s31
	v_mov_b32_e32 v48, s17
	s_xor_b32 exec_lo, exec_lo, s31
	s_cbranch_execz .LBB6_10977
.LBB6_12779:                            ;   in Loop: Header=BB6_10858 Depth=3
	v_cmp_ne_u16_e32 vcc_lo, 0, v41
	v_mov_b32_e32 v48, 0
	s_and_not1_b32 s13, s13, exec_lo
	s_and_b32 s17, vcc_lo, exec_lo
	s_delay_alu instid0(SALU_CYCLE_1)
	s_or_b32 s13, s13, s17
	s_or_b32 exec_lo, exec_lo, s31
	s_and_saveexec_b32 s17, s13
	s_cbranch_execnz .LBB6_10978
	s_branch .LBB6_10979
.LBB6_12780:                            ;   in Loop: Header=BB6_10858 Depth=3
	s_mov_b32 s13, -1
	s_mov_b32 s34, exec_lo
                                        ; implicit-def: $sgpr17
	v_cmpx_eq_u16_e32 0x80, v42
; %bb.12781:                            ;   in Loop: Header=BB6_10858 Depth=3
	s_mov_b32 s17, 0x7f800001
	s_xor_b32 s13, exec_lo, -1
; %bb.12782:                            ;   in Loop: Header=BB6_10858 Depth=3
	s_or_b32 exec_lo, exec_lo, s34
	s_delay_alu instid0(SALU_CYCLE_1)
	s_and_b32 s13, s13, exec_lo
                                        ; implicit-def: $vgpr42
	s_or_saveexec_b32 s31, s31
	v_mov_b32_e32 v41, s17
	s_xor_b32 exec_lo, exec_lo, s31
	s_cbranch_execz .LBB6_10981
.LBB6_12783:                            ;   in Loop: Header=BB6_10858 Depth=3
	v_cmp_ne_u16_e32 vcc_lo, 0, v42
	v_mov_b32_e32 v41, 0
	s_and_not1_b32 s13, s13, exec_lo
	s_and_b32 s17, vcc_lo, exec_lo
	s_delay_alu instid0(SALU_CYCLE_1)
	s_or_b32 s13, s13, s17
	s_or_b32 exec_lo, exec_lo, s31
	s_and_saveexec_b32 s17, s13
	s_cbranch_execnz .LBB6_10982
	s_branch .LBB6_10983
.LBB6_12784:                            ;   in Loop: Header=BB6_10858 Depth=3
	s_mov_b32 s13, -1
	s_mov_b32 s34, exec_lo
                                        ; implicit-def: $sgpr17
	v_cmpx_eq_u16_e32 0x80, v41
; %bb.12785:                            ;   in Loop: Header=BB6_10858 Depth=3
	s_mov_b32 s17, 0x7f800001
	s_xor_b32 s13, exec_lo, -1
; %bb.12786:                            ;   in Loop: Header=BB6_10858 Depth=3
	s_or_b32 exec_lo, exec_lo, s34
	s_delay_alu instid0(SALU_CYCLE_1)
	s_and_b32 s13, s13, exec_lo
                                        ; implicit-def: $vgpr41
	s_or_saveexec_b32 s31, s31
	v_mov_b32_e32 v48, s17
	s_xor_b32 exec_lo, exec_lo, s31
	s_cbranch_execz .LBB6_10988
.LBB6_12787:                            ;   in Loop: Header=BB6_10858 Depth=3
	v_cmp_ne_u16_e32 vcc_lo, 0, v41
	v_mov_b32_e32 v48, 0
	s_and_not1_b32 s13, s13, exec_lo
	s_and_b32 s17, vcc_lo, exec_lo
	s_delay_alu instid0(SALU_CYCLE_1)
	s_or_b32 s13, s13, s17
	s_or_b32 exec_lo, exec_lo, s31
	s_and_saveexec_b32 s17, s13
	s_cbranch_execnz .LBB6_10989
	s_branch .LBB6_10990
.LBB6_12788:                            ;   in Loop: Header=BB6_10858 Depth=3
	s_mov_b32 s13, -1
	s_mov_b32 s34, exec_lo
                                        ; implicit-def: $sgpr17
	v_cmpx_eq_u16_e32 0x80, v42
; %bb.12789:                            ;   in Loop: Header=BB6_10858 Depth=3
	s_mov_b32 s17, 0x7f800001
	s_xor_b32 s13, exec_lo, -1
; %bb.12790:                            ;   in Loop: Header=BB6_10858 Depth=3
	s_or_b32 exec_lo, exec_lo, s34
	s_delay_alu instid0(SALU_CYCLE_1)
	s_and_b32 s13, s13, exec_lo
                                        ; implicit-def: $vgpr42
	s_or_saveexec_b32 s31, s31
	v_mov_b32_e32 v41, s17
	s_xor_b32 exec_lo, exec_lo, s31
	s_cbranch_execz .LBB6_10992
.LBB6_12791:                            ;   in Loop: Header=BB6_10858 Depth=3
	v_cmp_ne_u16_e32 vcc_lo, 0, v42
	v_mov_b32_e32 v41, 0
	s_and_not1_b32 s13, s13, exec_lo
	s_and_b32 s17, vcc_lo, exec_lo
	s_delay_alu instid0(SALU_CYCLE_1)
	s_or_b32 s13, s13, s17
	s_or_b32 exec_lo, exec_lo, s31
	s_and_saveexec_b32 s17, s13
	s_cbranch_execnz .LBB6_10993
	s_branch .LBB6_10994
.LBB6_12792:                            ;   in Loop: Header=BB6_10858 Depth=3
	s_mov_b32 s13, -1
	s_mov_b32 s34, exec_lo
                                        ; implicit-def: $sgpr17
	v_cmpx_eq_u16_e32 0x80, v42
; %bb.12793:                            ;   in Loop: Header=BB6_10858 Depth=3
	s_mov_b32 s17, 0x7f800001
	s_xor_b32 s13, exec_lo, -1
; %bb.12794:                            ;   in Loop: Header=BB6_10858 Depth=3
	s_or_b32 exec_lo, exec_lo, s34
	s_delay_alu instid0(SALU_CYCLE_1)
	s_and_b32 s13, s13, exec_lo
	s_or_saveexec_b32 s31, s31
	v_mov_b32_e32 v43, s17
	s_xor_b32 exec_lo, exec_lo, s31
	s_cbranch_execz .LBB6_11006
.LBB6_12795:                            ;   in Loop: Header=BB6_10858 Depth=3
	v_cmp_ne_u16_e32 vcc_lo, 0, v42
	v_mov_b32_e32 v43, 0
	s_and_not1_b32 s13, s13, exec_lo
	s_and_b32 s17, vcc_lo, exec_lo
	s_delay_alu instid0(SALU_CYCLE_1)
	s_or_b32 s13, s13, s17
	s_or_b32 exec_lo, exec_lo, s31
	s_and_saveexec_b32 s17, s13
	s_cbranch_execnz .LBB6_11007
	s_branch .LBB6_11008
.LBB6_12796:                            ;   in Loop: Header=BB6_10858 Depth=3
	s_mov_b32 s13, -1
	s_mov_b32 s34, exec_lo
                                        ; implicit-def: $sgpr17
	v_cmpx_eq_u16_e32 0x80, v41
; %bb.12797:                            ;   in Loop: Header=BB6_10858 Depth=3
	s_mov_b32 s17, 0x7f800001
	s_xor_b32 s13, exec_lo, -1
; %bb.12798:                            ;   in Loop: Header=BB6_10858 Depth=3
	s_or_b32 exec_lo, exec_lo, s34
	s_delay_alu instid0(SALU_CYCLE_1)
	s_and_b32 s13, s13, exec_lo
	s_or_saveexec_b32 s31, s31
	v_mov_b32_e32 v44, s17
	s_xor_b32 exec_lo, exec_lo, s31
	s_cbranch_execz .LBB6_11010
.LBB6_12799:                            ;   in Loop: Header=BB6_10858 Depth=3
	v_cmp_ne_u16_e32 vcc_lo, 0, v41
	v_mov_b32_e32 v44, 0
	s_and_not1_b32 s13, s13, exec_lo
	s_and_b32 s17, vcc_lo, exec_lo
	s_delay_alu instid0(SALU_CYCLE_1)
	s_or_b32 s13, s13, s17
	s_or_b32 exec_lo, exec_lo, s31
	s_and_saveexec_b32 s17, s13
	s_cbranch_execnz .LBB6_11011
	s_branch .LBB6_11012
.LBB6_12800:                            ;   in Loop: Header=BB6_10858 Depth=3
	s_mov_b32 s13, -1
	s_mov_b32 s34, exec_lo
                                        ; implicit-def: $sgpr17
	v_cmpx_eq_u16_e32 0x80, v42
; %bb.12801:                            ;   in Loop: Header=BB6_10858 Depth=3
	s_mov_b32 s17, 0x7f800001
	s_xor_b32 s13, exec_lo, -1
; %bb.12802:                            ;   in Loop: Header=BB6_10858 Depth=3
	s_or_b32 exec_lo, exec_lo, s34
	s_delay_alu instid0(SALU_CYCLE_1)
	s_and_b32 s13, s13, exec_lo
	s_or_saveexec_b32 s31, s31
	v_mov_b32_e32 v43, s17
	s_xor_b32 exec_lo, exec_lo, s31
	s_cbranch_execz .LBB6_11017
.LBB6_12803:                            ;   in Loop: Header=BB6_10858 Depth=3
	v_cmp_ne_u16_e32 vcc_lo, 0, v42
	v_mov_b32_e32 v43, 0
	s_and_not1_b32 s13, s13, exec_lo
	s_and_b32 s17, vcc_lo, exec_lo
	s_delay_alu instid0(SALU_CYCLE_1)
	s_or_b32 s13, s13, s17
	s_or_b32 exec_lo, exec_lo, s31
	s_and_saveexec_b32 s17, s13
	s_cbranch_execnz .LBB6_11018
	s_branch .LBB6_11019
.LBB6_12804:                            ;   in Loop: Header=BB6_10858 Depth=3
	s_mov_b32 s13, -1
	s_mov_b32 s34, exec_lo
                                        ; implicit-def: $sgpr17
	v_cmpx_eq_u16_e32 0x80, v41
; %bb.12805:                            ;   in Loop: Header=BB6_10858 Depth=3
	s_mov_b32 s17, 0x7f800001
	s_xor_b32 s13, exec_lo, -1
; %bb.12806:                            ;   in Loop: Header=BB6_10858 Depth=3
	s_or_b32 exec_lo, exec_lo, s34
	s_delay_alu instid0(SALU_CYCLE_1)
	s_and_b32 s13, s13, exec_lo
	s_or_saveexec_b32 s31, s31
	v_mov_b32_e32 v42, s17
	s_xor_b32 exec_lo, exec_lo, s31
	s_cbranch_execz .LBB6_11021
.LBB6_12807:                            ;   in Loop: Header=BB6_10858 Depth=3
	v_cmp_ne_u16_e32 vcc_lo, 0, v41
	v_mov_b32_e32 v42, 0
	s_and_not1_b32 s13, s13, exec_lo
	s_and_b32 s17, vcc_lo, exec_lo
	s_delay_alu instid0(SALU_CYCLE_1)
	s_or_b32 s13, s13, s17
	s_or_b32 exec_lo, exec_lo, s31
	s_and_saveexec_b32 s17, s13
	s_cbranch_execnz .LBB6_11022
	s_branch .LBB6_11023
.LBB6_12808:                            ;   in Loop: Header=BB6_10858 Depth=3
	s_mov_b32 s13, -1
	s_mov_b32 s34, exec_lo
                                        ; implicit-def: $sgpr17
	v_cmpx_eq_u16_e32 0x80, v45
; %bb.12809:                            ;   in Loop: Header=BB6_10858 Depth=3
	s_mov_b32 s17, 0x7f800001
	s_xor_b32 s13, exec_lo, -1
; %bb.12810:                            ;   in Loop: Header=BB6_10858 Depth=3
	s_or_b32 exec_lo, exec_lo, s34
	s_delay_alu instid0(SALU_CYCLE_1)
	s_and_b32 s13, s13, exec_lo
                                        ; implicit-def: $vgpr45
	s_or_saveexec_b32 s31, s31
	v_mov_b32_e32 v44, s17
	s_xor_b32 exec_lo, exec_lo, s31
	s_cbranch_execz .LBB6_11035
.LBB6_12811:                            ;   in Loop: Header=BB6_10858 Depth=3
	v_cmp_ne_u16_e32 vcc_lo, 0, v45
	v_mov_b32_e32 v44, 0
	s_and_not1_b32 s13, s13, exec_lo
	s_and_b32 s17, vcc_lo, exec_lo
	s_delay_alu instid0(SALU_CYCLE_1)
	s_or_b32 s13, s13, s17
	s_or_b32 exec_lo, exec_lo, s31
	s_and_saveexec_b32 s17, s13
	s_cbranch_execnz .LBB6_11036
	s_branch .LBB6_11037
.LBB6_12812:                            ;   in Loop: Header=BB6_10858 Depth=3
	s_mov_b32 s13, -1
	s_mov_b32 s34, exec_lo
                                        ; implicit-def: $sgpr17
	v_cmpx_eq_u16_e32 0x80, v46
; %bb.12813:                            ;   in Loop: Header=BB6_10858 Depth=3
	s_mov_b32 s17, 0x7f800001
	s_xor_b32 s13, exec_lo, -1
; %bb.12814:                            ;   in Loop: Header=BB6_10858 Depth=3
	s_or_b32 exec_lo, exec_lo, s34
	s_delay_alu instid0(SALU_CYCLE_1)
	s_and_b32 s13, s13, exec_lo
                                        ; implicit-def: $vgpr46
	s_or_saveexec_b32 s31, s31
	v_mov_b32_e32 v45, s17
	s_xor_b32 exec_lo, exec_lo, s31
	s_cbranch_execz .LBB6_11039
.LBB6_12815:                            ;   in Loop: Header=BB6_10858 Depth=3
	v_cmp_ne_u16_e32 vcc_lo, 0, v46
	v_mov_b32_e32 v45, 0
	s_and_not1_b32 s13, s13, exec_lo
	s_and_b32 s17, vcc_lo, exec_lo
	s_delay_alu instid0(SALU_CYCLE_1)
	s_or_b32 s13, s13, s17
	s_or_b32 exec_lo, exec_lo, s31
	s_and_saveexec_b32 s17, s13
	s_cbranch_execnz .LBB6_11040
	s_branch .LBB6_11041
.LBB6_12816:                            ;   in Loop: Header=BB6_10858 Depth=3
	s_mov_b32 s13, -1
	s_mov_b32 s34, exec_lo
                                        ; implicit-def: $sgpr17
	v_cmpx_eq_u16_e32 0x80, v45
; %bb.12817:                            ;   in Loop: Header=BB6_10858 Depth=3
	s_mov_b32 s17, 0x7f800001
	s_xor_b32 s13, exec_lo, -1
; %bb.12818:                            ;   in Loop: Header=BB6_10858 Depth=3
	s_or_b32 exec_lo, exec_lo, s34
	s_delay_alu instid0(SALU_CYCLE_1)
	s_and_b32 s13, s13, exec_lo
                                        ; implicit-def: $vgpr45
	s_or_saveexec_b32 s31, s31
	v_mov_b32_e32 v44, s17
	s_xor_b32 exec_lo, exec_lo, s31
	s_cbranch_execz .LBB6_11046
.LBB6_12819:                            ;   in Loop: Header=BB6_10858 Depth=3
	v_cmp_ne_u16_e32 vcc_lo, 0, v45
	v_mov_b32_e32 v44, 0
	s_and_not1_b32 s13, s13, exec_lo
	s_and_b32 s17, vcc_lo, exec_lo
	s_delay_alu instid0(SALU_CYCLE_1)
	s_or_b32 s13, s13, s17
	s_or_b32 exec_lo, exec_lo, s31
	s_and_saveexec_b32 s17, s13
	s_cbranch_execnz .LBB6_11047
	s_branch .LBB6_11048
.LBB6_12820:                            ;   in Loop: Header=BB6_10858 Depth=3
	s_mov_b32 s13, -1
	s_mov_b32 s34, exec_lo
                                        ; implicit-def: $sgpr17
	v_cmpx_eq_u16_e32 0x80, v45
; %bb.12821:                            ;   in Loop: Header=BB6_10858 Depth=3
	s_mov_b32 s17, 0x7f800001
	s_xor_b32 s13, exec_lo, -1
; %bb.12822:                            ;   in Loop: Header=BB6_10858 Depth=3
	s_or_b32 exec_lo, exec_lo, s34
	s_delay_alu instid0(SALU_CYCLE_1)
	s_and_b32 s13, s13, exec_lo
                                        ; implicit-def: $vgpr45
	s_or_saveexec_b32 s31, s31
	v_mov_b32_e32 v43, s17
	s_xor_b32 exec_lo, exec_lo, s31
	s_cbranch_execz .LBB6_11050
.LBB6_12823:                            ;   in Loop: Header=BB6_10858 Depth=3
	v_cmp_ne_u16_e32 vcc_lo, 0, v45
	v_mov_b32_e32 v43, 0
	s_and_not1_b32 s13, s13, exec_lo
	s_and_b32 s17, vcc_lo, exec_lo
	s_delay_alu instid0(SALU_CYCLE_1)
	s_or_b32 s13, s13, s17
	s_or_b32 exec_lo, exec_lo, s31
	s_and_saveexec_b32 s17, s13
	s_cbranch_execnz .LBB6_11051
	s_branch .LBB6_11052
.LBB6_12824:                            ;   in Loop: Header=BB6_10858 Depth=3
	s_mov_b32 s13, -1
	s_mov_b32 s34, exec_lo
                                        ; implicit-def: $sgpr17
	v_cmpx_eq_u16_e32 0x80, v44
; %bb.12825:                            ;   in Loop: Header=BB6_10858 Depth=3
	s_mov_b32 s17, 0x7f800001
	s_xor_b32 s13, exec_lo, -1
; %bb.12826:                            ;   in Loop: Header=BB6_10858 Depth=3
	s_or_b32 exec_lo, exec_lo, s34
	s_delay_alu instid0(SALU_CYCLE_1)
	s_and_b32 s13, s13, exec_lo
	s_or_saveexec_b32 s31, s31
	v_mov_b32_e32 v45, s17
	s_xor_b32 exec_lo, exec_lo, s31
	s_cbranch_execz .LBB6_11064
.LBB6_12827:                            ;   in Loop: Header=BB6_10858 Depth=3
	v_cmp_ne_u16_e32 vcc_lo, 0, v44
	v_mov_b32_e32 v45, 0
	s_and_not1_b32 s13, s13, exec_lo
	s_and_b32 s17, vcc_lo, exec_lo
	s_delay_alu instid0(SALU_CYCLE_1)
	s_or_b32 s13, s13, s17
	s_or_b32 exec_lo, exec_lo, s31
	s_and_saveexec_b32 s17, s13
	s_cbranch_execnz .LBB6_11065
	s_branch .LBB6_11066
.LBB6_12828:                            ;   in Loop: Header=BB6_10858 Depth=3
	s_mov_b32 s13, -1
	s_mov_b32 s34, exec_lo
                                        ; implicit-def: $sgpr17
	v_cmpx_eq_u16_e32 0x80, v43
; %bb.12829:                            ;   in Loop: Header=BB6_10858 Depth=3
	s_mov_b32 s17, 0x7f800001
	s_xor_b32 s13, exec_lo, -1
; %bb.12830:                            ;   in Loop: Header=BB6_10858 Depth=3
	s_or_b32 exec_lo, exec_lo, s34
	s_delay_alu instid0(SALU_CYCLE_1)
	s_and_b32 s13, s13, exec_lo
	s_or_saveexec_b32 s31, s31
	v_mov_b32_e32 v46, s17
	s_xor_b32 exec_lo, exec_lo, s31
	s_cbranch_execz .LBB6_11068
.LBB6_12831:                            ;   in Loop: Header=BB6_10858 Depth=3
	v_cmp_ne_u16_e32 vcc_lo, 0, v43
	v_mov_b32_e32 v46, 0
	s_and_not1_b32 s13, s13, exec_lo
	s_and_b32 s17, vcc_lo, exec_lo
	s_delay_alu instid0(SALU_CYCLE_1)
	s_or_b32 s13, s13, s17
	s_or_b32 exec_lo, exec_lo, s31
	s_and_saveexec_b32 s17, s13
	s_cbranch_execnz .LBB6_11069
	s_branch .LBB6_11070
.LBB6_12832:                            ;   in Loop: Header=BB6_10858 Depth=3
	s_mov_b32 s13, -1
	s_mov_b32 s34, exec_lo
                                        ; implicit-def: $sgpr17
	v_cmpx_eq_u16_e32 0x80, v44
; %bb.12833:                            ;   in Loop: Header=BB6_10858 Depth=3
	s_mov_b32 s17, 0x7f800001
	s_xor_b32 s13, exec_lo, -1
; %bb.12834:                            ;   in Loop: Header=BB6_10858 Depth=3
	s_or_b32 exec_lo, exec_lo, s34
	s_delay_alu instid0(SALU_CYCLE_1)
	s_and_b32 s13, s13, exec_lo
	s_or_saveexec_b32 s31, s31
	v_mov_b32_e32 v45, s17
	s_xor_b32 exec_lo, exec_lo, s31
	s_cbranch_execz .LBB6_11075
.LBB6_12835:                            ;   in Loop: Header=BB6_10858 Depth=3
	v_cmp_ne_u16_e32 vcc_lo, 0, v44
	v_mov_b32_e32 v45, 0
	s_and_not1_b32 s13, s13, exec_lo
	s_and_b32 s17, vcc_lo, exec_lo
	s_delay_alu instid0(SALU_CYCLE_1)
	s_or_b32 s13, s13, s17
	s_or_b32 exec_lo, exec_lo, s31
	s_and_saveexec_b32 s17, s13
	s_cbranch_execnz .LBB6_11076
	s_branch .LBB6_11077
.LBB6_12836:                            ;   in Loop: Header=BB6_10858 Depth=3
	s_mov_b32 s13, -1
	s_mov_b32 s34, exec_lo
                                        ; implicit-def: $sgpr17
	v_cmpx_eq_u16_e32 0x80, v43
; %bb.12837:                            ;   in Loop: Header=BB6_10858 Depth=3
	s_mov_b32 s17, 0x7f800001
	s_xor_b32 s13, exec_lo, -1
; %bb.12838:                            ;   in Loop: Header=BB6_10858 Depth=3
	s_or_b32 exec_lo, exec_lo, s34
	s_delay_alu instid0(SALU_CYCLE_1)
	s_and_b32 s13, s13, exec_lo
	s_or_saveexec_b32 s31, s31
	v_mov_b32_e32 v49, s17
	s_xor_b32 exec_lo, exec_lo, s31
	s_cbranch_execz .LBB6_11079
.LBB6_12839:                            ;   in Loop: Header=BB6_10858 Depth=3
	v_cmp_ne_u16_e32 vcc_lo, 0, v43
	v_mov_b32_e32 v49, 0
	s_and_not1_b32 s13, s13, exec_lo
	s_and_b32 s17, vcc_lo, exec_lo
	s_delay_alu instid0(SALU_CYCLE_1)
	s_or_b32 s13, s13, s17
	s_or_b32 exec_lo, exec_lo, s31
	s_and_saveexec_b32 s17, s13
	s_cbranch_execnz .LBB6_11080
	s_branch .LBB6_11081
.LBB6_12840:                            ;   in Loop: Header=BB6_10858 Depth=3
	s_mov_b32 s13, -1
	s_mov_b32 s34, exec_lo
                                        ; implicit-def: $sgpr17
	v_cmpx_eq_u16_e32 0x80, v43
; %bb.12841:                            ;   in Loop: Header=BB6_10858 Depth=3
	s_mov_b32 s17, 0x7f800001
	s_xor_b32 s13, exec_lo, -1
; %bb.12842:                            ;   in Loop: Header=BB6_10858 Depth=3
	s_or_b32 exec_lo, exec_lo, s34
	s_delay_alu instid0(SALU_CYCLE_1)
	s_and_b32 s13, s13, exec_lo
                                        ; implicit-def: $vgpr43
	s_or_saveexec_b32 s31, s31
	v_mov_b32_e32 v49, s17
	s_xor_b32 exec_lo, exec_lo, s31
	s_cbranch_execz .LBB6_11093
.LBB6_12843:                            ;   in Loop: Header=BB6_10858 Depth=3
	v_cmp_ne_u16_e32 vcc_lo, 0, v43
	v_mov_b32_e32 v49, 0
	s_and_not1_b32 s13, s13, exec_lo
	s_and_b32 s17, vcc_lo, exec_lo
	s_delay_alu instid0(SALU_CYCLE_1)
	s_or_b32 s13, s13, s17
	s_or_b32 exec_lo, exec_lo, s31
	s_and_saveexec_b32 s17, s13
	s_cbranch_execnz .LBB6_11094
	s_branch .LBB6_11095
.LBB6_12844:                            ;   in Loop: Header=BB6_10858 Depth=3
	s_mov_b32 s13, -1
	s_mov_b32 s34, exec_lo
                                        ; implicit-def: $sgpr17
	v_cmpx_eq_u16_e32 0x80, v44
; %bb.12845:                            ;   in Loop: Header=BB6_10858 Depth=3
	s_mov_b32 s17, 0x7f800001
	s_xor_b32 s13, exec_lo, -1
; %bb.12846:                            ;   in Loop: Header=BB6_10858 Depth=3
	s_or_b32 exec_lo, exec_lo, s34
	s_delay_alu instid0(SALU_CYCLE_1)
	s_and_b32 s13, s13, exec_lo
                                        ; implicit-def: $vgpr44
	s_or_saveexec_b32 s31, s31
	v_mov_b32_e32 v43, s17
	s_xor_b32 exec_lo, exec_lo, s31
	s_cbranch_execz .LBB6_11097
.LBB6_12847:                            ;   in Loop: Header=BB6_10858 Depth=3
	v_cmp_ne_u16_e32 vcc_lo, 0, v44
	v_mov_b32_e32 v43, 0
	s_and_not1_b32 s13, s13, exec_lo
	s_and_b32 s17, vcc_lo, exec_lo
	s_delay_alu instid0(SALU_CYCLE_1)
	s_or_b32 s13, s13, s17
	s_or_b32 exec_lo, exec_lo, s31
	s_and_saveexec_b32 s17, s13
	s_cbranch_execnz .LBB6_11098
	s_branch .LBB6_11099
.LBB6_12848:                            ;   in Loop: Header=BB6_10858 Depth=3
	s_mov_b32 s13, -1
	s_mov_b32 s34, exec_lo
                                        ; implicit-def: $sgpr17
	v_cmpx_eq_u16_e32 0x80, v43
; %bb.12849:                            ;   in Loop: Header=BB6_10858 Depth=3
	s_mov_b32 s17, 0x7f800001
	s_xor_b32 s13, exec_lo, -1
; %bb.12850:                            ;   in Loop: Header=BB6_10858 Depth=3
	s_or_b32 exec_lo, exec_lo, s34
	s_delay_alu instid0(SALU_CYCLE_1)
	s_and_b32 s13, s13, exec_lo
                                        ; implicit-def: $vgpr43
	s_or_saveexec_b32 s31, s31
	v_mov_b32_e32 v49, s17
	s_xor_b32 exec_lo, exec_lo, s31
	s_cbranch_execz .LBB6_11104
.LBB6_12851:                            ;   in Loop: Header=BB6_10858 Depth=3
	v_cmp_ne_u16_e32 vcc_lo, 0, v43
	v_mov_b32_e32 v49, 0
	s_and_not1_b32 s13, s13, exec_lo
	s_and_b32 s17, vcc_lo, exec_lo
	s_delay_alu instid0(SALU_CYCLE_1)
	s_or_b32 s13, s13, s17
	s_or_b32 exec_lo, exec_lo, s31
	s_and_saveexec_b32 s17, s13
	s_cbranch_execnz .LBB6_11105
	s_branch .LBB6_11106
.LBB6_12852:                            ;   in Loop: Header=BB6_10858 Depth=3
	s_mov_b32 s13, -1
	s_mov_b32 s34, exec_lo
                                        ; implicit-def: $sgpr17
	v_cmpx_eq_u16_e32 0x80, v44
; %bb.12853:                            ;   in Loop: Header=BB6_10858 Depth=3
	s_mov_b32 s17, 0x7f800001
	s_xor_b32 s13, exec_lo, -1
; %bb.12854:                            ;   in Loop: Header=BB6_10858 Depth=3
	s_or_b32 exec_lo, exec_lo, s34
	s_delay_alu instid0(SALU_CYCLE_1)
	s_and_b32 s13, s13, exec_lo
                                        ; implicit-def: $vgpr44
	s_or_saveexec_b32 s31, s31
	v_mov_b32_e32 v43, s17
	s_xor_b32 exec_lo, exec_lo, s31
	s_cbranch_execz .LBB6_11108
.LBB6_12855:                            ;   in Loop: Header=BB6_10858 Depth=3
	v_cmp_ne_u16_e32 vcc_lo, 0, v44
	v_mov_b32_e32 v43, 0
	s_and_not1_b32 s13, s13, exec_lo
	s_and_b32 s17, vcc_lo, exec_lo
	s_delay_alu instid0(SALU_CYCLE_1)
	s_or_b32 s13, s13, s17
	s_or_b32 exec_lo, exec_lo, s31
	s_and_saveexec_b32 s17, s13
	s_cbranch_execnz .LBB6_11109
	s_branch .LBB6_11110
.LBB6_12856:                            ;   in Loop: Header=BB6_10858 Depth=3
	s_mov_b32 s13, -1
	s_mov_b32 s34, exec_lo
                                        ; implicit-def: $sgpr17
	v_cmpx_eq_u16_e32 0x80, v44
; %bb.12857:                            ;   in Loop: Header=BB6_10858 Depth=3
	s_mov_b32 s17, 0x7f800001
	s_xor_b32 s13, exec_lo, -1
; %bb.12858:                            ;   in Loop: Header=BB6_10858 Depth=3
	s_or_b32 exec_lo, exec_lo, s34
	s_delay_alu instid0(SALU_CYCLE_1)
	s_and_b32 s13, s13, exec_lo
	s_or_saveexec_b32 s31, s31
	v_mov_b32_e32 v45, s17
	s_xor_b32 exec_lo, exec_lo, s31
	s_cbranch_execz .LBB6_11122
.LBB6_12859:                            ;   in Loop: Header=BB6_10858 Depth=3
	v_cmp_ne_u16_e32 vcc_lo, 0, v44
	v_mov_b32_e32 v45, 0
	s_and_not1_b32 s13, s13, exec_lo
	s_and_b32 s17, vcc_lo, exec_lo
	s_delay_alu instid0(SALU_CYCLE_1)
	s_or_b32 s13, s13, s17
	s_or_b32 exec_lo, exec_lo, s31
	s_and_saveexec_b32 s17, s13
	s_cbranch_execnz .LBB6_11123
	s_branch .LBB6_11124
.LBB6_12860:                            ;   in Loop: Header=BB6_10858 Depth=3
	s_mov_b32 s13, -1
	s_mov_b32 s34, exec_lo
                                        ; implicit-def: $sgpr17
	v_cmpx_eq_u16_e32 0x80, v43
; %bb.12861:                            ;   in Loop: Header=BB6_10858 Depth=3
	s_mov_b32 s17, 0x7f800001
	s_xor_b32 s13, exec_lo, -1
; %bb.12862:                            ;   in Loop: Header=BB6_10858 Depth=3
	s_or_b32 exec_lo, exec_lo, s34
	s_delay_alu instid0(SALU_CYCLE_1)
	s_and_b32 s13, s13, exec_lo
	s_or_saveexec_b32 s31, s31
	v_mov_b32_e32 v46, s17
	s_xor_b32 exec_lo, exec_lo, s31
	s_cbranch_execz .LBB6_11126
.LBB6_12863:                            ;   in Loop: Header=BB6_10858 Depth=3
	v_cmp_ne_u16_e32 vcc_lo, 0, v43
	v_mov_b32_e32 v46, 0
	s_and_not1_b32 s13, s13, exec_lo
	s_and_b32 s17, vcc_lo, exec_lo
	s_delay_alu instid0(SALU_CYCLE_1)
	s_or_b32 s13, s13, s17
	s_or_b32 exec_lo, exec_lo, s31
	s_and_saveexec_b32 s17, s13
	s_cbranch_execnz .LBB6_11127
	s_branch .LBB6_11128
.LBB6_12864:                            ;   in Loop: Header=BB6_10858 Depth=3
	s_mov_b32 s13, -1
	s_mov_b32 s34, exec_lo
                                        ; implicit-def: $sgpr17
	v_cmpx_eq_u16_e32 0x80, v44
; %bb.12865:                            ;   in Loop: Header=BB6_10858 Depth=3
	s_mov_b32 s17, 0x7f800001
	s_xor_b32 s13, exec_lo, -1
; %bb.12866:                            ;   in Loop: Header=BB6_10858 Depth=3
	s_or_b32 exec_lo, exec_lo, s34
	s_delay_alu instid0(SALU_CYCLE_1)
	s_and_b32 s13, s13, exec_lo
	s_or_saveexec_b32 s31, s31
	v_mov_b32_e32 v45, s17
	s_xor_b32 exec_lo, exec_lo, s31
	s_cbranch_execz .LBB6_11133
.LBB6_12867:                            ;   in Loop: Header=BB6_10858 Depth=3
	v_cmp_ne_u16_e32 vcc_lo, 0, v44
	v_mov_b32_e32 v45, 0
	s_and_not1_b32 s13, s13, exec_lo
	s_and_b32 s17, vcc_lo, exec_lo
	s_delay_alu instid0(SALU_CYCLE_1)
	s_or_b32 s13, s13, s17
	s_or_b32 exec_lo, exec_lo, s31
	s_and_saveexec_b32 s17, s13
	s_cbranch_execnz .LBB6_11134
	s_branch .LBB6_11135
.LBB6_12868:                            ;   in Loop: Header=BB6_10858 Depth=3
	s_mov_b32 s13, -1
	s_mov_b32 s34, exec_lo
                                        ; implicit-def: $sgpr17
	v_cmpx_eq_u16_e32 0x80, v43
; %bb.12869:                            ;   in Loop: Header=BB6_10858 Depth=3
	s_mov_b32 s17, 0x7f800001
	s_xor_b32 s13, exec_lo, -1
; %bb.12870:                            ;   in Loop: Header=BB6_10858 Depth=3
	s_or_b32 exec_lo, exec_lo, s34
	s_delay_alu instid0(SALU_CYCLE_1)
	s_and_b32 s13, s13, exec_lo
	s_or_saveexec_b32 s31, s31
	v_mov_b32_e32 v44, s17
	s_xor_b32 exec_lo, exec_lo, s31
	s_cbranch_execz .LBB6_11137
.LBB6_12871:                            ;   in Loop: Header=BB6_10858 Depth=3
	v_cmp_ne_u16_e32 vcc_lo, 0, v43
	v_mov_b32_e32 v44, 0
	s_and_not1_b32 s13, s13, exec_lo
	s_and_b32 s17, vcc_lo, exec_lo
	s_delay_alu instid0(SALU_CYCLE_1)
	s_or_b32 s13, s13, s17
	s_or_b32 exec_lo, exec_lo, s31
	s_and_saveexec_b32 s17, s13
	s_cbranch_execnz .LBB6_11138
	s_branch .LBB6_11139
.LBB6_12872:                            ;   in Loop: Header=BB6_10858 Depth=3
	s_mov_b32 s13, -1
	s_mov_b32 s34, exec_lo
                                        ; implicit-def: $sgpr17
	v_cmpx_eq_u16_e32 0x80, v47
; %bb.12873:                            ;   in Loop: Header=BB6_10858 Depth=3
	s_mov_b32 s17, 0x7f800001
	s_xor_b32 s13, exec_lo, -1
; %bb.12874:                            ;   in Loop: Header=BB6_10858 Depth=3
	s_or_b32 exec_lo, exec_lo, s34
	s_delay_alu instid0(SALU_CYCLE_1)
	s_and_b32 s13, s13, exec_lo
                                        ; implicit-def: $vgpr47
	s_or_saveexec_b32 s31, s31
	v_mov_b32_e32 v46, s17
	s_xor_b32 exec_lo, exec_lo, s31
	s_cbranch_execz .LBB6_11151
.LBB6_12875:                            ;   in Loop: Header=BB6_10858 Depth=3
	v_cmp_ne_u16_e32 vcc_lo, 0, v47
	v_mov_b32_e32 v46, 0
	s_and_not1_b32 s13, s13, exec_lo
	s_and_b32 s17, vcc_lo, exec_lo
	s_delay_alu instid0(SALU_CYCLE_1)
	s_or_b32 s13, s13, s17
	s_or_b32 exec_lo, exec_lo, s31
	s_and_saveexec_b32 s17, s13
	s_cbranch_execnz .LBB6_11152
	s_branch .LBB6_11153
.LBB6_12876:                            ;   in Loop: Header=BB6_10858 Depth=3
	s_mov_b32 s13, -1
	s_mov_b32 s34, exec_lo
                                        ; implicit-def: $sgpr17
	v_cmpx_eq_u16_e32 0x80, v56
; %bb.12877:                            ;   in Loop: Header=BB6_10858 Depth=3
	s_mov_b32 s17, 0x7f800001
	s_xor_b32 s13, exec_lo, -1
; %bb.12878:                            ;   in Loop: Header=BB6_10858 Depth=3
	s_or_b32 exec_lo, exec_lo, s34
	s_delay_alu instid0(SALU_CYCLE_1)
	s_and_b32 s13, s13, exec_lo
                                        ; implicit-def: $vgpr56
	s_or_saveexec_b32 s31, s31
	v_mov_b32_e32 v47, s17
	s_xor_b32 exec_lo, exec_lo, s31
	s_cbranch_execz .LBB6_11155
.LBB6_12879:                            ;   in Loop: Header=BB6_10858 Depth=3
	v_cmp_ne_u16_e32 vcc_lo, 0, v56
	v_mov_b32_e32 v47, 0
	s_and_not1_b32 s13, s13, exec_lo
	s_and_b32 s17, vcc_lo, exec_lo
	s_delay_alu instid0(SALU_CYCLE_1)
	s_or_b32 s13, s13, s17
	s_or_b32 exec_lo, exec_lo, s31
	s_and_saveexec_b32 s17, s13
	s_cbranch_execnz .LBB6_11156
	s_branch .LBB6_11157
.LBB6_12880:                            ;   in Loop: Header=BB6_10858 Depth=3
	s_mov_b32 s13, -1
	s_mov_b32 s34, exec_lo
                                        ; implicit-def: $sgpr17
	v_cmpx_eq_u16_e32 0x80, v47
; %bb.12881:                            ;   in Loop: Header=BB6_10858 Depth=3
	s_mov_b32 s17, 0x7f800001
	s_xor_b32 s13, exec_lo, -1
; %bb.12882:                            ;   in Loop: Header=BB6_10858 Depth=3
	s_or_b32 exec_lo, exec_lo, s34
	s_delay_alu instid0(SALU_CYCLE_1)
	s_and_b32 s13, s13, exec_lo
                                        ; implicit-def: $vgpr47
	s_or_saveexec_b32 s31, s31
	v_mov_b32_e32 v46, s17
	s_xor_b32 exec_lo, exec_lo, s31
	s_cbranch_execz .LBB6_11162
.LBB6_12883:                            ;   in Loop: Header=BB6_10858 Depth=3
	v_cmp_ne_u16_e32 vcc_lo, 0, v47
	v_mov_b32_e32 v46, 0
	s_and_not1_b32 s13, s13, exec_lo
	s_and_b32 s17, vcc_lo, exec_lo
	s_delay_alu instid0(SALU_CYCLE_1)
	s_or_b32 s13, s13, s17
	s_or_b32 exec_lo, exec_lo, s31
	s_and_saveexec_b32 s17, s13
	s_cbranch_execnz .LBB6_11163
	s_branch .LBB6_11164
.LBB6_12884:                            ;   in Loop: Header=BB6_10858 Depth=3
	s_mov_b32 s13, -1
	s_mov_b32 s34, exec_lo
                                        ; implicit-def: $sgpr17
	v_cmpx_eq_u16_e32 0x80, v47
; %bb.12885:                            ;   in Loop: Header=BB6_10858 Depth=3
	s_mov_b32 s17, 0x7f800001
	s_xor_b32 s13, exec_lo, -1
; %bb.12886:                            ;   in Loop: Header=BB6_10858 Depth=3
	s_or_b32 exec_lo, exec_lo, s34
	s_delay_alu instid0(SALU_CYCLE_1)
	s_and_b32 s13, s13, exec_lo
                                        ; implicit-def: $vgpr47
	s_or_saveexec_b32 s31, s31
	v_mov_b32_e32 v45, s17
	s_xor_b32 exec_lo, exec_lo, s31
	s_cbranch_execz .LBB6_11166
.LBB6_12887:                            ;   in Loop: Header=BB6_10858 Depth=3
	v_cmp_ne_u16_e32 vcc_lo, 0, v47
	v_mov_b32_e32 v45, 0
	s_and_not1_b32 s13, s13, exec_lo
	s_and_b32 s17, vcc_lo, exec_lo
	s_delay_alu instid0(SALU_CYCLE_1)
	s_or_b32 s13, s13, s17
	s_or_b32 exec_lo, exec_lo, s31
	s_and_saveexec_b32 s17, s13
	s_cbranch_execnz .LBB6_11167
	s_branch .LBB6_11168
.LBB6_12888:                            ;   in Loop: Header=BB6_10858 Depth=3
	s_mov_b32 s13, -1
	s_mov_b32 s34, exec_lo
                                        ; implicit-def: $sgpr17
	v_cmpx_eq_u16_e32 0x80, v46
; %bb.12889:                            ;   in Loop: Header=BB6_10858 Depth=3
	s_mov_b32 s17, 0x7f800001
	s_xor_b32 s13, exec_lo, -1
; %bb.12890:                            ;   in Loop: Header=BB6_10858 Depth=3
	s_or_b32 exec_lo, exec_lo, s34
	s_delay_alu instid0(SALU_CYCLE_1)
	s_and_b32 s13, s13, exec_lo
	s_or_saveexec_b32 s31, s31
	v_mov_b32_e32 v47, s17
	s_xor_b32 exec_lo, exec_lo, s31
	s_cbranch_execz .LBB6_11180
.LBB6_12891:                            ;   in Loop: Header=BB6_10858 Depth=3
	v_cmp_ne_u16_e32 vcc_lo, 0, v46
	v_mov_b32_e32 v47, 0
	s_and_not1_b32 s13, s13, exec_lo
	s_and_b32 s17, vcc_lo, exec_lo
	s_delay_alu instid0(SALU_CYCLE_1)
	s_or_b32 s13, s13, s17
	s_or_b32 exec_lo, exec_lo, s31
	s_and_saveexec_b32 s17, s13
	s_cbranch_execnz .LBB6_11181
	s_branch .LBB6_11182
.LBB6_12892:                            ;   in Loop: Header=BB6_10858 Depth=3
	s_mov_b32 s13, -1
	s_mov_b32 s34, exec_lo
                                        ; implicit-def: $sgpr17
	v_cmpx_eq_u16_e32 0x80, v45
; %bb.12893:                            ;   in Loop: Header=BB6_10858 Depth=3
	s_mov_b32 s17, 0x7f800001
	s_xor_b32 s13, exec_lo, -1
; %bb.12894:                            ;   in Loop: Header=BB6_10858 Depth=3
	s_or_b32 exec_lo, exec_lo, s34
	s_delay_alu instid0(SALU_CYCLE_1)
	s_and_b32 s13, s13, exec_lo
	s_or_saveexec_b32 s31, s31
	v_mov_b32_e32 v56, s17
	s_xor_b32 exec_lo, exec_lo, s31
	s_cbranch_execz .LBB6_11184
.LBB6_12895:                            ;   in Loop: Header=BB6_10858 Depth=3
	v_cmp_ne_u16_e32 vcc_lo, 0, v45
	v_mov_b32_e32 v56, 0
	s_and_not1_b32 s13, s13, exec_lo
	s_and_b32 s17, vcc_lo, exec_lo
	s_delay_alu instid0(SALU_CYCLE_1)
	s_or_b32 s13, s13, s17
	s_or_b32 exec_lo, exec_lo, s31
	s_and_saveexec_b32 s17, s13
	s_cbranch_execnz .LBB6_11185
	s_branch .LBB6_11186
.LBB6_12896:                            ;   in Loop: Header=BB6_10858 Depth=3
	s_mov_b32 s13, -1
	s_mov_b32 s34, exec_lo
                                        ; implicit-def: $sgpr17
	v_cmpx_eq_u16_e32 0x80, v46
; %bb.12897:                            ;   in Loop: Header=BB6_10858 Depth=3
	s_mov_b32 s17, 0x7f800001
	s_xor_b32 s13, exec_lo, -1
; %bb.12898:                            ;   in Loop: Header=BB6_10858 Depth=3
	s_or_b32 exec_lo, exec_lo, s34
	s_delay_alu instid0(SALU_CYCLE_1)
	s_and_b32 s13, s13, exec_lo
	s_or_saveexec_b32 s31, s31
	v_mov_b32_e32 v47, s17
	s_xor_b32 exec_lo, exec_lo, s31
	s_cbranch_execz .LBB6_11191
.LBB6_12899:                            ;   in Loop: Header=BB6_10858 Depth=3
	v_cmp_ne_u16_e32 vcc_lo, 0, v46
	v_mov_b32_e32 v47, 0
	s_and_not1_b32 s13, s13, exec_lo
	s_and_b32 s17, vcc_lo, exec_lo
	s_delay_alu instid0(SALU_CYCLE_1)
	s_or_b32 s13, s13, s17
	s_or_b32 exec_lo, exec_lo, s31
	s_and_saveexec_b32 s17, s13
	s_cbranch_execnz .LBB6_11192
	s_branch .LBB6_11193
.LBB6_12900:                            ;   in Loop: Header=BB6_10858 Depth=3
	s_mov_b32 s13, -1
	s_mov_b32 s34, exec_lo
                                        ; implicit-def: $sgpr17
	v_cmpx_eq_u16_e32 0x80, v45
; %bb.12901:                            ;   in Loop: Header=BB6_10858 Depth=3
	s_mov_b32 s17, 0x7f800001
	s_xor_b32 s13, exec_lo, -1
; %bb.12902:                            ;   in Loop: Header=BB6_10858 Depth=3
	s_or_b32 exec_lo, exec_lo, s34
	s_delay_alu instid0(SALU_CYCLE_1)
	s_and_b32 s13, s13, exec_lo
	s_or_saveexec_b32 s31, s31
	v_mov_b32_e32 v50, s17
	s_xor_b32 exec_lo, exec_lo, s31
	s_cbranch_execz .LBB6_11195
.LBB6_12903:                            ;   in Loop: Header=BB6_10858 Depth=3
	v_cmp_ne_u16_e32 vcc_lo, 0, v45
	v_mov_b32_e32 v50, 0
	s_and_not1_b32 s13, s13, exec_lo
	s_and_b32 s17, vcc_lo, exec_lo
	s_delay_alu instid0(SALU_CYCLE_1)
	s_or_b32 s13, s13, s17
	s_or_b32 exec_lo, exec_lo, s31
	s_and_saveexec_b32 s17, s13
	s_cbranch_execnz .LBB6_11196
	s_branch .LBB6_11197
.LBB6_12904:                            ;   in Loop: Header=BB6_10858 Depth=3
	s_mov_b32 s13, -1
	s_mov_b32 s34, exec_lo
                                        ; implicit-def: $sgpr17
	v_cmpx_eq_u16_e32 0x80, v45
; %bb.12905:                            ;   in Loop: Header=BB6_10858 Depth=3
	s_mov_b32 s17, 0x7f800001
	s_xor_b32 s13, exec_lo, -1
; %bb.12906:                            ;   in Loop: Header=BB6_10858 Depth=3
	s_or_b32 exec_lo, exec_lo, s34
	s_delay_alu instid0(SALU_CYCLE_1)
	s_and_b32 s13, s13, exec_lo
                                        ; implicit-def: $vgpr45
	s_or_saveexec_b32 s31, s31
	v_mov_b32_e32 v50, s17
	s_xor_b32 exec_lo, exec_lo, s31
	s_cbranch_execz .LBB6_11209
.LBB6_12907:                            ;   in Loop: Header=BB6_10858 Depth=3
	v_cmp_ne_u16_e32 vcc_lo, 0, v45
	v_mov_b32_e32 v50, 0
	s_and_not1_b32 s13, s13, exec_lo
	s_and_b32 s17, vcc_lo, exec_lo
	s_delay_alu instid0(SALU_CYCLE_1)
	s_or_b32 s13, s13, s17
	s_or_b32 exec_lo, exec_lo, s31
	s_and_saveexec_b32 s17, s13
	s_cbranch_execnz .LBB6_11210
	s_branch .LBB6_11211
.LBB6_12908:                            ;   in Loop: Header=BB6_10858 Depth=3
	s_mov_b32 s13, -1
	s_mov_b32 s34, exec_lo
                                        ; implicit-def: $sgpr17
	v_cmpx_eq_u16_e32 0x80, v46
; %bb.12909:                            ;   in Loop: Header=BB6_10858 Depth=3
	s_mov_b32 s17, 0x7f800001
	s_xor_b32 s13, exec_lo, -1
; %bb.12910:                            ;   in Loop: Header=BB6_10858 Depth=3
	s_or_b32 exec_lo, exec_lo, s34
	s_delay_alu instid0(SALU_CYCLE_1)
	s_and_b32 s13, s13, exec_lo
                                        ; implicit-def: $vgpr46
	s_or_saveexec_b32 s31, s31
	v_mov_b32_e32 v45, s17
	s_xor_b32 exec_lo, exec_lo, s31
	s_cbranch_execz .LBB6_11213
.LBB6_12911:                            ;   in Loop: Header=BB6_10858 Depth=3
	v_cmp_ne_u16_e32 vcc_lo, 0, v46
	v_mov_b32_e32 v45, 0
	s_and_not1_b32 s13, s13, exec_lo
	s_and_b32 s17, vcc_lo, exec_lo
	s_delay_alu instid0(SALU_CYCLE_1)
	s_or_b32 s13, s13, s17
	s_or_b32 exec_lo, exec_lo, s31
	s_and_saveexec_b32 s17, s13
	s_cbranch_execnz .LBB6_11214
	s_branch .LBB6_11215
.LBB6_12912:                            ;   in Loop: Header=BB6_10858 Depth=3
	s_mov_b32 s13, -1
	s_mov_b32 s34, exec_lo
                                        ; implicit-def: $sgpr17
	v_cmpx_eq_u16_e32 0x80, v45
; %bb.12913:                            ;   in Loop: Header=BB6_10858 Depth=3
	s_mov_b32 s17, 0x7f800001
	s_xor_b32 s13, exec_lo, -1
; %bb.12914:                            ;   in Loop: Header=BB6_10858 Depth=3
	s_or_b32 exec_lo, exec_lo, s34
	s_delay_alu instid0(SALU_CYCLE_1)
	s_and_b32 s13, s13, exec_lo
                                        ; implicit-def: $vgpr45
	s_or_saveexec_b32 s31, s31
	v_mov_b32_e32 v50, s17
	s_xor_b32 exec_lo, exec_lo, s31
	s_cbranch_execz .LBB6_11220
.LBB6_12915:                            ;   in Loop: Header=BB6_10858 Depth=3
	v_cmp_ne_u16_e32 vcc_lo, 0, v45
	v_mov_b32_e32 v50, 0
	s_and_not1_b32 s13, s13, exec_lo
	s_and_b32 s17, vcc_lo, exec_lo
	s_delay_alu instid0(SALU_CYCLE_1)
	s_or_b32 s13, s13, s17
	s_or_b32 exec_lo, exec_lo, s31
	s_and_saveexec_b32 s17, s13
	s_cbranch_execnz .LBB6_11221
	s_branch .LBB6_11222
.LBB6_12916:                            ;   in Loop: Header=BB6_10858 Depth=3
	s_mov_b32 s13, -1
	s_mov_b32 s34, exec_lo
                                        ; implicit-def: $sgpr17
	v_cmpx_eq_u16_e32 0x80, v46
; %bb.12917:                            ;   in Loop: Header=BB6_10858 Depth=3
	s_mov_b32 s17, 0x7f800001
	s_xor_b32 s13, exec_lo, -1
; %bb.12918:                            ;   in Loop: Header=BB6_10858 Depth=3
	s_or_b32 exec_lo, exec_lo, s34
	s_delay_alu instid0(SALU_CYCLE_1)
	s_and_b32 s13, s13, exec_lo
                                        ; implicit-def: $vgpr46
	s_or_saveexec_b32 s31, s31
	v_mov_b32_e32 v45, s17
	s_xor_b32 exec_lo, exec_lo, s31
	s_cbranch_execz .LBB6_11224
.LBB6_12919:                            ;   in Loop: Header=BB6_10858 Depth=3
	v_cmp_ne_u16_e32 vcc_lo, 0, v46
	v_mov_b32_e32 v45, 0
	s_and_not1_b32 s13, s13, exec_lo
	s_and_b32 s17, vcc_lo, exec_lo
	s_delay_alu instid0(SALU_CYCLE_1)
	s_or_b32 s13, s13, s17
	s_or_b32 exec_lo, exec_lo, s31
	s_and_saveexec_b32 s17, s13
	s_cbranch_execnz .LBB6_11225
	s_branch .LBB6_11226
.LBB6_12920:                            ;   in Loop: Header=BB6_10858 Depth=3
	s_mov_b32 s13, -1
	s_mov_b32 s34, exec_lo
                                        ; implicit-def: $sgpr17
	v_cmpx_eq_u16_e32 0x80, v46
; %bb.12921:                            ;   in Loop: Header=BB6_10858 Depth=3
	s_mov_b32 s17, 0x7f800001
	s_xor_b32 s13, exec_lo, -1
; %bb.12922:                            ;   in Loop: Header=BB6_10858 Depth=3
	s_or_b32 exec_lo, exec_lo, s34
	s_delay_alu instid0(SALU_CYCLE_1)
	s_and_b32 s13, s13, exec_lo
	s_or_saveexec_b32 s31, s31
	v_mov_b32_e32 v47, s17
	s_xor_b32 exec_lo, exec_lo, s31
	s_cbranch_execz .LBB6_11238
.LBB6_12923:                            ;   in Loop: Header=BB6_10858 Depth=3
	v_cmp_ne_u16_e32 vcc_lo, 0, v46
	v_mov_b32_e32 v47, 0
	s_and_not1_b32 s13, s13, exec_lo
	s_and_b32 s17, vcc_lo, exec_lo
	s_delay_alu instid0(SALU_CYCLE_1)
	s_or_b32 s13, s13, s17
	s_or_b32 exec_lo, exec_lo, s31
	s_and_saveexec_b32 s17, s13
	s_cbranch_execnz .LBB6_11239
	s_branch .LBB6_11240
.LBB6_12924:                            ;   in Loop: Header=BB6_10858 Depth=3
	s_mov_b32 s13, -1
	s_mov_b32 s34, exec_lo
                                        ; implicit-def: $sgpr17
	v_cmpx_eq_u16_e32 0x80, v45
; %bb.12925:                            ;   in Loop: Header=BB6_10858 Depth=3
	s_mov_b32 s17, 0x7f800001
	s_xor_b32 s13, exec_lo, -1
; %bb.12926:                            ;   in Loop: Header=BB6_10858 Depth=3
	s_or_b32 exec_lo, exec_lo, s34
	s_delay_alu instid0(SALU_CYCLE_1)
	s_and_b32 s13, s13, exec_lo
	s_or_saveexec_b32 s31, s31
	v_mov_b32_e32 v56, s17
	s_xor_b32 exec_lo, exec_lo, s31
	s_cbranch_execz .LBB6_11242
.LBB6_12927:                            ;   in Loop: Header=BB6_10858 Depth=3
	v_cmp_ne_u16_e32 vcc_lo, 0, v45
	v_mov_b32_e32 v56, 0
	s_and_not1_b32 s13, s13, exec_lo
	s_and_b32 s17, vcc_lo, exec_lo
	s_delay_alu instid0(SALU_CYCLE_1)
	s_or_b32 s13, s13, s17
	s_or_b32 exec_lo, exec_lo, s31
	s_and_saveexec_b32 s17, s13
	s_cbranch_execnz .LBB6_11243
	s_branch .LBB6_11244
.LBB6_12928:                            ;   in Loop: Header=BB6_10858 Depth=3
	s_mov_b32 s13, -1
	s_mov_b32 s34, exec_lo
                                        ; implicit-def: $sgpr17
	v_cmpx_eq_u16_e32 0x80, v46
; %bb.12929:                            ;   in Loop: Header=BB6_10858 Depth=3
	s_mov_b32 s17, 0x7f800001
	s_xor_b32 s13, exec_lo, -1
; %bb.12930:                            ;   in Loop: Header=BB6_10858 Depth=3
	s_or_b32 exec_lo, exec_lo, s34
	s_delay_alu instid0(SALU_CYCLE_1)
	s_and_b32 s13, s13, exec_lo
	s_or_saveexec_b32 s31, s31
	v_mov_b32_e32 v47, s17
	s_xor_b32 exec_lo, exec_lo, s31
	s_cbranch_execz .LBB6_11249
.LBB6_12931:                            ;   in Loop: Header=BB6_10858 Depth=3
	v_cmp_ne_u16_e32 vcc_lo, 0, v46
	v_mov_b32_e32 v47, 0
	s_and_not1_b32 s13, s13, exec_lo
	s_and_b32 s17, vcc_lo, exec_lo
	s_delay_alu instid0(SALU_CYCLE_1)
	s_or_b32 s13, s13, s17
	s_or_b32 exec_lo, exec_lo, s31
	s_and_saveexec_b32 s17, s13
	s_cbranch_execnz .LBB6_11250
	s_branch .LBB6_11251
.LBB6_12932:                            ;   in Loop: Header=BB6_10858 Depth=3
	s_mov_b32 s13, -1
	s_mov_b32 s34, exec_lo
                                        ; implicit-def: $sgpr17
	v_cmpx_eq_u16_e32 0x80, v45
; %bb.12933:                            ;   in Loop: Header=BB6_10858 Depth=3
	s_mov_b32 s17, 0x7f800001
	s_xor_b32 s13, exec_lo, -1
; %bb.12934:                            ;   in Loop: Header=BB6_10858 Depth=3
	s_or_b32 exec_lo, exec_lo, s34
	s_delay_alu instid0(SALU_CYCLE_1)
	s_and_b32 s13, s13, exec_lo
	s_or_saveexec_b32 s31, s31
	v_mov_b32_e32 v46, s17
	s_xor_b32 exec_lo, exec_lo, s31
	s_cbranch_execz .LBB6_11253
.LBB6_12935:                            ;   in Loop: Header=BB6_10858 Depth=3
	v_cmp_ne_u16_e32 vcc_lo, 0, v45
	v_mov_b32_e32 v46, 0
	s_and_not1_b32 s13, s13, exec_lo
	s_and_b32 s17, vcc_lo, exec_lo
	s_delay_alu instid0(SALU_CYCLE_1)
	s_or_b32 s13, s13, s17
	s_or_b32 exec_lo, exec_lo, s31
	s_and_saveexec_b32 s17, s13
	s_cbranch_execnz .LBB6_11254
	s_branch .LBB6_11255
.LBB6_12936:                            ;   in Loop: Header=BB6_10858 Depth=3
	s_mov_b32 s13, -1
	s_mov_b32 s34, exec_lo
                                        ; implicit-def: $sgpr17
	v_cmpx_eq_u16_e32 0x80, v57
; %bb.12937:                            ;   in Loop: Header=BB6_10858 Depth=3
	s_mov_b32 s17, 0x7f800001
	s_xor_b32 s13, exec_lo, -1
; %bb.12938:                            ;   in Loop: Header=BB6_10858 Depth=3
	s_or_b32 exec_lo, exec_lo, s34
	s_delay_alu instid0(SALU_CYCLE_1)
	s_and_b32 s13, s13, exec_lo
                                        ; implicit-def: $vgpr57
	s_or_saveexec_b32 s31, s31
	v_mov_b32_e32 v56, s17
	s_xor_b32 exec_lo, exec_lo, s31
	s_cbranch_execz .LBB6_11267
.LBB6_12939:                            ;   in Loop: Header=BB6_10858 Depth=3
	v_cmp_ne_u16_e32 vcc_lo, 0, v57
	v_mov_b32_e32 v56, 0
	s_and_not1_b32 s13, s13, exec_lo
	s_and_b32 s17, vcc_lo, exec_lo
	s_delay_alu instid0(SALU_CYCLE_1)
	s_or_b32 s13, s13, s17
	s_or_b32 exec_lo, exec_lo, s31
	s_and_saveexec_b32 s17, s13
	s_cbranch_execnz .LBB6_11268
	s_branch .LBB6_11269
.LBB6_12940:                            ;   in Loop: Header=BB6_10858 Depth=3
	s_mov_b32 s13, -1
	s_mov_b32 s34, exec_lo
                                        ; implicit-def: $sgpr17
	v_cmpx_eq_u16_e32 0x80, v58
; %bb.12941:                            ;   in Loop: Header=BB6_10858 Depth=3
	s_mov_b32 s17, 0x7f800001
	s_xor_b32 s13, exec_lo, -1
; %bb.12942:                            ;   in Loop: Header=BB6_10858 Depth=3
	s_or_b32 exec_lo, exec_lo, s34
	s_delay_alu instid0(SALU_CYCLE_1)
	s_and_b32 s13, s13, exec_lo
                                        ; implicit-def: $vgpr58
	s_or_saveexec_b32 s31, s31
	v_mov_b32_e32 v57, s17
	s_xor_b32 exec_lo, exec_lo, s31
	s_cbranch_execz .LBB6_11271
.LBB6_12943:                            ;   in Loop: Header=BB6_10858 Depth=3
	v_cmp_ne_u16_e32 vcc_lo, 0, v58
	v_mov_b32_e32 v57, 0
	s_and_not1_b32 s13, s13, exec_lo
	s_and_b32 s17, vcc_lo, exec_lo
	s_delay_alu instid0(SALU_CYCLE_1)
	s_or_b32 s13, s13, s17
	s_or_b32 exec_lo, exec_lo, s31
	s_and_saveexec_b32 s17, s13
	s_cbranch_execnz .LBB6_11272
	s_branch .LBB6_11273
.LBB6_12944:                            ;   in Loop: Header=BB6_10858 Depth=3
	s_mov_b32 s13, -1
	s_mov_b32 s34, exec_lo
                                        ; implicit-def: $sgpr17
	v_cmpx_eq_u16_e32 0x80, v57
; %bb.12945:                            ;   in Loop: Header=BB6_10858 Depth=3
	s_mov_b32 s17, 0x7f800001
	s_xor_b32 s13, exec_lo, -1
; %bb.12946:                            ;   in Loop: Header=BB6_10858 Depth=3
	s_or_b32 exec_lo, exec_lo, s34
	s_delay_alu instid0(SALU_CYCLE_1)
	s_and_b32 s13, s13, exec_lo
                                        ; implicit-def: $vgpr57
	s_or_saveexec_b32 s31, s31
	v_mov_b32_e32 v56, s17
	s_xor_b32 exec_lo, exec_lo, s31
	s_cbranch_execz .LBB6_11278
.LBB6_12947:                            ;   in Loop: Header=BB6_10858 Depth=3
	v_cmp_ne_u16_e32 vcc_lo, 0, v57
	v_mov_b32_e32 v56, 0
	s_and_not1_b32 s13, s13, exec_lo
	s_and_b32 s17, vcc_lo, exec_lo
	s_delay_alu instid0(SALU_CYCLE_1)
	s_or_b32 s13, s13, s17
	s_or_b32 exec_lo, exec_lo, s31
	s_and_saveexec_b32 s17, s13
	s_cbranch_execnz .LBB6_11279
	s_branch .LBB6_11280
.LBB6_12948:                            ;   in Loop: Header=BB6_10858 Depth=3
	s_mov_b32 s13, -1
	s_mov_b32 s34, exec_lo
                                        ; implicit-def: $sgpr17
	v_cmpx_eq_u16_e32 0x80, v57
; %bb.12949:                            ;   in Loop: Header=BB6_10858 Depth=3
	s_mov_b32 s17, 0x7f800001
	s_xor_b32 s13, exec_lo, -1
; %bb.12950:                            ;   in Loop: Header=BB6_10858 Depth=3
	s_or_b32 exec_lo, exec_lo, s34
	s_delay_alu instid0(SALU_CYCLE_1)
	s_and_b32 s13, s13, exec_lo
                                        ; implicit-def: $vgpr57
	s_or_saveexec_b32 s31, s31
	v_mov_b32_e32 v47, s17
	s_xor_b32 exec_lo, exec_lo, s31
	s_cbranch_execz .LBB6_11282
.LBB6_12951:                            ;   in Loop: Header=BB6_10858 Depth=3
	v_cmp_ne_u16_e32 vcc_lo, 0, v57
	v_mov_b32_e32 v47, 0
	s_and_not1_b32 s13, s13, exec_lo
	s_and_b32 s17, vcc_lo, exec_lo
	s_delay_alu instid0(SALU_CYCLE_1)
	s_or_b32 s13, s13, s17
	s_or_b32 exec_lo, exec_lo, s31
	s_and_saveexec_b32 s17, s13
	s_cbranch_execnz .LBB6_11283
	s_branch .LBB6_11284
.LBB6_12952:                            ;   in Loop: Header=BB6_10858 Depth=3
	s_mov_b32 s13, -1
	s_mov_b32 s34, exec_lo
                                        ; implicit-def: $sgpr17
	v_cmpx_eq_u16_e32 0x80, v56
; %bb.12953:                            ;   in Loop: Header=BB6_10858 Depth=3
	s_mov_b32 s17, 0x7f800001
	s_xor_b32 s13, exec_lo, -1
; %bb.12954:                            ;   in Loop: Header=BB6_10858 Depth=3
	s_or_b32 exec_lo, exec_lo, s34
	s_delay_alu instid0(SALU_CYCLE_1)
	s_and_b32 s13, s13, exec_lo
	s_or_saveexec_b32 s31, s31
	v_mov_b32_e32 v57, s17
	s_xor_b32 exec_lo, exec_lo, s31
	s_cbranch_execz .LBB6_11296
.LBB6_12955:                            ;   in Loop: Header=BB6_10858 Depth=3
	v_cmp_ne_u16_e32 vcc_lo, 0, v56
	v_mov_b32_e32 v57, 0
	s_and_not1_b32 s13, s13, exec_lo
	s_and_b32 s17, vcc_lo, exec_lo
	s_delay_alu instid0(SALU_CYCLE_1)
	s_or_b32 s13, s13, s17
	s_or_b32 exec_lo, exec_lo, s31
	s_and_saveexec_b32 s17, s13
	s_cbranch_execnz .LBB6_11297
	s_branch .LBB6_11298
.LBB6_12956:                            ;   in Loop: Header=BB6_10858 Depth=3
	s_mov_b32 s13, -1
	s_mov_b32 s34, exec_lo
                                        ; implicit-def: $sgpr17
	v_cmpx_eq_u16_e32 0x80, v47
; %bb.12957:                            ;   in Loop: Header=BB6_10858 Depth=3
	s_mov_b32 s17, 0x7f800001
	s_xor_b32 s13, exec_lo, -1
; %bb.12958:                            ;   in Loop: Header=BB6_10858 Depth=3
	s_or_b32 exec_lo, exec_lo, s34
	s_delay_alu instid0(SALU_CYCLE_1)
	s_and_b32 s13, s13, exec_lo
	s_or_saveexec_b32 s31, s31
	v_mov_b32_e32 v58, s17
	s_xor_b32 exec_lo, exec_lo, s31
	s_cbranch_execz .LBB6_11300
.LBB6_12959:                            ;   in Loop: Header=BB6_10858 Depth=3
	v_cmp_ne_u16_e32 vcc_lo, 0, v47
	v_mov_b32_e32 v58, 0
	s_and_not1_b32 s13, s13, exec_lo
	s_and_b32 s17, vcc_lo, exec_lo
	s_delay_alu instid0(SALU_CYCLE_1)
	s_or_b32 s13, s13, s17
	s_or_b32 exec_lo, exec_lo, s31
	s_and_saveexec_b32 s17, s13
	s_cbranch_execnz .LBB6_11301
	s_branch .LBB6_11302
.LBB6_12960:                            ;   in Loop: Header=BB6_10858 Depth=3
	s_mov_b32 s13, -1
	s_mov_b32 s34, exec_lo
                                        ; implicit-def: $sgpr17
	v_cmpx_eq_u16_e32 0x80, v56
; %bb.12961:                            ;   in Loop: Header=BB6_10858 Depth=3
	s_mov_b32 s17, 0x7f800001
	s_xor_b32 s13, exec_lo, -1
; %bb.12962:                            ;   in Loop: Header=BB6_10858 Depth=3
	s_or_b32 exec_lo, exec_lo, s34
	s_delay_alu instid0(SALU_CYCLE_1)
	s_and_b32 s13, s13, exec_lo
	s_or_saveexec_b32 s31, s31
	v_mov_b32_e32 v57, s17
	s_xor_b32 exec_lo, exec_lo, s31
	s_cbranch_execz .LBB6_11307
.LBB6_12963:                            ;   in Loop: Header=BB6_10858 Depth=3
	v_cmp_ne_u16_e32 vcc_lo, 0, v56
	v_mov_b32_e32 v57, 0
	s_and_not1_b32 s13, s13, exec_lo
	s_and_b32 s17, vcc_lo, exec_lo
	s_delay_alu instid0(SALU_CYCLE_1)
	s_or_b32 s13, s13, s17
	s_or_b32 exec_lo, exec_lo, s31
	s_and_saveexec_b32 s17, s13
	s_cbranch_execnz .LBB6_11308
	s_branch .LBB6_11309
.LBB6_12964:                            ;   in Loop: Header=BB6_10858 Depth=3
	s_mov_b32 s13, -1
	s_mov_b32 s34, exec_lo
                                        ; implicit-def: $sgpr17
	v_cmpx_eq_u16_e32 0x80, v47
; %bb.12965:                            ;   in Loop: Header=BB6_10858 Depth=3
	s_mov_b32 s17, 0x7f800001
	s_xor_b32 s13, exec_lo, -1
; %bb.12966:                            ;   in Loop: Header=BB6_10858 Depth=3
	s_or_b32 exec_lo, exec_lo, s34
	s_delay_alu instid0(SALU_CYCLE_1)
	s_and_b32 s13, s13, exec_lo
	s_or_saveexec_b32 s31, s31
	v_mov_b32_e32 v51, s17
	s_xor_b32 exec_lo, exec_lo, s31
	s_cbranch_execz .LBB6_11311
.LBB6_12967:                            ;   in Loop: Header=BB6_10858 Depth=3
	v_cmp_ne_u16_e32 vcc_lo, 0, v47
	v_mov_b32_e32 v51, 0
	s_and_not1_b32 s13, s13, exec_lo
	s_and_b32 s17, vcc_lo, exec_lo
	s_delay_alu instid0(SALU_CYCLE_1)
	s_or_b32 s13, s13, s17
	s_or_b32 exec_lo, exec_lo, s31
	s_and_saveexec_b32 s17, s13
	s_cbranch_execnz .LBB6_11312
	s_branch .LBB6_11313
.LBB6_12968:                            ;   in Loop: Header=BB6_10858 Depth=3
	s_mov_b32 s13, -1
	s_mov_b32 s34, exec_lo
                                        ; implicit-def: $sgpr17
	v_cmpx_eq_u16_e32 0x80, v47
; %bb.12969:                            ;   in Loop: Header=BB6_10858 Depth=3
	s_mov_b32 s17, 0x7f800001
	s_xor_b32 s13, exec_lo, -1
; %bb.12970:                            ;   in Loop: Header=BB6_10858 Depth=3
	s_or_b32 exec_lo, exec_lo, s34
	s_delay_alu instid0(SALU_CYCLE_1)
	s_and_b32 s13, s13, exec_lo
                                        ; implicit-def: $vgpr47
	s_or_saveexec_b32 s31, s31
	v_mov_b32_e32 v51, s17
	s_xor_b32 exec_lo, exec_lo, s31
	s_cbranch_execz .LBB6_11325
.LBB6_12971:                            ;   in Loop: Header=BB6_10858 Depth=3
	v_cmp_ne_u16_e32 vcc_lo, 0, v47
	v_mov_b32_e32 v51, 0
	s_and_not1_b32 s13, s13, exec_lo
	s_and_b32 s17, vcc_lo, exec_lo
	s_delay_alu instid0(SALU_CYCLE_1)
	s_or_b32 s13, s13, s17
	s_or_b32 exec_lo, exec_lo, s31
	s_and_saveexec_b32 s17, s13
	s_cbranch_execnz .LBB6_11326
	s_branch .LBB6_11327
.LBB6_12972:                            ;   in Loop: Header=BB6_10858 Depth=3
	s_mov_b32 s13, -1
	s_mov_b32 s34, exec_lo
                                        ; implicit-def: $sgpr17
	v_cmpx_eq_u16_e32 0x80, v56
; %bb.12973:                            ;   in Loop: Header=BB6_10858 Depth=3
	s_mov_b32 s17, 0x7f800001
	s_xor_b32 s13, exec_lo, -1
; %bb.12974:                            ;   in Loop: Header=BB6_10858 Depth=3
	s_or_b32 exec_lo, exec_lo, s34
	s_delay_alu instid0(SALU_CYCLE_1)
	s_and_b32 s13, s13, exec_lo
                                        ; implicit-def: $vgpr56
	s_or_saveexec_b32 s31, s31
	v_mov_b32_e32 v47, s17
	s_xor_b32 exec_lo, exec_lo, s31
	s_cbranch_execz .LBB6_11329
.LBB6_12975:                            ;   in Loop: Header=BB6_10858 Depth=3
	v_cmp_ne_u16_e32 vcc_lo, 0, v56
	v_mov_b32_e32 v47, 0
	s_and_not1_b32 s13, s13, exec_lo
	s_and_b32 s17, vcc_lo, exec_lo
	s_delay_alu instid0(SALU_CYCLE_1)
	s_or_b32 s13, s13, s17
	s_or_b32 exec_lo, exec_lo, s31
	s_and_saveexec_b32 s17, s13
	s_cbranch_execnz .LBB6_11330
	s_branch .LBB6_11331
.LBB6_12976:                            ;   in Loop: Header=BB6_10858 Depth=3
	s_mov_b32 s13, -1
	s_mov_b32 s34, exec_lo
                                        ; implicit-def: $sgpr17
	v_cmpx_eq_u16_e32 0x80, v47
; %bb.12977:                            ;   in Loop: Header=BB6_10858 Depth=3
	s_mov_b32 s17, 0x7f800001
	s_xor_b32 s13, exec_lo, -1
; %bb.12978:                            ;   in Loop: Header=BB6_10858 Depth=3
	s_or_b32 exec_lo, exec_lo, s34
	s_delay_alu instid0(SALU_CYCLE_1)
	s_and_b32 s13, s13, exec_lo
                                        ; implicit-def: $vgpr47
	s_or_saveexec_b32 s31, s31
	v_mov_b32_e32 v51, s17
	s_xor_b32 exec_lo, exec_lo, s31
	s_cbranch_execz .LBB6_11336
.LBB6_12979:                            ;   in Loop: Header=BB6_10858 Depth=3
	v_cmp_ne_u16_e32 vcc_lo, 0, v47
	v_mov_b32_e32 v51, 0
	s_and_not1_b32 s13, s13, exec_lo
	s_and_b32 s17, vcc_lo, exec_lo
	s_delay_alu instid0(SALU_CYCLE_1)
	s_or_b32 s13, s13, s17
	s_or_b32 exec_lo, exec_lo, s31
	s_and_saveexec_b32 s17, s13
	s_cbranch_execnz .LBB6_11337
	s_branch .LBB6_11338
.LBB6_12980:                            ;   in Loop: Header=BB6_10858 Depth=3
	s_mov_b32 s13, -1
	s_mov_b32 s34, exec_lo
                                        ; implicit-def: $sgpr17
	v_cmpx_eq_u16_e32 0x80, v56
; %bb.12981:                            ;   in Loop: Header=BB6_10858 Depth=3
	s_mov_b32 s17, 0x7f800001
	s_xor_b32 s13, exec_lo, -1
; %bb.12982:                            ;   in Loop: Header=BB6_10858 Depth=3
	s_or_b32 exec_lo, exec_lo, s34
	s_delay_alu instid0(SALU_CYCLE_1)
	s_and_b32 s13, s13, exec_lo
                                        ; implicit-def: $vgpr56
	s_or_saveexec_b32 s31, s31
	v_mov_b32_e32 v47, s17
	s_xor_b32 exec_lo, exec_lo, s31
	s_cbranch_execz .LBB6_11340
.LBB6_12983:                            ;   in Loop: Header=BB6_10858 Depth=3
	v_cmp_ne_u16_e32 vcc_lo, 0, v56
	v_mov_b32_e32 v47, 0
	s_and_not1_b32 s13, s13, exec_lo
	s_and_b32 s17, vcc_lo, exec_lo
	s_delay_alu instid0(SALU_CYCLE_1)
	s_or_b32 s13, s13, s17
	s_or_b32 exec_lo, exec_lo, s31
	s_and_saveexec_b32 s17, s13
	s_cbranch_execnz .LBB6_11341
	s_branch .LBB6_11342
.LBB6_12984:                            ;   in Loop: Header=BB6_10858 Depth=3
	s_mov_b32 s13, -1
	s_mov_b32 s34, exec_lo
                                        ; implicit-def: $sgpr17
	v_cmpx_eq_u16_e32 0x80, v56
; %bb.12985:                            ;   in Loop: Header=BB6_10858 Depth=3
	s_mov_b32 s17, 0x7f800001
	s_xor_b32 s13, exec_lo, -1
; %bb.12986:                            ;   in Loop: Header=BB6_10858 Depth=3
	s_or_b32 exec_lo, exec_lo, s34
	s_delay_alu instid0(SALU_CYCLE_1)
	s_and_b32 s13, s13, exec_lo
	s_or_saveexec_b32 s31, s31
	v_mov_b32_e32 v57, s17
	s_xor_b32 exec_lo, exec_lo, s31
	s_cbranch_execz .LBB6_11354
.LBB6_12987:                            ;   in Loop: Header=BB6_10858 Depth=3
	v_cmp_ne_u16_e32 vcc_lo, 0, v56
	v_mov_b32_e32 v57, 0
	s_and_not1_b32 s13, s13, exec_lo
	s_and_b32 s17, vcc_lo, exec_lo
	s_delay_alu instid0(SALU_CYCLE_1)
	s_or_b32 s13, s13, s17
	s_or_b32 exec_lo, exec_lo, s31
	s_and_saveexec_b32 s17, s13
	s_cbranch_execnz .LBB6_11355
	s_branch .LBB6_11356
.LBB6_12988:                            ;   in Loop: Header=BB6_10858 Depth=3
	s_mov_b32 s13, -1
	s_mov_b32 s34, exec_lo
                                        ; implicit-def: $sgpr17
	v_cmpx_eq_u16_e32 0x80, v47
; %bb.12989:                            ;   in Loop: Header=BB6_10858 Depth=3
	s_mov_b32 s17, 0x7f800001
	s_xor_b32 s13, exec_lo, -1
; %bb.12990:                            ;   in Loop: Header=BB6_10858 Depth=3
	s_or_b32 exec_lo, exec_lo, s34
	s_delay_alu instid0(SALU_CYCLE_1)
	s_and_b32 s13, s13, exec_lo
	s_or_saveexec_b32 s31, s31
	v_mov_b32_e32 v58, s17
	s_xor_b32 exec_lo, exec_lo, s31
	s_cbranch_execz .LBB6_11358
.LBB6_12991:                            ;   in Loop: Header=BB6_10858 Depth=3
	v_cmp_ne_u16_e32 vcc_lo, 0, v47
	v_mov_b32_e32 v58, 0
	s_and_not1_b32 s13, s13, exec_lo
	s_and_b32 s17, vcc_lo, exec_lo
	s_delay_alu instid0(SALU_CYCLE_1)
	s_or_b32 s13, s13, s17
	s_or_b32 exec_lo, exec_lo, s31
	s_and_saveexec_b32 s17, s13
	s_cbranch_execnz .LBB6_11359
	s_branch .LBB6_11360
.LBB6_12992:                            ;   in Loop: Header=BB6_10858 Depth=3
	s_mov_b32 s13, -1
	s_mov_b32 s34, exec_lo
                                        ; implicit-def: $sgpr17
	v_cmpx_eq_u16_e32 0x80, v56
; %bb.12993:                            ;   in Loop: Header=BB6_10858 Depth=3
	s_mov_b32 s17, 0x7f800001
	s_xor_b32 s13, exec_lo, -1
; %bb.12994:                            ;   in Loop: Header=BB6_10858 Depth=3
	s_or_b32 exec_lo, exec_lo, s34
	s_delay_alu instid0(SALU_CYCLE_1)
	s_and_b32 s13, s13, exec_lo
	s_or_saveexec_b32 s31, s31
	v_mov_b32_e32 v57, s17
	s_xor_b32 exec_lo, exec_lo, s31
	s_cbranch_execz .LBB6_11365
.LBB6_12995:                            ;   in Loop: Header=BB6_10858 Depth=3
	v_cmp_ne_u16_e32 vcc_lo, 0, v56
	v_mov_b32_e32 v57, 0
	s_and_not1_b32 s13, s13, exec_lo
	s_and_b32 s17, vcc_lo, exec_lo
	s_delay_alu instid0(SALU_CYCLE_1)
	s_or_b32 s13, s13, s17
	s_or_b32 exec_lo, exec_lo, s31
	s_and_saveexec_b32 s17, s13
	s_cbranch_execnz .LBB6_11366
	s_branch .LBB6_11367
.LBB6_12996:                            ;   in Loop: Header=BB6_10858 Depth=3
	s_mov_b32 s13, -1
	s_mov_b32 s34, exec_lo
                                        ; implicit-def: $sgpr17
	v_cmpx_eq_u16_e32 0x80, v47
; %bb.12997:                            ;   in Loop: Header=BB6_10858 Depth=3
	s_mov_b32 s17, 0x7f800001
	s_xor_b32 s13, exec_lo, -1
; %bb.12998:                            ;   in Loop: Header=BB6_10858 Depth=3
	s_or_b32 exec_lo, exec_lo, s34
	s_delay_alu instid0(SALU_CYCLE_1)
	s_and_b32 s13, s13, exec_lo
	s_or_saveexec_b32 s31, s31
	v_mov_b32_e32 v56, s17
	s_xor_b32 exec_lo, exec_lo, s31
	s_cbranch_execz .LBB6_11369
.LBB6_12999:                            ;   in Loop: Header=BB6_10858 Depth=3
	v_cmp_ne_u16_e32 vcc_lo, 0, v47
	v_mov_b32_e32 v56, 0
	s_and_not1_b32 s13, s13, exec_lo
	s_and_b32 s17, vcc_lo, exec_lo
	s_delay_alu instid0(SALU_CYCLE_1)
	s_or_b32 s13, s13, s17
	s_or_b32 exec_lo, exec_lo, s31
	s_and_saveexec_b32 s17, s13
	s_cbranch_execnz .LBB6_11370
	s_branch .LBB6_11371
.LBB6_13000:                            ;   in Loop: Header=BB6_10858 Depth=3
	s_mov_b32 s13, -1
	s_mov_b32 s34, exec_lo
                                        ; implicit-def: $sgpr17
	v_cmpx_eq_u16_e32 0x80, v59
; %bb.13001:                            ;   in Loop: Header=BB6_10858 Depth=3
	s_mov_b32 s17, 0x7f800001
	s_xor_b32 s13, exec_lo, -1
; %bb.13002:                            ;   in Loop: Header=BB6_10858 Depth=3
	s_or_b32 exec_lo, exec_lo, s34
	s_delay_alu instid0(SALU_CYCLE_1)
	s_and_b32 s13, s13, exec_lo
                                        ; implicit-def: $vgpr59
	s_or_saveexec_b32 s31, s31
	v_mov_b32_e32 v58, s17
	s_xor_b32 exec_lo, exec_lo, s31
	s_cbranch_execz .LBB6_11383
.LBB6_13003:                            ;   in Loop: Header=BB6_10858 Depth=3
	v_cmp_ne_u16_e32 vcc_lo, 0, v59
	v_mov_b32_e32 v58, 0
	s_and_not1_b32 s13, s13, exec_lo
	s_and_b32 s17, vcc_lo, exec_lo
	s_delay_alu instid0(SALU_CYCLE_1)
	s_or_b32 s13, s13, s17
	s_or_b32 exec_lo, exec_lo, s31
	s_and_saveexec_b32 s17, s13
	s_cbranch_execnz .LBB6_11384
	s_branch .LBB6_11385
.LBB6_13004:                            ;   in Loop: Header=BB6_10858 Depth=3
	s_mov_b32 s13, -1
	s_mov_b32 s34, exec_lo
                                        ; implicit-def: $sgpr17
	v_cmpx_eq_u16_e32 0x80, v60
; %bb.13005:                            ;   in Loop: Header=BB6_10858 Depth=3
	s_mov_b32 s17, 0x7f800001
	s_xor_b32 s13, exec_lo, -1
; %bb.13006:                            ;   in Loop: Header=BB6_10858 Depth=3
	s_or_b32 exec_lo, exec_lo, s34
	s_delay_alu instid0(SALU_CYCLE_1)
	s_and_b32 s13, s13, exec_lo
                                        ; implicit-def: $vgpr60
	s_or_saveexec_b32 s31, s31
	v_mov_b32_e32 v59, s17
	s_xor_b32 exec_lo, exec_lo, s31
	s_cbranch_execz .LBB6_11387
.LBB6_13007:                            ;   in Loop: Header=BB6_10858 Depth=3
	v_cmp_ne_u16_e32 vcc_lo, 0, v60
	v_mov_b32_e32 v59, 0
	s_and_not1_b32 s13, s13, exec_lo
	s_and_b32 s17, vcc_lo, exec_lo
	s_delay_alu instid0(SALU_CYCLE_1)
	s_or_b32 s13, s13, s17
	s_or_b32 exec_lo, exec_lo, s31
	s_and_saveexec_b32 s17, s13
	s_cbranch_execnz .LBB6_11388
	s_branch .LBB6_11389
.LBB6_13008:                            ;   in Loop: Header=BB6_10858 Depth=3
	s_mov_b32 s13, -1
	s_mov_b32 s34, exec_lo
                                        ; implicit-def: $sgpr17
	v_cmpx_eq_u16_e32 0x80, v59
; %bb.13009:                            ;   in Loop: Header=BB6_10858 Depth=3
	s_mov_b32 s17, 0x7f800001
	s_xor_b32 s13, exec_lo, -1
; %bb.13010:                            ;   in Loop: Header=BB6_10858 Depth=3
	s_or_b32 exec_lo, exec_lo, s34
	s_delay_alu instid0(SALU_CYCLE_1)
	s_and_b32 s13, s13, exec_lo
                                        ; implicit-def: $vgpr59
	s_or_saveexec_b32 s31, s31
	v_mov_b32_e32 v58, s17
	s_xor_b32 exec_lo, exec_lo, s31
	s_cbranch_execz .LBB6_11394
.LBB6_13011:                            ;   in Loop: Header=BB6_10858 Depth=3
	v_cmp_ne_u16_e32 vcc_lo, 0, v59
	v_mov_b32_e32 v58, 0
	s_and_not1_b32 s13, s13, exec_lo
	s_and_b32 s17, vcc_lo, exec_lo
	s_delay_alu instid0(SALU_CYCLE_1)
	s_or_b32 s13, s13, s17
	s_or_b32 exec_lo, exec_lo, s31
	s_and_saveexec_b32 s17, s13
	s_cbranch_execnz .LBB6_11395
	s_branch .LBB6_11396
.LBB6_13012:                            ;   in Loop: Header=BB6_10858 Depth=3
	s_mov_b32 s13, -1
	s_mov_b32 s34, exec_lo
                                        ; implicit-def: $sgpr17
	v_cmpx_eq_u16_e32 0x80, v59
; %bb.13013:                            ;   in Loop: Header=BB6_10858 Depth=3
	s_mov_b32 s17, 0x7f800001
	s_xor_b32 s13, exec_lo, -1
; %bb.13014:                            ;   in Loop: Header=BB6_10858 Depth=3
	s_or_b32 exec_lo, exec_lo, s34
	s_delay_alu instid0(SALU_CYCLE_1)
	s_and_b32 s13, s13, exec_lo
                                        ; implicit-def: $vgpr59
	s_or_saveexec_b32 s31, s31
	v_mov_b32_e32 v57, s17
	s_xor_b32 exec_lo, exec_lo, s31
	s_cbranch_execz .LBB6_11398
.LBB6_13015:                            ;   in Loop: Header=BB6_10858 Depth=3
	v_cmp_ne_u16_e32 vcc_lo, 0, v59
	v_mov_b32_e32 v57, 0
	s_and_not1_b32 s13, s13, exec_lo
	s_and_b32 s17, vcc_lo, exec_lo
	s_delay_alu instid0(SALU_CYCLE_1)
	s_or_b32 s13, s13, s17
	s_or_b32 exec_lo, exec_lo, s31
	s_and_saveexec_b32 s17, s13
	s_cbranch_execnz .LBB6_11399
	s_branch .LBB6_11400
.LBB6_13016:                            ;   in Loop: Header=BB6_10858 Depth=3
	s_mov_b32 s13, -1
	s_mov_b32 s34, exec_lo
                                        ; implicit-def: $sgpr17
	v_cmpx_eq_u16_e32 0x80, v58
; %bb.13017:                            ;   in Loop: Header=BB6_10858 Depth=3
	s_mov_b32 s17, 0x7f800001
	s_xor_b32 s13, exec_lo, -1
; %bb.13018:                            ;   in Loop: Header=BB6_10858 Depth=3
	s_or_b32 exec_lo, exec_lo, s34
	s_delay_alu instid0(SALU_CYCLE_1)
	s_and_b32 s13, s13, exec_lo
	s_or_saveexec_b32 s31, s31
	v_mov_b32_e32 v59, s17
	s_xor_b32 exec_lo, exec_lo, s31
	s_cbranch_execz .LBB6_11412
.LBB6_13019:                            ;   in Loop: Header=BB6_10858 Depth=3
	v_cmp_ne_u16_e32 vcc_lo, 0, v58
	v_mov_b32_e32 v59, 0
	s_and_not1_b32 s13, s13, exec_lo
	s_and_b32 s17, vcc_lo, exec_lo
	s_delay_alu instid0(SALU_CYCLE_1)
	s_or_b32 s13, s13, s17
	s_or_b32 exec_lo, exec_lo, s31
	s_and_saveexec_b32 s17, s13
	s_cbranch_execnz .LBB6_11413
	s_branch .LBB6_11414
.LBB6_13020:                            ;   in Loop: Header=BB6_10858 Depth=3
	s_mov_b32 s13, -1
	s_mov_b32 s34, exec_lo
                                        ; implicit-def: $sgpr17
	v_cmpx_eq_u16_e32 0x80, v57
; %bb.13021:                            ;   in Loop: Header=BB6_10858 Depth=3
	s_mov_b32 s17, 0x7f800001
	s_xor_b32 s13, exec_lo, -1
; %bb.13022:                            ;   in Loop: Header=BB6_10858 Depth=3
	s_or_b32 exec_lo, exec_lo, s34
	s_delay_alu instid0(SALU_CYCLE_1)
	s_and_b32 s13, s13, exec_lo
	s_or_saveexec_b32 s31, s31
	v_mov_b32_e32 v60, s17
	s_xor_b32 exec_lo, exec_lo, s31
	s_cbranch_execz .LBB6_11416
.LBB6_13023:                            ;   in Loop: Header=BB6_10858 Depth=3
	v_cmp_ne_u16_e32 vcc_lo, 0, v57
	v_mov_b32_e32 v60, 0
	s_and_not1_b32 s13, s13, exec_lo
	s_and_b32 s17, vcc_lo, exec_lo
	s_delay_alu instid0(SALU_CYCLE_1)
	s_or_b32 s13, s13, s17
	s_or_b32 exec_lo, exec_lo, s31
	s_and_saveexec_b32 s17, s13
	s_cbranch_execnz .LBB6_11417
	s_branch .LBB6_11418
.LBB6_13024:                            ;   in Loop: Header=BB6_10858 Depth=3
	s_mov_b32 s13, -1
	s_mov_b32 s34, exec_lo
                                        ; implicit-def: $sgpr17
	v_cmpx_eq_u16_e32 0x80, v58
; %bb.13025:                            ;   in Loop: Header=BB6_10858 Depth=3
	s_mov_b32 s17, 0x7f800001
	s_xor_b32 s13, exec_lo, -1
; %bb.13026:                            ;   in Loop: Header=BB6_10858 Depth=3
	s_or_b32 exec_lo, exec_lo, s34
	s_delay_alu instid0(SALU_CYCLE_1)
	s_and_b32 s13, s13, exec_lo
	s_or_saveexec_b32 s31, s31
	v_mov_b32_e32 v59, s17
	s_xor_b32 exec_lo, exec_lo, s31
	s_cbranch_execz .LBB6_11423
.LBB6_13027:                            ;   in Loop: Header=BB6_10858 Depth=3
	v_cmp_ne_u16_e32 vcc_lo, 0, v58
	v_mov_b32_e32 v59, 0
	s_and_not1_b32 s13, s13, exec_lo
	s_and_b32 s17, vcc_lo, exec_lo
	s_delay_alu instid0(SALU_CYCLE_1)
	s_or_b32 s13, s13, s17
	s_or_b32 exec_lo, exec_lo, s31
	s_and_saveexec_b32 s17, s13
	s_cbranch_execnz .LBB6_11424
	s_branch .LBB6_11425
.LBB6_13028:                            ;   in Loop: Header=BB6_10858 Depth=3
	s_mov_b32 s13, -1
	s_mov_b32 s34, exec_lo
                                        ; implicit-def: $sgpr17
	v_cmpx_eq_u16_e32 0x80, v57
; %bb.13029:                            ;   in Loop: Header=BB6_10858 Depth=3
	s_mov_b32 s17, 0x7f800001
	s_xor_b32 s13, exec_lo, -1
; %bb.13030:                            ;   in Loop: Header=BB6_10858 Depth=3
	s_or_b32 exec_lo, exec_lo, s34
	s_delay_alu instid0(SALU_CYCLE_1)
	s_and_b32 s13, s13, exec_lo
	s_or_saveexec_b32 s31, s31
	v_mov_b32_e32 v32, s17
	s_xor_b32 exec_lo, exec_lo, s31
	s_cbranch_execz .LBB6_11427
.LBB6_13031:                            ;   in Loop: Header=BB6_10858 Depth=3
	v_cmp_ne_u16_e32 vcc_lo, 0, v57
	v_mov_b32_e32 v32, 0
	s_and_not1_b32 s13, s13, exec_lo
	s_and_b32 s17, vcc_lo, exec_lo
	s_delay_alu instid0(SALU_CYCLE_1)
	s_or_b32 s13, s13, s17
	s_or_b32 exec_lo, exec_lo, s31
	s_and_saveexec_b32 s17, s13
	s_cbranch_execnz .LBB6_11428
	s_branch .LBB6_11429
.LBB6_13032:                            ;   in Loop: Header=BB6_10858 Depth=3
	s_mov_b32 s13, -1
	s_mov_b32 s34, exec_lo
                                        ; implicit-def: $sgpr17
	v_cmpx_eq_u16_e32 0x80, v57
; %bb.13033:                            ;   in Loop: Header=BB6_10858 Depth=3
	s_mov_b32 s17, 0x7f800001
	s_xor_b32 s13, exec_lo, -1
; %bb.13034:                            ;   in Loop: Header=BB6_10858 Depth=3
	s_or_b32 exec_lo, exec_lo, s34
	s_delay_alu instid0(SALU_CYCLE_1)
	s_and_b32 s13, s13, exec_lo
                                        ; implicit-def: $vgpr57
	s_or_saveexec_b32 s31, s31
	v_mov_b32_e32 v32, s17
	s_xor_b32 exec_lo, exec_lo, s31
	s_cbranch_execz .LBB6_11441
.LBB6_13035:                            ;   in Loop: Header=BB6_10858 Depth=3
	v_cmp_ne_u16_e32 vcc_lo, 0, v57
	v_mov_b32_e32 v32, 0
	s_and_not1_b32 s13, s13, exec_lo
	s_and_b32 s17, vcc_lo, exec_lo
	s_delay_alu instid0(SALU_CYCLE_1)
	s_or_b32 s13, s13, s17
	s_or_b32 exec_lo, exec_lo, s31
	s_and_saveexec_b32 s17, s13
	s_cbranch_execnz .LBB6_11442
	s_branch .LBB6_11443
.LBB6_13036:                            ;   in Loop: Header=BB6_10858 Depth=3
	s_mov_b32 s13, -1
	s_mov_b32 s34, exec_lo
                                        ; implicit-def: $sgpr17
	v_cmpx_eq_u16_e32 0x80, v58
; %bb.13037:                            ;   in Loop: Header=BB6_10858 Depth=3
	s_mov_b32 s17, 0x7f800001
	s_xor_b32 s13, exec_lo, -1
; %bb.13038:                            ;   in Loop: Header=BB6_10858 Depth=3
	s_or_b32 exec_lo, exec_lo, s34
	s_delay_alu instid0(SALU_CYCLE_1)
	s_and_b32 s13, s13, exec_lo
                                        ; implicit-def: $vgpr58
	s_or_saveexec_b32 s31, s31
	v_mov_b32_e32 v57, s17
	s_xor_b32 exec_lo, exec_lo, s31
	s_cbranch_execz .LBB6_11445
.LBB6_13039:                            ;   in Loop: Header=BB6_10858 Depth=3
	v_cmp_ne_u16_e32 vcc_lo, 0, v58
	v_mov_b32_e32 v57, 0
	s_and_not1_b32 s13, s13, exec_lo
	s_and_b32 s17, vcc_lo, exec_lo
	s_delay_alu instid0(SALU_CYCLE_1)
	s_or_b32 s13, s13, s17
	s_or_b32 exec_lo, exec_lo, s31
	s_and_saveexec_b32 s17, s13
	s_cbranch_execnz .LBB6_11446
	s_branch .LBB6_11447
.LBB6_13040:                            ;   in Loop: Header=BB6_10858 Depth=3
	s_mov_b32 s13, -1
	s_mov_b32 s34, exec_lo
                                        ; implicit-def: $sgpr17
	v_cmpx_eq_u16_e32 0x80, v57
; %bb.13041:                            ;   in Loop: Header=BB6_10858 Depth=3
	s_mov_b32 s17, 0x7f800001
	s_xor_b32 s13, exec_lo, -1
; %bb.13042:                            ;   in Loop: Header=BB6_10858 Depth=3
	s_or_b32 exec_lo, exec_lo, s34
	s_delay_alu instid0(SALU_CYCLE_1)
	s_and_b32 s13, s13, exec_lo
                                        ; implicit-def: $vgpr57
	s_or_saveexec_b32 s31, s31
	v_mov_b32_e32 v32, s17
	s_xor_b32 exec_lo, exec_lo, s31
	s_cbranch_execz .LBB6_11452
.LBB6_13043:                            ;   in Loop: Header=BB6_10858 Depth=3
	v_cmp_ne_u16_e32 vcc_lo, 0, v57
	v_mov_b32_e32 v32, 0
	s_and_not1_b32 s13, s13, exec_lo
	s_and_b32 s17, vcc_lo, exec_lo
	s_delay_alu instid0(SALU_CYCLE_1)
	s_or_b32 s13, s13, s17
	s_or_b32 exec_lo, exec_lo, s31
	s_and_saveexec_b32 s17, s13
	s_cbranch_execnz .LBB6_11453
	s_branch .LBB6_11454
.LBB6_13044:                            ;   in Loop: Header=BB6_10858 Depth=3
	s_mov_b32 s13, -1
	s_mov_b32 s34, exec_lo
                                        ; implicit-def: $sgpr17
	v_cmpx_eq_u16_e32 0x80, v58
; %bb.13045:                            ;   in Loop: Header=BB6_10858 Depth=3
	s_mov_b32 s17, 0x7f800001
	s_xor_b32 s13, exec_lo, -1
; %bb.13046:                            ;   in Loop: Header=BB6_10858 Depth=3
	s_or_b32 exec_lo, exec_lo, s34
	s_delay_alu instid0(SALU_CYCLE_1)
	s_and_b32 s13, s13, exec_lo
                                        ; implicit-def: $vgpr58
	s_or_saveexec_b32 s31, s31
	v_mov_b32_e32 v57, s17
	s_xor_b32 exec_lo, exec_lo, s31
	s_cbranch_execz .LBB6_11456
.LBB6_13047:                            ;   in Loop: Header=BB6_10858 Depth=3
	v_cmp_ne_u16_e32 vcc_lo, 0, v58
	v_mov_b32_e32 v57, 0
	s_and_not1_b32 s13, s13, exec_lo
	s_and_b32 s17, vcc_lo, exec_lo
	s_delay_alu instid0(SALU_CYCLE_1)
	s_or_b32 s13, s13, s17
	s_or_b32 exec_lo, exec_lo, s31
	s_and_saveexec_b32 s17, s13
	s_cbranch_execnz .LBB6_11457
	s_branch .LBB6_11458
.LBB6_13048:                            ;   in Loop: Header=BB6_10858 Depth=3
	s_mov_b32 s13, -1
	s_mov_b32 s34, exec_lo
                                        ; implicit-def: $sgpr17
	v_cmpx_eq_u16_e32 0x80, v58
; %bb.13049:                            ;   in Loop: Header=BB6_10858 Depth=3
	s_mov_b32 s17, 0x7f800001
	s_xor_b32 s13, exec_lo, -1
; %bb.13050:                            ;   in Loop: Header=BB6_10858 Depth=3
	s_or_b32 exec_lo, exec_lo, s34
	s_delay_alu instid0(SALU_CYCLE_1)
	s_and_b32 s13, s13, exec_lo
	s_or_saveexec_b32 s31, s31
	v_mov_b32_e32 v59, s17
	s_xor_b32 exec_lo, exec_lo, s31
	s_cbranch_execz .LBB6_11470
.LBB6_13051:                            ;   in Loop: Header=BB6_10858 Depth=3
	v_cmp_ne_u16_e32 vcc_lo, 0, v58
	v_mov_b32_e32 v59, 0
	s_and_not1_b32 s13, s13, exec_lo
	s_and_b32 s17, vcc_lo, exec_lo
	s_delay_alu instid0(SALU_CYCLE_1)
	s_or_b32 s13, s13, s17
	s_or_b32 exec_lo, exec_lo, s31
	s_and_saveexec_b32 s17, s13
	s_cbranch_execnz .LBB6_11471
	s_branch .LBB6_11472
.LBB6_13052:                            ;   in Loop: Header=BB6_10858 Depth=3
	s_mov_b32 s13, -1
	s_mov_b32 s34, exec_lo
                                        ; implicit-def: $sgpr17
	v_cmpx_eq_u16_e32 0x80, v57
; %bb.13053:                            ;   in Loop: Header=BB6_10858 Depth=3
	s_mov_b32 s17, 0x7f800001
	s_xor_b32 s13, exec_lo, -1
; %bb.13054:                            ;   in Loop: Header=BB6_10858 Depth=3
	s_or_b32 exec_lo, exec_lo, s34
	s_delay_alu instid0(SALU_CYCLE_1)
	s_and_b32 s13, s13, exec_lo
	s_or_saveexec_b32 s31, s31
	v_mov_b32_e32 v60, s17
	s_xor_b32 exec_lo, exec_lo, s31
	s_cbranch_execz .LBB6_11474
.LBB6_13055:                            ;   in Loop: Header=BB6_10858 Depth=3
	v_cmp_ne_u16_e32 vcc_lo, 0, v57
	v_mov_b32_e32 v60, 0
	s_and_not1_b32 s13, s13, exec_lo
	s_and_b32 s17, vcc_lo, exec_lo
	s_delay_alu instid0(SALU_CYCLE_1)
	s_or_b32 s13, s13, s17
	s_or_b32 exec_lo, exec_lo, s31
	s_and_saveexec_b32 s17, s13
	s_cbranch_execnz .LBB6_11475
	s_branch .LBB6_11476
.LBB6_13056:                            ;   in Loop: Header=BB6_10858 Depth=3
	s_mov_b32 s13, -1
	s_mov_b32 s34, exec_lo
                                        ; implicit-def: $sgpr17
	v_cmpx_eq_u16_e32 0x80, v58
; %bb.13057:                            ;   in Loop: Header=BB6_10858 Depth=3
	s_mov_b32 s17, 0x7f800001
	s_xor_b32 s13, exec_lo, -1
; %bb.13058:                            ;   in Loop: Header=BB6_10858 Depth=3
	s_or_b32 exec_lo, exec_lo, s34
	s_delay_alu instid0(SALU_CYCLE_1)
	s_and_b32 s13, s13, exec_lo
	s_or_saveexec_b32 s31, s31
	v_mov_b32_e32 v59, s17
	s_xor_b32 exec_lo, exec_lo, s31
	s_cbranch_execz .LBB6_11481
.LBB6_13059:                            ;   in Loop: Header=BB6_10858 Depth=3
	v_cmp_ne_u16_e32 vcc_lo, 0, v58
	v_mov_b32_e32 v59, 0
	s_and_not1_b32 s13, s13, exec_lo
	s_and_b32 s17, vcc_lo, exec_lo
	s_delay_alu instid0(SALU_CYCLE_1)
	s_or_b32 s13, s13, s17
	s_or_b32 exec_lo, exec_lo, s31
	s_and_saveexec_b32 s17, s13
	s_cbranch_execnz .LBB6_11482
	s_branch .LBB6_11483
.LBB6_13060:                            ;   in Loop: Header=BB6_10858 Depth=3
	s_mov_b32 s13, -1
	s_mov_b32 s34, exec_lo
                                        ; implicit-def: $sgpr17
	v_cmpx_eq_u16_e32 0x80, v57
; %bb.13061:                            ;   in Loop: Header=BB6_10858 Depth=3
	s_mov_b32 s17, 0x7f800001
	s_xor_b32 s13, exec_lo, -1
; %bb.13062:                            ;   in Loop: Header=BB6_10858 Depth=3
	s_or_b32 exec_lo, exec_lo, s34
	s_delay_alu instid0(SALU_CYCLE_1)
	s_and_b32 s13, s13, exec_lo
	s_or_saveexec_b32 s31, s31
	v_mov_b32_e32 v58, s17
	s_xor_b32 exec_lo, exec_lo, s31
	s_cbranch_execz .LBB6_11485
.LBB6_13063:                            ;   in Loop: Header=BB6_10858 Depth=3
	v_cmp_ne_u16_e32 vcc_lo, 0, v57
	v_mov_b32_e32 v58, 0
	s_and_not1_b32 s13, s13, exec_lo
	s_and_b32 s17, vcc_lo, exec_lo
	s_delay_alu instid0(SALU_CYCLE_1)
	s_or_b32 s13, s13, s17
	s_or_b32 exec_lo, exec_lo, s31
	s_and_saveexec_b32 s17, s13
	s_cbranch_execnz .LBB6_11486
	s_branch .LBB6_11487
.LBB6_13064:                            ;   in Loop: Header=BB6_10858 Depth=3
	s_mov_b32 s13, -1
	s_mov_b32 s34, exec_lo
                                        ; implicit-def: $sgpr17
	v_cmpx_eq_u16_e32 0x80, v61
; %bb.13065:                            ;   in Loop: Header=BB6_10858 Depth=3
	s_mov_b32 s17, 0x7f800001
	s_xor_b32 s13, exec_lo, -1
; %bb.13066:                            ;   in Loop: Header=BB6_10858 Depth=3
	s_or_b32 exec_lo, exec_lo, s34
	s_delay_alu instid0(SALU_CYCLE_1)
	s_and_b32 s13, s13, exec_lo
                                        ; implicit-def: $vgpr61
	s_or_saveexec_b32 s31, s31
	v_mov_b32_e32 v60, s17
	s_xor_b32 exec_lo, exec_lo, s31
	s_cbranch_execz .LBB6_11499
.LBB6_13067:                            ;   in Loop: Header=BB6_10858 Depth=3
	v_cmp_ne_u16_e32 vcc_lo, 0, v61
	v_mov_b32_e32 v60, 0
	s_and_not1_b32 s13, s13, exec_lo
	s_and_b32 s17, vcc_lo, exec_lo
	s_delay_alu instid0(SALU_CYCLE_1)
	s_or_b32 s13, s13, s17
	s_or_b32 exec_lo, exec_lo, s31
	s_and_saveexec_b32 s17, s13
	s_cbranch_execnz .LBB6_11500
	s_branch .LBB6_11501
.LBB6_13068:                            ;   in Loop: Header=BB6_10858 Depth=3
	s_mov_b32 s13, -1
	s_mov_b32 s34, exec_lo
                                        ; implicit-def: $sgpr17
	v_cmpx_eq_u16_e32 0x80, v62
; %bb.13069:                            ;   in Loop: Header=BB6_10858 Depth=3
	s_mov_b32 s17, 0x7f800001
	s_xor_b32 s13, exec_lo, -1
; %bb.13070:                            ;   in Loop: Header=BB6_10858 Depth=3
	s_or_b32 exec_lo, exec_lo, s34
	s_delay_alu instid0(SALU_CYCLE_1)
	s_and_b32 s13, s13, exec_lo
                                        ; implicit-def: $vgpr62
	s_or_saveexec_b32 s31, s31
	v_mov_b32_e32 v61, s17
	s_xor_b32 exec_lo, exec_lo, s31
	s_cbranch_execz .LBB6_11503
.LBB6_13071:                            ;   in Loop: Header=BB6_10858 Depth=3
	v_cmp_ne_u16_e32 vcc_lo, 0, v62
	v_mov_b32_e32 v61, 0
	s_and_not1_b32 s13, s13, exec_lo
	s_and_b32 s17, vcc_lo, exec_lo
	s_delay_alu instid0(SALU_CYCLE_1)
	s_or_b32 s13, s13, s17
	s_or_b32 exec_lo, exec_lo, s31
	s_and_saveexec_b32 s17, s13
	s_cbranch_execnz .LBB6_11504
	s_branch .LBB6_11505
.LBB6_13072:                            ;   in Loop: Header=BB6_10858 Depth=3
	s_mov_b32 s13, -1
	s_mov_b32 s34, exec_lo
                                        ; implicit-def: $sgpr17
	v_cmpx_eq_u16_e32 0x80, v61
; %bb.13073:                            ;   in Loop: Header=BB6_10858 Depth=3
	s_mov_b32 s17, 0x7f800001
	s_xor_b32 s13, exec_lo, -1
; %bb.13074:                            ;   in Loop: Header=BB6_10858 Depth=3
	s_or_b32 exec_lo, exec_lo, s34
	s_delay_alu instid0(SALU_CYCLE_1)
	s_and_b32 s13, s13, exec_lo
                                        ; implicit-def: $vgpr61
	s_or_saveexec_b32 s31, s31
	v_mov_b32_e32 v60, s17
	s_xor_b32 exec_lo, exec_lo, s31
	s_cbranch_execz .LBB6_11510
.LBB6_13075:                            ;   in Loop: Header=BB6_10858 Depth=3
	v_cmp_ne_u16_e32 vcc_lo, 0, v61
	v_mov_b32_e32 v60, 0
	s_and_not1_b32 s13, s13, exec_lo
	s_and_b32 s17, vcc_lo, exec_lo
	s_delay_alu instid0(SALU_CYCLE_1)
	s_or_b32 s13, s13, s17
	s_or_b32 exec_lo, exec_lo, s31
	s_and_saveexec_b32 s17, s13
	s_cbranch_execnz .LBB6_11511
	s_branch .LBB6_11512
.LBB6_13076:                            ;   in Loop: Header=BB6_10858 Depth=3
	s_mov_b32 s13, -1
	s_mov_b32 s34, exec_lo
                                        ; implicit-def: $sgpr17
	v_cmpx_eq_u16_e32 0x80, v61
; %bb.13077:                            ;   in Loop: Header=BB6_10858 Depth=3
	s_mov_b32 s17, 0x7f800001
	s_xor_b32 s13, exec_lo, -1
; %bb.13078:                            ;   in Loop: Header=BB6_10858 Depth=3
	s_or_b32 exec_lo, exec_lo, s34
	s_delay_alu instid0(SALU_CYCLE_1)
	s_and_b32 s13, s13, exec_lo
                                        ; implicit-def: $vgpr61
	s_or_saveexec_b32 s31, s31
	v_mov_b32_e32 v59, s17
	s_xor_b32 exec_lo, exec_lo, s31
	s_cbranch_execz .LBB6_11514
.LBB6_13079:                            ;   in Loop: Header=BB6_10858 Depth=3
	v_cmp_ne_u16_e32 vcc_lo, 0, v61
	v_mov_b32_e32 v59, 0
	s_and_not1_b32 s13, s13, exec_lo
	s_and_b32 s17, vcc_lo, exec_lo
	s_delay_alu instid0(SALU_CYCLE_1)
	s_or_b32 s13, s13, s17
	s_or_b32 exec_lo, exec_lo, s31
	s_and_saveexec_b32 s17, s13
	s_cbranch_execnz .LBB6_11515
	s_branch .LBB6_11516
.LBB6_13080:                            ;   in Loop: Header=BB6_10858 Depth=3
	s_mov_b32 s13, -1
	s_mov_b32 s34, exec_lo
                                        ; implicit-def: $sgpr17
	v_cmpx_eq_u16_e32 0x80, v60
; %bb.13081:                            ;   in Loop: Header=BB6_10858 Depth=3
	s_mov_b32 s17, 0x7f800001
	s_xor_b32 s13, exec_lo, -1
; %bb.13082:                            ;   in Loop: Header=BB6_10858 Depth=3
	s_or_b32 exec_lo, exec_lo, s34
	s_delay_alu instid0(SALU_CYCLE_1)
	s_and_b32 s13, s13, exec_lo
	s_or_saveexec_b32 s31, s31
	v_mov_b32_e32 v61, s17
	s_xor_b32 exec_lo, exec_lo, s31
	s_cbranch_execz .LBB6_11528
.LBB6_13083:                            ;   in Loop: Header=BB6_10858 Depth=3
	v_cmp_ne_u16_e32 vcc_lo, 0, v60
	v_mov_b32_e32 v61, 0
	s_and_not1_b32 s13, s13, exec_lo
	s_and_b32 s17, vcc_lo, exec_lo
	s_delay_alu instid0(SALU_CYCLE_1)
	s_or_b32 s13, s13, s17
	s_or_b32 exec_lo, exec_lo, s31
	s_and_saveexec_b32 s17, s13
	s_cbranch_execnz .LBB6_11529
	s_branch .LBB6_11530
.LBB6_13084:                            ;   in Loop: Header=BB6_10858 Depth=3
	s_mov_b32 s13, -1
	s_mov_b32 s34, exec_lo
                                        ; implicit-def: $sgpr17
	v_cmpx_eq_u16_e32 0x80, v59
; %bb.13085:                            ;   in Loop: Header=BB6_10858 Depth=3
	s_mov_b32 s17, 0x7f800001
	s_xor_b32 s13, exec_lo, -1
; %bb.13086:                            ;   in Loop: Header=BB6_10858 Depth=3
	s_or_b32 exec_lo, exec_lo, s34
	s_delay_alu instid0(SALU_CYCLE_1)
	s_and_b32 s13, s13, exec_lo
	s_or_saveexec_b32 s31, s31
	v_mov_b32_e32 v62, s17
	s_xor_b32 exec_lo, exec_lo, s31
	s_cbranch_execz .LBB6_11532
.LBB6_13087:                            ;   in Loop: Header=BB6_10858 Depth=3
	v_cmp_ne_u16_e32 vcc_lo, 0, v59
	v_mov_b32_e32 v62, 0
	s_and_not1_b32 s13, s13, exec_lo
	s_and_b32 s17, vcc_lo, exec_lo
	s_delay_alu instid0(SALU_CYCLE_1)
	s_or_b32 s13, s13, s17
	s_or_b32 exec_lo, exec_lo, s31
	s_and_saveexec_b32 s17, s13
	s_cbranch_execnz .LBB6_11533
	s_branch .LBB6_11534
.LBB6_13088:                            ;   in Loop: Header=BB6_10858 Depth=3
	s_mov_b32 s13, -1
	s_mov_b32 s34, exec_lo
                                        ; implicit-def: $sgpr17
	v_cmpx_eq_u16_e32 0x80, v60
; %bb.13089:                            ;   in Loop: Header=BB6_10858 Depth=3
	s_mov_b32 s17, 0x7f800001
	s_xor_b32 s13, exec_lo, -1
; %bb.13090:                            ;   in Loop: Header=BB6_10858 Depth=3
	s_or_b32 exec_lo, exec_lo, s34
	s_delay_alu instid0(SALU_CYCLE_1)
	s_and_b32 s13, s13, exec_lo
	s_or_saveexec_b32 s31, s31
	v_mov_b32_e32 v61, s17
	s_xor_b32 exec_lo, exec_lo, s31
	s_cbranch_execz .LBB6_11539
.LBB6_13091:                            ;   in Loop: Header=BB6_10858 Depth=3
	v_cmp_ne_u16_e32 vcc_lo, 0, v60
	v_mov_b32_e32 v61, 0
	s_and_not1_b32 s13, s13, exec_lo
	s_and_b32 s17, vcc_lo, exec_lo
	s_delay_alu instid0(SALU_CYCLE_1)
	s_or_b32 s13, s13, s17
	s_or_b32 exec_lo, exec_lo, s31
	s_and_saveexec_b32 s17, s13
	s_cbranch_execnz .LBB6_11540
	s_branch .LBB6_11541
.LBB6_13092:                            ;   in Loop: Header=BB6_10858 Depth=3
	s_mov_b32 s13, -1
	s_mov_b32 s34, exec_lo
                                        ; implicit-def: $sgpr17
	v_cmpx_eq_u16_e32 0x80, v59
; %bb.13093:                            ;   in Loop: Header=BB6_10858 Depth=3
	s_mov_b32 s17, 0x7f800001
	s_xor_b32 s13, exec_lo, -1
; %bb.13094:                            ;   in Loop: Header=BB6_10858 Depth=3
	s_or_b32 exec_lo, exec_lo, s34
	s_delay_alu instid0(SALU_CYCLE_1)
	s_and_b32 s13, s13, exec_lo
	s_or_saveexec_b32 s31, s31
	v_mov_b32_e32 v33, s17
	s_xor_b32 exec_lo, exec_lo, s31
	s_cbranch_execz .LBB6_11543
.LBB6_13095:                            ;   in Loop: Header=BB6_10858 Depth=3
	v_cmp_ne_u16_e32 vcc_lo, 0, v59
	v_mov_b32_e32 v33, 0
	s_and_not1_b32 s13, s13, exec_lo
	s_and_b32 s17, vcc_lo, exec_lo
	s_delay_alu instid0(SALU_CYCLE_1)
	s_or_b32 s13, s13, s17
	s_or_b32 exec_lo, exec_lo, s31
	s_and_saveexec_b32 s17, s13
	s_cbranch_execnz .LBB6_11544
	s_branch .LBB6_11545
.LBB6_13096:                            ;   in Loop: Header=BB6_10858 Depth=3
	s_mov_b32 s13, -1
	s_mov_b32 s34, exec_lo
                                        ; implicit-def: $sgpr17
	v_cmpx_eq_u16_e32 0x80, v59
; %bb.13097:                            ;   in Loop: Header=BB6_10858 Depth=3
	s_mov_b32 s17, 0x7f800001
	s_xor_b32 s13, exec_lo, -1
; %bb.13098:                            ;   in Loop: Header=BB6_10858 Depth=3
	s_or_b32 exec_lo, exec_lo, s34
	s_delay_alu instid0(SALU_CYCLE_1)
	s_and_b32 s13, s13, exec_lo
                                        ; implicit-def: $vgpr59
	s_or_saveexec_b32 s31, s31
	v_mov_b32_e32 v33, s17
	s_xor_b32 exec_lo, exec_lo, s31
	s_cbranch_execz .LBB6_11557
.LBB6_13099:                            ;   in Loop: Header=BB6_10858 Depth=3
	v_cmp_ne_u16_e32 vcc_lo, 0, v59
	v_mov_b32_e32 v33, 0
	s_and_not1_b32 s13, s13, exec_lo
	s_and_b32 s17, vcc_lo, exec_lo
	s_delay_alu instid0(SALU_CYCLE_1)
	s_or_b32 s13, s13, s17
	s_or_b32 exec_lo, exec_lo, s31
	s_and_saveexec_b32 s17, s13
	s_cbranch_execnz .LBB6_11558
	s_branch .LBB6_11559
.LBB6_13100:                            ;   in Loop: Header=BB6_10858 Depth=3
	s_mov_b32 s13, -1
	s_mov_b32 s34, exec_lo
                                        ; implicit-def: $sgpr17
	v_cmpx_eq_u16_e32 0x80, v60
; %bb.13101:                            ;   in Loop: Header=BB6_10858 Depth=3
	s_mov_b32 s17, 0x7f800001
	s_xor_b32 s13, exec_lo, -1
; %bb.13102:                            ;   in Loop: Header=BB6_10858 Depth=3
	s_or_b32 exec_lo, exec_lo, s34
	s_delay_alu instid0(SALU_CYCLE_1)
	s_and_b32 s13, s13, exec_lo
                                        ; implicit-def: $vgpr60
	s_or_saveexec_b32 s31, s31
	v_mov_b32_e32 v59, s17
	s_xor_b32 exec_lo, exec_lo, s31
	s_cbranch_execz .LBB6_11561
.LBB6_13103:                            ;   in Loop: Header=BB6_10858 Depth=3
	v_cmp_ne_u16_e32 vcc_lo, 0, v60
	v_mov_b32_e32 v59, 0
	s_and_not1_b32 s13, s13, exec_lo
	s_and_b32 s17, vcc_lo, exec_lo
	s_delay_alu instid0(SALU_CYCLE_1)
	s_or_b32 s13, s13, s17
	s_or_b32 exec_lo, exec_lo, s31
	s_and_saveexec_b32 s17, s13
	s_cbranch_execnz .LBB6_11562
	s_branch .LBB6_11563
.LBB6_13104:                            ;   in Loop: Header=BB6_10858 Depth=3
	s_mov_b32 s13, -1
	s_mov_b32 s34, exec_lo
                                        ; implicit-def: $sgpr17
	v_cmpx_eq_u16_e32 0x80, v59
; %bb.13105:                            ;   in Loop: Header=BB6_10858 Depth=3
	s_mov_b32 s17, 0x7f800001
	s_xor_b32 s13, exec_lo, -1
; %bb.13106:                            ;   in Loop: Header=BB6_10858 Depth=3
	s_or_b32 exec_lo, exec_lo, s34
	s_delay_alu instid0(SALU_CYCLE_1)
	s_and_b32 s13, s13, exec_lo
                                        ; implicit-def: $vgpr59
	s_or_saveexec_b32 s31, s31
	v_mov_b32_e32 v33, s17
	s_xor_b32 exec_lo, exec_lo, s31
	s_cbranch_execz .LBB6_11568
.LBB6_13107:                            ;   in Loop: Header=BB6_10858 Depth=3
	v_cmp_ne_u16_e32 vcc_lo, 0, v59
	v_mov_b32_e32 v33, 0
	s_and_not1_b32 s13, s13, exec_lo
	s_and_b32 s17, vcc_lo, exec_lo
	s_delay_alu instid0(SALU_CYCLE_1)
	s_or_b32 s13, s13, s17
	s_or_b32 exec_lo, exec_lo, s31
	s_and_saveexec_b32 s17, s13
	s_cbranch_execnz .LBB6_11569
	s_branch .LBB6_11570
.LBB6_13108:                            ;   in Loop: Header=BB6_10858 Depth=3
	s_mov_b32 s13, -1
	s_mov_b32 s34, exec_lo
                                        ; implicit-def: $sgpr17
	v_cmpx_eq_u16_e32 0x80, v60
; %bb.13109:                            ;   in Loop: Header=BB6_10858 Depth=3
	s_mov_b32 s17, 0x7f800001
	s_xor_b32 s13, exec_lo, -1
; %bb.13110:                            ;   in Loop: Header=BB6_10858 Depth=3
	s_or_b32 exec_lo, exec_lo, s34
	s_delay_alu instid0(SALU_CYCLE_1)
	s_and_b32 s13, s13, exec_lo
                                        ; implicit-def: $vgpr60
	s_or_saveexec_b32 s31, s31
	v_mov_b32_e32 v59, s17
	s_xor_b32 exec_lo, exec_lo, s31
	s_cbranch_execz .LBB6_11572
.LBB6_13111:                            ;   in Loop: Header=BB6_10858 Depth=3
	v_cmp_ne_u16_e32 vcc_lo, 0, v60
	v_mov_b32_e32 v59, 0
	s_and_not1_b32 s13, s13, exec_lo
	s_and_b32 s17, vcc_lo, exec_lo
	s_delay_alu instid0(SALU_CYCLE_1)
	s_or_b32 s13, s13, s17
	s_or_b32 exec_lo, exec_lo, s31
	s_and_saveexec_b32 s17, s13
	s_cbranch_execnz .LBB6_11573
	s_branch .LBB6_11574
.LBB6_13112:                            ;   in Loop: Header=BB6_10858 Depth=3
	s_mov_b32 s13, -1
	s_mov_b32 s34, exec_lo
                                        ; implicit-def: $sgpr17
	v_cmpx_eq_u16_e32 0x80, v60
; %bb.13113:                            ;   in Loop: Header=BB6_10858 Depth=3
	s_mov_b32 s17, 0x7f800001
	s_xor_b32 s13, exec_lo, -1
; %bb.13114:                            ;   in Loop: Header=BB6_10858 Depth=3
	s_or_b32 exec_lo, exec_lo, s34
	s_delay_alu instid0(SALU_CYCLE_1)
	s_and_b32 s13, s13, exec_lo
	s_or_saveexec_b32 s31, s31
	v_mov_b32_e32 v61, s17
	s_xor_b32 exec_lo, exec_lo, s31
	s_cbranch_execz .LBB6_11586
.LBB6_13115:                            ;   in Loop: Header=BB6_10858 Depth=3
	v_cmp_ne_u16_e32 vcc_lo, 0, v60
	v_mov_b32_e32 v61, 0
	s_and_not1_b32 s13, s13, exec_lo
	s_and_b32 s17, vcc_lo, exec_lo
	s_delay_alu instid0(SALU_CYCLE_1)
	s_or_b32 s13, s13, s17
	s_or_b32 exec_lo, exec_lo, s31
	s_and_saveexec_b32 s17, s13
	s_cbranch_execnz .LBB6_11587
	s_branch .LBB6_11588
.LBB6_13116:                            ;   in Loop: Header=BB6_10858 Depth=3
	s_mov_b32 s13, -1
	s_mov_b32 s34, exec_lo
                                        ; implicit-def: $sgpr17
	v_cmpx_eq_u16_e32 0x80, v59
; %bb.13117:                            ;   in Loop: Header=BB6_10858 Depth=3
	s_mov_b32 s17, 0x7f800001
	s_xor_b32 s13, exec_lo, -1
; %bb.13118:                            ;   in Loop: Header=BB6_10858 Depth=3
	s_or_b32 exec_lo, exec_lo, s34
	s_delay_alu instid0(SALU_CYCLE_1)
	s_and_b32 s13, s13, exec_lo
	s_or_saveexec_b32 s31, s31
	v_mov_b32_e32 v62, s17
	s_xor_b32 exec_lo, exec_lo, s31
	s_cbranch_execz .LBB6_11590
.LBB6_13119:                            ;   in Loop: Header=BB6_10858 Depth=3
	v_cmp_ne_u16_e32 vcc_lo, 0, v59
	v_mov_b32_e32 v62, 0
	s_and_not1_b32 s13, s13, exec_lo
	s_and_b32 s17, vcc_lo, exec_lo
	s_delay_alu instid0(SALU_CYCLE_1)
	s_or_b32 s13, s13, s17
	s_or_b32 exec_lo, exec_lo, s31
	s_and_saveexec_b32 s17, s13
	s_cbranch_execnz .LBB6_11591
	s_branch .LBB6_11592
.LBB6_13120:                            ;   in Loop: Header=BB6_10858 Depth=3
	s_mov_b32 s13, -1
	s_mov_b32 s34, exec_lo
                                        ; implicit-def: $sgpr17
	v_cmpx_eq_u16_e32 0x80, v60
; %bb.13121:                            ;   in Loop: Header=BB6_10858 Depth=3
	s_mov_b32 s17, 0x7f800001
	s_xor_b32 s13, exec_lo, -1
; %bb.13122:                            ;   in Loop: Header=BB6_10858 Depth=3
	s_or_b32 exec_lo, exec_lo, s34
	s_delay_alu instid0(SALU_CYCLE_1)
	s_and_b32 s13, s13, exec_lo
	s_or_saveexec_b32 s31, s31
	v_mov_b32_e32 v61, s17
	s_xor_b32 exec_lo, exec_lo, s31
	s_cbranch_execz .LBB6_11597
.LBB6_13123:                            ;   in Loop: Header=BB6_10858 Depth=3
	v_cmp_ne_u16_e32 vcc_lo, 0, v60
	v_mov_b32_e32 v61, 0
	s_and_not1_b32 s13, s13, exec_lo
	s_and_b32 s17, vcc_lo, exec_lo
	s_delay_alu instid0(SALU_CYCLE_1)
	s_or_b32 s13, s13, s17
	s_or_b32 exec_lo, exec_lo, s31
	s_and_saveexec_b32 s17, s13
	s_cbranch_execnz .LBB6_11598
	s_branch .LBB6_11599
.LBB6_13124:                            ;   in Loop: Header=BB6_10858 Depth=3
	s_mov_b32 s13, -1
	s_mov_b32 s34, exec_lo
                                        ; implicit-def: $sgpr17
	v_cmpx_eq_u16_e32 0x80, v59
; %bb.13125:                            ;   in Loop: Header=BB6_10858 Depth=3
	s_mov_b32 s17, 0x7f800001
	s_xor_b32 s13, exec_lo, -1
; %bb.13126:                            ;   in Loop: Header=BB6_10858 Depth=3
	s_or_b32 exec_lo, exec_lo, s34
	s_delay_alu instid0(SALU_CYCLE_1)
	s_and_b32 s13, s13, exec_lo
	s_or_saveexec_b32 s31, s31
	v_mov_b32_e32 v60, s17
	s_xor_b32 exec_lo, exec_lo, s31
	s_cbranch_execz .LBB6_11601
.LBB6_13127:                            ;   in Loop: Header=BB6_10858 Depth=3
	v_cmp_ne_u16_e32 vcc_lo, 0, v59
	v_mov_b32_e32 v60, 0
	s_and_not1_b32 s13, s13, exec_lo
	s_and_b32 s17, vcc_lo, exec_lo
	s_delay_alu instid0(SALU_CYCLE_1)
	s_or_b32 s13, s13, s17
	s_or_b32 exec_lo, exec_lo, s31
	s_and_saveexec_b32 s17, s13
	s_cbranch_execnz .LBB6_11602
	s_branch .LBB6_11603
.LBB6_13128:                            ;   in Loop: Header=BB6_10858 Depth=3
	s_mov_b32 s13, -1
	s_mov_b32 s34, exec_lo
                                        ; implicit-def: $sgpr17
	v_cmpx_eq_u16_e32 0x80, v63
; %bb.13129:                            ;   in Loop: Header=BB6_10858 Depth=3
	s_mov_b32 s17, 0x7f800001
	s_xor_b32 s13, exec_lo, -1
; %bb.13130:                            ;   in Loop: Header=BB6_10858 Depth=3
	s_or_b32 exec_lo, exec_lo, s34
	s_delay_alu instid0(SALU_CYCLE_1)
	s_and_b32 s13, s13, exec_lo
                                        ; implicit-def: $vgpr63
	s_or_saveexec_b32 s31, s31
	v_mov_b32_e32 v62, s17
	s_xor_b32 exec_lo, exec_lo, s31
	s_cbranch_execz .LBB6_11615
.LBB6_13131:                            ;   in Loop: Header=BB6_10858 Depth=3
	v_cmp_ne_u16_e32 vcc_lo, 0, v63
	v_mov_b32_e32 v62, 0
	s_and_not1_b32 s13, s13, exec_lo
	s_and_b32 s17, vcc_lo, exec_lo
	s_delay_alu instid0(SALU_CYCLE_1)
	s_or_b32 s13, s13, s17
	s_or_b32 exec_lo, exec_lo, s31
	s_and_saveexec_b32 s17, s13
	s_cbranch_execnz .LBB6_11616
	s_branch .LBB6_11617
.LBB6_13132:                            ;   in Loop: Header=BB6_10858 Depth=3
	s_mov_b32 s13, -1
	s_mov_b32 s34, exec_lo
                                        ; implicit-def: $sgpr17
	v_cmpx_eq_u16_e32 0x80, v72
; %bb.13133:                            ;   in Loop: Header=BB6_10858 Depth=3
	s_mov_b32 s17, 0x7f800001
	s_xor_b32 s13, exec_lo, -1
; %bb.13134:                            ;   in Loop: Header=BB6_10858 Depth=3
	s_or_b32 exec_lo, exec_lo, s34
	s_delay_alu instid0(SALU_CYCLE_1)
	s_and_b32 s13, s13, exec_lo
                                        ; implicit-def: $vgpr72
	s_or_saveexec_b32 s31, s31
	v_mov_b32_e32 v63, s17
	s_xor_b32 exec_lo, exec_lo, s31
	s_cbranch_execz .LBB6_11619
.LBB6_13135:                            ;   in Loop: Header=BB6_10858 Depth=3
	v_cmp_ne_u16_e32 vcc_lo, 0, v72
	v_mov_b32_e32 v63, 0
	s_and_not1_b32 s13, s13, exec_lo
	s_and_b32 s17, vcc_lo, exec_lo
	s_delay_alu instid0(SALU_CYCLE_1)
	s_or_b32 s13, s13, s17
	s_or_b32 exec_lo, exec_lo, s31
	s_and_saveexec_b32 s17, s13
	s_cbranch_execnz .LBB6_11620
	s_branch .LBB6_11621
.LBB6_13136:                            ;   in Loop: Header=BB6_10858 Depth=3
	s_mov_b32 s13, -1
	s_mov_b32 s34, exec_lo
                                        ; implicit-def: $sgpr17
	v_cmpx_eq_u16_e32 0x80, v63
; %bb.13137:                            ;   in Loop: Header=BB6_10858 Depth=3
	s_mov_b32 s17, 0x7f800001
	s_xor_b32 s13, exec_lo, -1
; %bb.13138:                            ;   in Loop: Header=BB6_10858 Depth=3
	s_or_b32 exec_lo, exec_lo, s34
	s_delay_alu instid0(SALU_CYCLE_1)
	s_and_b32 s13, s13, exec_lo
                                        ; implicit-def: $vgpr63
	s_or_saveexec_b32 s31, s31
	v_mov_b32_e32 v62, s17
	s_xor_b32 exec_lo, exec_lo, s31
	s_cbranch_execz .LBB6_11626
.LBB6_13139:                            ;   in Loop: Header=BB6_10858 Depth=3
	v_cmp_ne_u16_e32 vcc_lo, 0, v63
	v_mov_b32_e32 v62, 0
	s_and_not1_b32 s13, s13, exec_lo
	s_and_b32 s17, vcc_lo, exec_lo
	s_delay_alu instid0(SALU_CYCLE_1)
	s_or_b32 s13, s13, s17
	s_or_b32 exec_lo, exec_lo, s31
	s_and_saveexec_b32 s17, s13
	s_cbranch_execnz .LBB6_11627
	s_branch .LBB6_11628
.LBB6_13140:                            ;   in Loop: Header=BB6_10858 Depth=3
	s_mov_b32 s13, -1
	s_mov_b32 s34, exec_lo
                                        ; implicit-def: $sgpr17
	v_cmpx_eq_u16_e32 0x80, v63
; %bb.13141:                            ;   in Loop: Header=BB6_10858 Depth=3
	s_mov_b32 s17, 0x7f800001
	s_xor_b32 s13, exec_lo, -1
; %bb.13142:                            ;   in Loop: Header=BB6_10858 Depth=3
	s_or_b32 exec_lo, exec_lo, s34
	s_delay_alu instid0(SALU_CYCLE_1)
	s_and_b32 s13, s13, exec_lo
                                        ; implicit-def: $vgpr63
	s_or_saveexec_b32 s31, s31
	v_mov_b32_e32 v61, s17
	s_xor_b32 exec_lo, exec_lo, s31
	s_cbranch_execz .LBB6_11630
.LBB6_13143:                            ;   in Loop: Header=BB6_10858 Depth=3
	v_cmp_ne_u16_e32 vcc_lo, 0, v63
	v_mov_b32_e32 v61, 0
	s_and_not1_b32 s13, s13, exec_lo
	s_and_b32 s17, vcc_lo, exec_lo
	s_delay_alu instid0(SALU_CYCLE_1)
	s_or_b32 s13, s13, s17
	s_or_b32 exec_lo, exec_lo, s31
	s_and_saveexec_b32 s17, s13
	s_cbranch_execnz .LBB6_11631
	s_branch .LBB6_11632
.LBB6_13144:                            ;   in Loop: Header=BB6_10858 Depth=3
	s_mov_b32 s13, -1
	s_mov_b32 s34, exec_lo
                                        ; implicit-def: $sgpr17
	v_cmpx_eq_u16_e32 0x80, v62
; %bb.13145:                            ;   in Loop: Header=BB6_10858 Depth=3
	s_mov_b32 s17, 0x7f800001
	s_xor_b32 s13, exec_lo, -1
; %bb.13146:                            ;   in Loop: Header=BB6_10858 Depth=3
	s_or_b32 exec_lo, exec_lo, s34
	s_delay_alu instid0(SALU_CYCLE_1)
	s_and_b32 s13, s13, exec_lo
	s_or_saveexec_b32 s31, s31
	v_mov_b32_e32 v63, s17
	s_xor_b32 exec_lo, exec_lo, s31
	s_cbranch_execz .LBB6_11644
.LBB6_13147:                            ;   in Loop: Header=BB6_10858 Depth=3
	v_cmp_ne_u16_e32 vcc_lo, 0, v62
	v_mov_b32_e32 v63, 0
	s_and_not1_b32 s13, s13, exec_lo
	s_and_b32 s17, vcc_lo, exec_lo
	s_delay_alu instid0(SALU_CYCLE_1)
	s_or_b32 s13, s13, s17
	s_or_b32 exec_lo, exec_lo, s31
	s_and_saveexec_b32 s17, s13
	s_cbranch_execnz .LBB6_11645
	s_branch .LBB6_11646
.LBB6_13148:                            ;   in Loop: Header=BB6_10858 Depth=3
	s_mov_b32 s13, -1
	s_mov_b32 s34, exec_lo
                                        ; implicit-def: $sgpr17
	v_cmpx_eq_u16_e32 0x80, v61
; %bb.13149:                            ;   in Loop: Header=BB6_10858 Depth=3
	s_mov_b32 s17, 0x7f800001
	s_xor_b32 s13, exec_lo, -1
; %bb.13150:                            ;   in Loop: Header=BB6_10858 Depth=3
	s_or_b32 exec_lo, exec_lo, s34
	s_delay_alu instid0(SALU_CYCLE_1)
	s_and_b32 s13, s13, exec_lo
	s_or_saveexec_b32 s31, s31
	v_mov_b32_e32 v72, s17
	s_xor_b32 exec_lo, exec_lo, s31
	s_cbranch_execz .LBB6_11648
.LBB6_13151:                            ;   in Loop: Header=BB6_10858 Depth=3
	v_cmp_ne_u16_e32 vcc_lo, 0, v61
	v_mov_b32_e32 v72, 0
	s_and_not1_b32 s13, s13, exec_lo
	s_and_b32 s17, vcc_lo, exec_lo
	s_delay_alu instid0(SALU_CYCLE_1)
	s_or_b32 s13, s13, s17
	s_or_b32 exec_lo, exec_lo, s31
	s_and_saveexec_b32 s17, s13
	s_cbranch_execnz .LBB6_11649
	s_branch .LBB6_11650
.LBB6_13152:                            ;   in Loop: Header=BB6_10858 Depth=3
	s_mov_b32 s13, -1
	s_mov_b32 s34, exec_lo
                                        ; implicit-def: $sgpr17
	v_cmpx_eq_u16_e32 0x80, v62
; %bb.13153:                            ;   in Loop: Header=BB6_10858 Depth=3
	s_mov_b32 s17, 0x7f800001
	s_xor_b32 s13, exec_lo, -1
; %bb.13154:                            ;   in Loop: Header=BB6_10858 Depth=3
	s_or_b32 exec_lo, exec_lo, s34
	s_delay_alu instid0(SALU_CYCLE_1)
	s_and_b32 s13, s13, exec_lo
	s_or_saveexec_b32 s31, s31
	v_mov_b32_e32 v63, s17
	s_xor_b32 exec_lo, exec_lo, s31
	s_cbranch_execz .LBB6_11655
.LBB6_13155:                            ;   in Loop: Header=BB6_10858 Depth=3
	v_cmp_ne_u16_e32 vcc_lo, 0, v62
	v_mov_b32_e32 v63, 0
	s_and_not1_b32 s13, s13, exec_lo
	s_and_b32 s17, vcc_lo, exec_lo
	s_delay_alu instid0(SALU_CYCLE_1)
	s_or_b32 s13, s13, s17
	s_or_b32 exec_lo, exec_lo, s31
	s_and_saveexec_b32 s17, s13
	s_cbranch_execnz .LBB6_11656
	s_branch .LBB6_11657
.LBB6_13156:                            ;   in Loop: Header=BB6_10858 Depth=3
	s_mov_b32 s13, -1
	s_mov_b32 s34, exec_lo
                                        ; implicit-def: $sgpr17
	v_cmpx_eq_u16_e32 0x80, v61
; %bb.13157:                            ;   in Loop: Header=BB6_10858 Depth=3
	s_mov_b32 s17, 0x7f800001
	s_xor_b32 s13, exec_lo, -1
; %bb.13158:                            ;   in Loop: Header=BB6_10858 Depth=3
	s_or_b32 exec_lo, exec_lo, s34
	s_delay_alu instid0(SALU_CYCLE_1)
	s_and_b32 s13, s13, exec_lo
	s_or_saveexec_b32 s31, s31
	v_mov_b32_e32 v34, s17
	s_xor_b32 exec_lo, exec_lo, s31
	s_cbranch_execz .LBB6_11659
.LBB6_13159:                            ;   in Loop: Header=BB6_10858 Depth=3
	v_cmp_ne_u16_e32 vcc_lo, 0, v61
	v_mov_b32_e32 v34, 0
	s_and_not1_b32 s13, s13, exec_lo
	s_and_b32 s17, vcc_lo, exec_lo
	s_delay_alu instid0(SALU_CYCLE_1)
	s_or_b32 s13, s13, s17
	s_or_b32 exec_lo, exec_lo, s31
	s_and_saveexec_b32 s17, s13
	s_cbranch_execnz .LBB6_11660
	s_branch .LBB6_11661
.LBB6_13160:                            ;   in Loop: Header=BB6_10858 Depth=3
	s_mov_b32 s13, -1
	s_mov_b32 s34, exec_lo
                                        ; implicit-def: $sgpr17
	v_cmpx_eq_u16_e32 0x80, v61
; %bb.13161:                            ;   in Loop: Header=BB6_10858 Depth=3
	s_mov_b32 s17, 0x7f800001
	s_xor_b32 s13, exec_lo, -1
; %bb.13162:                            ;   in Loop: Header=BB6_10858 Depth=3
	s_or_b32 exec_lo, exec_lo, s34
	s_delay_alu instid0(SALU_CYCLE_1)
	s_and_b32 s13, s13, exec_lo
                                        ; implicit-def: $vgpr61
	s_or_saveexec_b32 s31, s31
	v_mov_b32_e32 v34, s17
	s_xor_b32 exec_lo, exec_lo, s31
	s_cbranch_execz .LBB6_11673
.LBB6_13163:                            ;   in Loop: Header=BB6_10858 Depth=3
	v_cmp_ne_u16_e32 vcc_lo, 0, v61
	v_mov_b32_e32 v34, 0
	s_and_not1_b32 s13, s13, exec_lo
	s_and_b32 s17, vcc_lo, exec_lo
	s_delay_alu instid0(SALU_CYCLE_1)
	s_or_b32 s13, s13, s17
	s_or_b32 exec_lo, exec_lo, s31
	s_and_saveexec_b32 s17, s13
	s_cbranch_execnz .LBB6_11674
	s_branch .LBB6_11675
.LBB6_13164:                            ;   in Loop: Header=BB6_10858 Depth=3
	s_mov_b32 s13, -1
	s_mov_b32 s34, exec_lo
                                        ; implicit-def: $sgpr17
	v_cmpx_eq_u16_e32 0x80, v62
; %bb.13165:                            ;   in Loop: Header=BB6_10858 Depth=3
	s_mov_b32 s17, 0x7f800001
	s_xor_b32 s13, exec_lo, -1
; %bb.13166:                            ;   in Loop: Header=BB6_10858 Depth=3
	s_or_b32 exec_lo, exec_lo, s34
	s_delay_alu instid0(SALU_CYCLE_1)
	s_and_b32 s13, s13, exec_lo
                                        ; implicit-def: $vgpr62
	s_or_saveexec_b32 s31, s31
	v_mov_b32_e32 v61, s17
	s_xor_b32 exec_lo, exec_lo, s31
	s_cbranch_execz .LBB6_11677
.LBB6_13167:                            ;   in Loop: Header=BB6_10858 Depth=3
	v_cmp_ne_u16_e32 vcc_lo, 0, v62
	v_mov_b32_e32 v61, 0
	s_and_not1_b32 s13, s13, exec_lo
	s_and_b32 s17, vcc_lo, exec_lo
	s_delay_alu instid0(SALU_CYCLE_1)
	s_or_b32 s13, s13, s17
	s_or_b32 exec_lo, exec_lo, s31
	s_and_saveexec_b32 s17, s13
	s_cbranch_execnz .LBB6_11678
	s_branch .LBB6_11679
.LBB6_13168:                            ;   in Loop: Header=BB6_10858 Depth=3
	s_mov_b32 s13, -1
	s_mov_b32 s34, exec_lo
                                        ; implicit-def: $sgpr17
	v_cmpx_eq_u16_e32 0x80, v61
; %bb.13169:                            ;   in Loop: Header=BB6_10858 Depth=3
	s_mov_b32 s17, 0x7f800001
	s_xor_b32 s13, exec_lo, -1
; %bb.13170:                            ;   in Loop: Header=BB6_10858 Depth=3
	s_or_b32 exec_lo, exec_lo, s34
	s_delay_alu instid0(SALU_CYCLE_1)
	s_and_b32 s13, s13, exec_lo
                                        ; implicit-def: $vgpr61
	s_or_saveexec_b32 s31, s31
	v_mov_b32_e32 v34, s17
	s_xor_b32 exec_lo, exec_lo, s31
	s_cbranch_execz .LBB6_11684
.LBB6_13171:                            ;   in Loop: Header=BB6_10858 Depth=3
	v_cmp_ne_u16_e32 vcc_lo, 0, v61
	v_mov_b32_e32 v34, 0
	s_and_not1_b32 s13, s13, exec_lo
	s_and_b32 s17, vcc_lo, exec_lo
	s_delay_alu instid0(SALU_CYCLE_1)
	s_or_b32 s13, s13, s17
	s_or_b32 exec_lo, exec_lo, s31
	s_and_saveexec_b32 s17, s13
	s_cbranch_execnz .LBB6_11685
	s_branch .LBB6_11686
.LBB6_13172:                            ;   in Loop: Header=BB6_10858 Depth=3
	s_mov_b32 s13, -1
	s_mov_b32 s34, exec_lo
                                        ; implicit-def: $sgpr17
	v_cmpx_eq_u16_e32 0x80, v62
; %bb.13173:                            ;   in Loop: Header=BB6_10858 Depth=3
	s_mov_b32 s17, 0x7f800001
	s_xor_b32 s13, exec_lo, -1
; %bb.13174:                            ;   in Loop: Header=BB6_10858 Depth=3
	s_or_b32 exec_lo, exec_lo, s34
	s_delay_alu instid0(SALU_CYCLE_1)
	s_and_b32 s13, s13, exec_lo
                                        ; implicit-def: $vgpr62
	s_or_saveexec_b32 s31, s31
	v_mov_b32_e32 v61, s17
	s_xor_b32 exec_lo, exec_lo, s31
	s_cbranch_execz .LBB6_11688
.LBB6_13175:                            ;   in Loop: Header=BB6_10858 Depth=3
	v_cmp_ne_u16_e32 vcc_lo, 0, v62
	v_mov_b32_e32 v61, 0
	s_and_not1_b32 s13, s13, exec_lo
	s_and_b32 s17, vcc_lo, exec_lo
	s_delay_alu instid0(SALU_CYCLE_1)
	s_or_b32 s13, s13, s17
	s_or_b32 exec_lo, exec_lo, s31
	s_and_saveexec_b32 s17, s13
	s_cbranch_execnz .LBB6_11689
	s_branch .LBB6_11690
.LBB6_13176:                            ;   in Loop: Header=BB6_10858 Depth=3
	s_mov_b32 s13, -1
	s_mov_b32 s34, exec_lo
                                        ; implicit-def: $sgpr17
	v_cmpx_eq_u16_e32 0x80, v62
; %bb.13177:                            ;   in Loop: Header=BB6_10858 Depth=3
	s_mov_b32 s17, 0x7f800001
	s_xor_b32 s13, exec_lo, -1
; %bb.13178:                            ;   in Loop: Header=BB6_10858 Depth=3
	s_or_b32 exec_lo, exec_lo, s34
	s_delay_alu instid0(SALU_CYCLE_1)
	s_and_b32 s13, s13, exec_lo
	s_or_saveexec_b32 s31, s31
	v_mov_b32_e32 v63, s17
	s_xor_b32 exec_lo, exec_lo, s31
	s_cbranch_execz .LBB6_11702
.LBB6_13179:                            ;   in Loop: Header=BB6_10858 Depth=3
	v_cmp_ne_u16_e32 vcc_lo, 0, v62
	v_mov_b32_e32 v63, 0
	s_and_not1_b32 s13, s13, exec_lo
	s_and_b32 s17, vcc_lo, exec_lo
	s_delay_alu instid0(SALU_CYCLE_1)
	s_or_b32 s13, s13, s17
	s_or_b32 exec_lo, exec_lo, s31
	s_and_saveexec_b32 s17, s13
	s_cbranch_execnz .LBB6_11703
	s_branch .LBB6_11704
.LBB6_13180:                            ;   in Loop: Header=BB6_10858 Depth=3
	s_mov_b32 s13, -1
	s_mov_b32 s34, exec_lo
                                        ; implicit-def: $sgpr17
	v_cmpx_eq_u16_e32 0x80, v61
; %bb.13181:                            ;   in Loop: Header=BB6_10858 Depth=3
	s_mov_b32 s17, 0x7f800001
	s_xor_b32 s13, exec_lo, -1
; %bb.13182:                            ;   in Loop: Header=BB6_10858 Depth=3
	s_or_b32 exec_lo, exec_lo, s34
	s_delay_alu instid0(SALU_CYCLE_1)
	s_and_b32 s13, s13, exec_lo
	s_or_saveexec_b32 s31, s31
	v_mov_b32_e32 v72, s17
	s_xor_b32 exec_lo, exec_lo, s31
	s_cbranch_execz .LBB6_11706
.LBB6_13183:                            ;   in Loop: Header=BB6_10858 Depth=3
	v_cmp_ne_u16_e32 vcc_lo, 0, v61
	v_mov_b32_e32 v72, 0
	s_and_not1_b32 s13, s13, exec_lo
	s_and_b32 s17, vcc_lo, exec_lo
	s_delay_alu instid0(SALU_CYCLE_1)
	s_or_b32 s13, s13, s17
	s_or_b32 exec_lo, exec_lo, s31
	s_and_saveexec_b32 s17, s13
	s_cbranch_execnz .LBB6_11707
	s_branch .LBB6_11708
.LBB6_13184:                            ;   in Loop: Header=BB6_10858 Depth=3
	s_mov_b32 s13, -1
	s_mov_b32 s34, exec_lo
                                        ; implicit-def: $sgpr17
	v_cmpx_eq_u16_e32 0x80, v62
; %bb.13185:                            ;   in Loop: Header=BB6_10858 Depth=3
	s_mov_b32 s17, 0x7f800001
	s_xor_b32 s13, exec_lo, -1
; %bb.13186:                            ;   in Loop: Header=BB6_10858 Depth=3
	s_or_b32 exec_lo, exec_lo, s34
	s_delay_alu instid0(SALU_CYCLE_1)
	s_and_b32 s13, s13, exec_lo
	s_or_saveexec_b32 s31, s31
	v_mov_b32_e32 v63, s17
	s_xor_b32 exec_lo, exec_lo, s31
	s_cbranch_execz .LBB6_11713
.LBB6_13187:                            ;   in Loop: Header=BB6_10858 Depth=3
	v_cmp_ne_u16_e32 vcc_lo, 0, v62
	v_mov_b32_e32 v63, 0
	s_and_not1_b32 s13, s13, exec_lo
	s_and_b32 s17, vcc_lo, exec_lo
	s_delay_alu instid0(SALU_CYCLE_1)
	s_or_b32 s13, s13, s17
	s_or_b32 exec_lo, exec_lo, s31
	s_and_saveexec_b32 s17, s13
	s_cbranch_execnz .LBB6_11714
	s_branch .LBB6_11715
.LBB6_13188:                            ;   in Loop: Header=BB6_10858 Depth=3
	s_mov_b32 s13, -1
	s_mov_b32 s34, exec_lo
                                        ; implicit-def: $sgpr17
	v_cmpx_eq_u16_e32 0x80, v61
; %bb.13189:                            ;   in Loop: Header=BB6_10858 Depth=3
	s_mov_b32 s17, 0x7f800001
	s_xor_b32 s13, exec_lo, -1
; %bb.13190:                            ;   in Loop: Header=BB6_10858 Depth=3
	s_or_b32 exec_lo, exec_lo, s34
	s_delay_alu instid0(SALU_CYCLE_1)
	s_and_b32 s13, s13, exec_lo
	s_or_saveexec_b32 s31, s31
	v_mov_b32_e32 v62, s17
	s_xor_b32 exec_lo, exec_lo, s31
	s_cbranch_execz .LBB6_11717
.LBB6_13191:                            ;   in Loop: Header=BB6_10858 Depth=3
	v_cmp_ne_u16_e32 vcc_lo, 0, v61
	v_mov_b32_e32 v62, 0
	s_and_not1_b32 s13, s13, exec_lo
	s_and_b32 s17, vcc_lo, exec_lo
	s_delay_alu instid0(SALU_CYCLE_1)
	s_or_b32 s13, s13, s17
	s_or_b32 exec_lo, exec_lo, s31
	s_and_saveexec_b32 s17, s13
	s_cbranch_execnz .LBB6_11718
	s_branch .LBB6_11719
.LBB6_13192:                            ;   in Loop: Header=BB6_10858 Depth=3
	s_mov_b32 s13, -1
	s_mov_b32 s34, exec_lo
                                        ; implicit-def: $sgpr17
	v_cmpx_eq_u16_e32 0x80, v73
; %bb.13193:                            ;   in Loop: Header=BB6_10858 Depth=3
	s_mov_b32 s17, 0x7f800001
	s_xor_b32 s13, exec_lo, -1
; %bb.13194:                            ;   in Loop: Header=BB6_10858 Depth=3
	s_or_b32 exec_lo, exec_lo, s34
	s_delay_alu instid0(SALU_CYCLE_1)
	s_and_b32 s13, s13, exec_lo
                                        ; implicit-def: $vgpr73
	s_or_saveexec_b32 s31, s31
	v_mov_b32_e32 v72, s17
	s_xor_b32 exec_lo, exec_lo, s31
	s_cbranch_execz .LBB6_11731
.LBB6_13195:                            ;   in Loop: Header=BB6_10858 Depth=3
	v_cmp_ne_u16_e32 vcc_lo, 0, v73
	v_mov_b32_e32 v72, 0
	s_and_not1_b32 s13, s13, exec_lo
	s_and_b32 s17, vcc_lo, exec_lo
	s_delay_alu instid0(SALU_CYCLE_1)
	s_or_b32 s13, s13, s17
	s_or_b32 exec_lo, exec_lo, s31
	s_and_saveexec_b32 s17, s13
	s_cbranch_execnz .LBB6_11732
	s_branch .LBB6_11733
.LBB6_13196:                            ;   in Loop: Header=BB6_10858 Depth=3
	s_mov_b32 s13, -1
	s_mov_b32 s34, exec_lo
                                        ; implicit-def: $sgpr17
	v_cmpx_eq_u16_e32 0x80, v74
; %bb.13197:                            ;   in Loop: Header=BB6_10858 Depth=3
	s_mov_b32 s17, 0x7f800001
	s_xor_b32 s13, exec_lo, -1
; %bb.13198:                            ;   in Loop: Header=BB6_10858 Depth=3
	s_or_b32 exec_lo, exec_lo, s34
	s_delay_alu instid0(SALU_CYCLE_1)
	s_and_b32 s13, s13, exec_lo
                                        ; implicit-def: $vgpr74
	s_or_saveexec_b32 s31, s31
	v_mov_b32_e32 v73, s17
	s_xor_b32 exec_lo, exec_lo, s31
	s_cbranch_execz .LBB6_11735
.LBB6_13199:                            ;   in Loop: Header=BB6_10858 Depth=3
	v_cmp_ne_u16_e32 vcc_lo, 0, v74
	v_mov_b32_e32 v73, 0
	s_and_not1_b32 s13, s13, exec_lo
	s_and_b32 s17, vcc_lo, exec_lo
	s_delay_alu instid0(SALU_CYCLE_1)
	s_or_b32 s13, s13, s17
	s_or_b32 exec_lo, exec_lo, s31
	s_and_saveexec_b32 s17, s13
	s_cbranch_execnz .LBB6_11736
	s_branch .LBB6_11737
.LBB6_13200:                            ;   in Loop: Header=BB6_10858 Depth=3
	s_mov_b32 s13, -1
	s_mov_b32 s34, exec_lo
                                        ; implicit-def: $sgpr17
	v_cmpx_eq_u16_e32 0x80, v73
; %bb.13201:                            ;   in Loop: Header=BB6_10858 Depth=3
	s_mov_b32 s17, 0x7f800001
	s_xor_b32 s13, exec_lo, -1
; %bb.13202:                            ;   in Loop: Header=BB6_10858 Depth=3
	s_or_b32 exec_lo, exec_lo, s34
	s_delay_alu instid0(SALU_CYCLE_1)
	s_and_b32 s13, s13, exec_lo
                                        ; implicit-def: $vgpr73
	s_or_saveexec_b32 s31, s31
	v_mov_b32_e32 v72, s17
	s_xor_b32 exec_lo, exec_lo, s31
	s_cbranch_execz .LBB6_11742
.LBB6_13203:                            ;   in Loop: Header=BB6_10858 Depth=3
	v_cmp_ne_u16_e32 vcc_lo, 0, v73
	v_mov_b32_e32 v72, 0
	s_and_not1_b32 s13, s13, exec_lo
	s_and_b32 s17, vcc_lo, exec_lo
	s_delay_alu instid0(SALU_CYCLE_1)
	s_or_b32 s13, s13, s17
	s_or_b32 exec_lo, exec_lo, s31
	s_and_saveexec_b32 s17, s13
	s_cbranch_execnz .LBB6_11743
	s_branch .LBB6_11744
.LBB6_13204:                            ;   in Loop: Header=BB6_10858 Depth=3
	s_mov_b32 s13, -1
	s_mov_b32 s34, exec_lo
                                        ; implicit-def: $sgpr17
	v_cmpx_eq_u16_e32 0x80, v73
; %bb.13205:                            ;   in Loop: Header=BB6_10858 Depth=3
	s_mov_b32 s17, 0x7f800001
	s_xor_b32 s13, exec_lo, -1
; %bb.13206:                            ;   in Loop: Header=BB6_10858 Depth=3
	s_or_b32 exec_lo, exec_lo, s34
	s_delay_alu instid0(SALU_CYCLE_1)
	s_and_b32 s13, s13, exec_lo
                                        ; implicit-def: $vgpr73
	s_or_saveexec_b32 s31, s31
	v_mov_b32_e32 v63, s17
	s_xor_b32 exec_lo, exec_lo, s31
	s_cbranch_execz .LBB6_11746
.LBB6_13207:                            ;   in Loop: Header=BB6_10858 Depth=3
	v_cmp_ne_u16_e32 vcc_lo, 0, v73
	v_mov_b32_e32 v63, 0
	s_and_not1_b32 s13, s13, exec_lo
	s_and_b32 s17, vcc_lo, exec_lo
	s_delay_alu instid0(SALU_CYCLE_1)
	s_or_b32 s13, s13, s17
	s_or_b32 exec_lo, exec_lo, s31
	s_and_saveexec_b32 s17, s13
	s_cbranch_execnz .LBB6_11747
	s_branch .LBB6_11748
.LBB6_13208:                            ;   in Loop: Header=BB6_10858 Depth=3
	s_mov_b32 s13, -1
	s_mov_b32 s34, exec_lo
                                        ; implicit-def: $sgpr17
	v_cmpx_eq_u16_e32 0x80, v72
; %bb.13209:                            ;   in Loop: Header=BB6_10858 Depth=3
	s_mov_b32 s17, 0x7f800001
	s_xor_b32 s13, exec_lo, -1
; %bb.13210:                            ;   in Loop: Header=BB6_10858 Depth=3
	s_or_b32 exec_lo, exec_lo, s34
	s_delay_alu instid0(SALU_CYCLE_1)
	s_and_b32 s13, s13, exec_lo
	s_or_saveexec_b32 s31, s31
	v_mov_b32_e32 v73, s17
	s_xor_b32 exec_lo, exec_lo, s31
	s_cbranch_execz .LBB6_11760
.LBB6_13211:                            ;   in Loop: Header=BB6_10858 Depth=3
	v_cmp_ne_u16_e32 vcc_lo, 0, v72
	v_mov_b32_e32 v73, 0
	s_and_not1_b32 s13, s13, exec_lo
	s_and_b32 s17, vcc_lo, exec_lo
	s_delay_alu instid0(SALU_CYCLE_1)
	s_or_b32 s13, s13, s17
	s_or_b32 exec_lo, exec_lo, s31
	s_and_saveexec_b32 s17, s13
	s_cbranch_execnz .LBB6_11761
	s_branch .LBB6_11762
.LBB6_13212:                            ;   in Loop: Header=BB6_10858 Depth=3
	s_mov_b32 s13, -1
	s_mov_b32 s34, exec_lo
                                        ; implicit-def: $sgpr17
	v_cmpx_eq_u16_e32 0x80, v63
; %bb.13213:                            ;   in Loop: Header=BB6_10858 Depth=3
	s_mov_b32 s17, 0x7f800001
	s_xor_b32 s13, exec_lo, -1
; %bb.13214:                            ;   in Loop: Header=BB6_10858 Depth=3
	s_or_b32 exec_lo, exec_lo, s34
	s_delay_alu instid0(SALU_CYCLE_1)
	s_and_b32 s13, s13, exec_lo
	s_or_saveexec_b32 s31, s31
	v_mov_b32_e32 v74, s17
	s_xor_b32 exec_lo, exec_lo, s31
	s_cbranch_execz .LBB6_11764
.LBB6_13215:                            ;   in Loop: Header=BB6_10858 Depth=3
	v_cmp_ne_u16_e32 vcc_lo, 0, v63
	v_mov_b32_e32 v74, 0
	s_and_not1_b32 s13, s13, exec_lo
	s_and_b32 s17, vcc_lo, exec_lo
	s_delay_alu instid0(SALU_CYCLE_1)
	s_or_b32 s13, s13, s17
	s_or_b32 exec_lo, exec_lo, s31
	s_and_saveexec_b32 s17, s13
	s_cbranch_execnz .LBB6_11765
	s_branch .LBB6_11766
.LBB6_13216:                            ;   in Loop: Header=BB6_10858 Depth=3
	s_mov_b32 s13, -1
	s_mov_b32 s34, exec_lo
                                        ; implicit-def: $sgpr17
	v_cmpx_eq_u16_e32 0x80, v72
; %bb.13217:                            ;   in Loop: Header=BB6_10858 Depth=3
	s_mov_b32 s17, 0x7f800001
	s_xor_b32 s13, exec_lo, -1
; %bb.13218:                            ;   in Loop: Header=BB6_10858 Depth=3
	s_or_b32 exec_lo, exec_lo, s34
	s_delay_alu instid0(SALU_CYCLE_1)
	s_and_b32 s13, s13, exec_lo
	s_or_saveexec_b32 s31, s31
	v_mov_b32_e32 v73, s17
	s_xor_b32 exec_lo, exec_lo, s31
	s_cbranch_execz .LBB6_11771
.LBB6_13219:                            ;   in Loop: Header=BB6_10858 Depth=3
	v_cmp_ne_u16_e32 vcc_lo, 0, v72
	v_mov_b32_e32 v73, 0
	s_and_not1_b32 s13, s13, exec_lo
	s_and_b32 s17, vcc_lo, exec_lo
	s_delay_alu instid0(SALU_CYCLE_1)
	s_or_b32 s13, s13, s17
	s_or_b32 exec_lo, exec_lo, s31
	s_and_saveexec_b32 s17, s13
	s_cbranch_execnz .LBB6_11772
	s_branch .LBB6_11773
.LBB6_13220:                            ;   in Loop: Header=BB6_10858 Depth=3
	s_mov_b32 s13, -1
	s_mov_b32 s34, exec_lo
                                        ; implicit-def: $sgpr17
	v_cmpx_eq_u16_e32 0x80, v63
; %bb.13221:                            ;   in Loop: Header=BB6_10858 Depth=3
	s_mov_b32 s17, 0x7f800001
	s_xor_b32 s13, exec_lo, -1
; %bb.13222:                            ;   in Loop: Header=BB6_10858 Depth=3
	s_or_b32 exec_lo, exec_lo, s34
	s_delay_alu instid0(SALU_CYCLE_1)
	s_and_b32 s13, s13, exec_lo
	s_or_saveexec_b32 s31, s31
	v_mov_b32_e32 v35, s17
	s_xor_b32 exec_lo, exec_lo, s31
	s_cbranch_execz .LBB6_11775
.LBB6_13223:                            ;   in Loop: Header=BB6_10858 Depth=3
	v_cmp_ne_u16_e32 vcc_lo, 0, v63
	v_mov_b32_e32 v35, 0
	s_and_not1_b32 s13, s13, exec_lo
	s_and_b32 s17, vcc_lo, exec_lo
	s_delay_alu instid0(SALU_CYCLE_1)
	s_or_b32 s13, s13, s17
	s_or_b32 exec_lo, exec_lo, s31
	s_and_saveexec_b32 s17, s13
	s_cbranch_execnz .LBB6_11776
	s_branch .LBB6_11777
.LBB6_13224:                            ;   in Loop: Header=BB6_10858 Depth=3
	s_mov_b32 s13, -1
	s_mov_b32 s34, exec_lo
                                        ; implicit-def: $sgpr17
	v_cmpx_eq_u16_e32 0x80, v63
; %bb.13225:                            ;   in Loop: Header=BB6_10858 Depth=3
	s_mov_b32 s17, 0x7f800001
	s_xor_b32 s13, exec_lo, -1
; %bb.13226:                            ;   in Loop: Header=BB6_10858 Depth=3
	s_or_b32 exec_lo, exec_lo, s34
	s_delay_alu instid0(SALU_CYCLE_1)
	s_and_b32 s13, s13, exec_lo
                                        ; implicit-def: $vgpr63
	s_or_saveexec_b32 s31, s31
	v_mov_b32_e32 v35, s17
	s_xor_b32 exec_lo, exec_lo, s31
	s_cbranch_execz .LBB6_11789
.LBB6_13227:                            ;   in Loop: Header=BB6_10858 Depth=3
	v_cmp_ne_u16_e32 vcc_lo, 0, v63
	v_mov_b32_e32 v35, 0
	s_and_not1_b32 s13, s13, exec_lo
	s_and_b32 s17, vcc_lo, exec_lo
	s_delay_alu instid0(SALU_CYCLE_1)
	s_or_b32 s13, s13, s17
	s_or_b32 exec_lo, exec_lo, s31
	s_and_saveexec_b32 s17, s13
	s_cbranch_execnz .LBB6_11790
	s_branch .LBB6_11791
.LBB6_13228:                            ;   in Loop: Header=BB6_10858 Depth=3
	s_mov_b32 s13, -1
	s_mov_b32 s34, exec_lo
                                        ; implicit-def: $sgpr17
	v_cmpx_eq_u16_e32 0x80, v72
; %bb.13229:                            ;   in Loop: Header=BB6_10858 Depth=3
	s_mov_b32 s17, 0x7f800001
	s_xor_b32 s13, exec_lo, -1
; %bb.13230:                            ;   in Loop: Header=BB6_10858 Depth=3
	s_or_b32 exec_lo, exec_lo, s34
	s_delay_alu instid0(SALU_CYCLE_1)
	s_and_b32 s13, s13, exec_lo
                                        ; implicit-def: $vgpr72
	s_or_saveexec_b32 s31, s31
	v_mov_b32_e32 v63, s17
	s_xor_b32 exec_lo, exec_lo, s31
	s_cbranch_execz .LBB6_11793
.LBB6_13231:                            ;   in Loop: Header=BB6_10858 Depth=3
	v_cmp_ne_u16_e32 vcc_lo, 0, v72
	v_mov_b32_e32 v63, 0
	s_and_not1_b32 s13, s13, exec_lo
	s_and_b32 s17, vcc_lo, exec_lo
	s_delay_alu instid0(SALU_CYCLE_1)
	s_or_b32 s13, s13, s17
	s_or_b32 exec_lo, exec_lo, s31
	s_and_saveexec_b32 s17, s13
	s_cbranch_execnz .LBB6_11794
	s_branch .LBB6_11795
.LBB6_13232:                            ;   in Loop: Header=BB6_10858 Depth=3
	s_mov_b32 s13, -1
	s_mov_b32 s34, exec_lo
                                        ; implicit-def: $sgpr17
	v_cmpx_eq_u16_e32 0x80, v63
; %bb.13233:                            ;   in Loop: Header=BB6_10858 Depth=3
	s_mov_b32 s17, 0x7f800001
	s_xor_b32 s13, exec_lo, -1
; %bb.13234:                            ;   in Loop: Header=BB6_10858 Depth=3
	s_or_b32 exec_lo, exec_lo, s34
	s_delay_alu instid0(SALU_CYCLE_1)
	s_and_b32 s13, s13, exec_lo
                                        ; implicit-def: $vgpr63
	s_or_saveexec_b32 s31, s31
	v_mov_b32_e32 v35, s17
	s_xor_b32 exec_lo, exec_lo, s31
	s_cbranch_execz .LBB6_11800
.LBB6_13235:                            ;   in Loop: Header=BB6_10858 Depth=3
	v_cmp_ne_u16_e32 vcc_lo, 0, v63
	v_mov_b32_e32 v35, 0
	s_and_not1_b32 s13, s13, exec_lo
	s_and_b32 s17, vcc_lo, exec_lo
	s_delay_alu instid0(SALU_CYCLE_1)
	s_or_b32 s13, s13, s17
	s_or_b32 exec_lo, exec_lo, s31
	s_and_saveexec_b32 s17, s13
	s_cbranch_execnz .LBB6_11801
	s_branch .LBB6_11802
.LBB6_13236:                            ;   in Loop: Header=BB6_10858 Depth=3
	s_mov_b32 s13, -1
	s_mov_b32 s34, exec_lo
                                        ; implicit-def: $sgpr17
	v_cmpx_eq_u16_e32 0x80, v72
; %bb.13237:                            ;   in Loop: Header=BB6_10858 Depth=3
	s_mov_b32 s17, 0x7f800001
	s_xor_b32 s13, exec_lo, -1
; %bb.13238:                            ;   in Loop: Header=BB6_10858 Depth=3
	s_or_b32 exec_lo, exec_lo, s34
	s_delay_alu instid0(SALU_CYCLE_1)
	s_and_b32 s13, s13, exec_lo
                                        ; implicit-def: $vgpr72
	s_or_saveexec_b32 s31, s31
	v_mov_b32_e32 v63, s17
	s_xor_b32 exec_lo, exec_lo, s31
	s_cbranch_execz .LBB6_11804
.LBB6_13239:                            ;   in Loop: Header=BB6_10858 Depth=3
	v_cmp_ne_u16_e32 vcc_lo, 0, v72
	v_mov_b32_e32 v63, 0
	s_and_not1_b32 s13, s13, exec_lo
	s_and_b32 s17, vcc_lo, exec_lo
	s_delay_alu instid0(SALU_CYCLE_1)
	s_or_b32 s13, s13, s17
	s_or_b32 exec_lo, exec_lo, s31
	s_and_saveexec_b32 s17, s13
	s_cbranch_execnz .LBB6_11805
	s_branch .LBB6_11806
.LBB6_13240:                            ;   in Loop: Header=BB6_10858 Depth=3
	s_mov_b32 s13, -1
	s_mov_b32 s34, exec_lo
                                        ; implicit-def: $sgpr17
	v_cmpx_eq_u16_e32 0x80, v72
; %bb.13241:                            ;   in Loop: Header=BB6_10858 Depth=3
	s_mov_b32 s17, 0x7f800001
	s_xor_b32 s13, exec_lo, -1
; %bb.13242:                            ;   in Loop: Header=BB6_10858 Depth=3
	s_or_b32 exec_lo, exec_lo, s34
	s_delay_alu instid0(SALU_CYCLE_1)
	s_and_b32 s13, s13, exec_lo
	s_or_saveexec_b32 s31, s31
	v_mov_b32_e32 v73, s17
	s_xor_b32 exec_lo, exec_lo, s31
	s_cbranch_execz .LBB6_11818
.LBB6_13243:                            ;   in Loop: Header=BB6_10858 Depth=3
	v_cmp_ne_u16_e32 vcc_lo, 0, v72
	v_mov_b32_e32 v73, 0
	s_and_not1_b32 s13, s13, exec_lo
	s_and_b32 s17, vcc_lo, exec_lo
	s_delay_alu instid0(SALU_CYCLE_1)
	s_or_b32 s13, s13, s17
	s_or_b32 exec_lo, exec_lo, s31
	s_and_saveexec_b32 s17, s13
	s_cbranch_execnz .LBB6_11819
	s_branch .LBB6_11820
.LBB6_13244:                            ;   in Loop: Header=BB6_10858 Depth=3
	s_mov_b32 s13, -1
	s_mov_b32 s34, exec_lo
                                        ; implicit-def: $sgpr17
	v_cmpx_eq_u16_e32 0x80, v63
; %bb.13245:                            ;   in Loop: Header=BB6_10858 Depth=3
	s_mov_b32 s17, 0x7f800001
	s_xor_b32 s13, exec_lo, -1
; %bb.13246:                            ;   in Loop: Header=BB6_10858 Depth=3
	s_or_b32 exec_lo, exec_lo, s34
	s_delay_alu instid0(SALU_CYCLE_1)
	s_and_b32 s13, s13, exec_lo
	s_or_saveexec_b32 s31, s31
	v_mov_b32_e32 v74, s17
	s_xor_b32 exec_lo, exec_lo, s31
	s_cbranch_execz .LBB6_11822
.LBB6_13247:                            ;   in Loop: Header=BB6_10858 Depth=3
	v_cmp_ne_u16_e32 vcc_lo, 0, v63
	v_mov_b32_e32 v74, 0
	s_and_not1_b32 s13, s13, exec_lo
	s_and_b32 s17, vcc_lo, exec_lo
	s_delay_alu instid0(SALU_CYCLE_1)
	s_or_b32 s13, s13, s17
	s_or_b32 exec_lo, exec_lo, s31
	s_and_saveexec_b32 s17, s13
	s_cbranch_execnz .LBB6_11823
	s_branch .LBB6_11824
.LBB6_13248:                            ;   in Loop: Header=BB6_10858 Depth=3
	s_mov_b32 s13, -1
	s_mov_b32 s34, exec_lo
                                        ; implicit-def: $sgpr17
	v_cmpx_eq_u16_e32 0x80, v72
; %bb.13249:                            ;   in Loop: Header=BB6_10858 Depth=3
	s_mov_b32 s17, 0x7f800001
	s_xor_b32 s13, exec_lo, -1
; %bb.13250:                            ;   in Loop: Header=BB6_10858 Depth=3
	s_or_b32 exec_lo, exec_lo, s34
	s_delay_alu instid0(SALU_CYCLE_1)
	s_and_b32 s13, s13, exec_lo
	s_or_saveexec_b32 s31, s31
	v_mov_b32_e32 v73, s17
	s_xor_b32 exec_lo, exec_lo, s31
	s_cbranch_execz .LBB6_11829
.LBB6_13251:                            ;   in Loop: Header=BB6_10858 Depth=3
	v_cmp_ne_u16_e32 vcc_lo, 0, v72
	v_mov_b32_e32 v73, 0
	s_and_not1_b32 s13, s13, exec_lo
	s_and_b32 s17, vcc_lo, exec_lo
	s_delay_alu instid0(SALU_CYCLE_1)
	s_or_b32 s13, s13, s17
	s_or_b32 exec_lo, exec_lo, s31
	s_and_saveexec_b32 s17, s13
	s_cbranch_execnz .LBB6_11830
	s_branch .LBB6_11831
.LBB6_13252:                            ;   in Loop: Header=BB6_10858 Depth=3
	s_mov_b32 s13, -1
	s_mov_b32 s34, exec_lo
                                        ; implicit-def: $sgpr17
	v_cmpx_eq_u16_e32 0x80, v63
; %bb.13253:                            ;   in Loop: Header=BB6_10858 Depth=3
	s_mov_b32 s17, 0x7f800001
	s_xor_b32 s13, exec_lo, -1
; %bb.13254:                            ;   in Loop: Header=BB6_10858 Depth=3
	s_or_b32 exec_lo, exec_lo, s34
	s_delay_alu instid0(SALU_CYCLE_1)
	s_and_b32 s13, s13, exec_lo
	s_or_saveexec_b32 s31, s31
	v_mov_b32_e32 v72, s17
	s_xor_b32 exec_lo, exec_lo, s31
	s_cbranch_execz .LBB6_11833
.LBB6_13255:                            ;   in Loop: Header=BB6_10858 Depth=3
	v_cmp_ne_u16_e32 vcc_lo, 0, v63
	v_mov_b32_e32 v72, 0
	s_and_not1_b32 s13, s13, exec_lo
	s_and_b32 s17, vcc_lo, exec_lo
	s_delay_alu instid0(SALU_CYCLE_1)
	s_or_b32 s13, s13, s17
	s_or_b32 exec_lo, exec_lo, s31
	s_and_saveexec_b32 s17, s13
	s_cbranch_execnz .LBB6_11834
	s_branch .LBB6_11835
.LBB6_13256:                            ;   in Loop: Header=BB6_10858 Depth=3
	s_mov_b32 s13, -1
	s_mov_b32 s34, exec_lo
                                        ; implicit-def: $sgpr17
	v_cmpx_eq_u16_e32 0x80, v75
; %bb.13257:                            ;   in Loop: Header=BB6_10858 Depth=3
	s_mov_b32 s17, 0x7f800001
	s_xor_b32 s13, exec_lo, -1
; %bb.13258:                            ;   in Loop: Header=BB6_10858 Depth=3
	s_or_b32 exec_lo, exec_lo, s34
	s_delay_alu instid0(SALU_CYCLE_1)
	s_and_b32 s13, s13, exec_lo
                                        ; implicit-def: $vgpr75
	s_or_saveexec_b32 s31, s31
	v_mov_b32_e32 v74, s17
	s_xor_b32 exec_lo, exec_lo, s31
	s_cbranch_execz .LBB6_11847
.LBB6_13259:                            ;   in Loop: Header=BB6_10858 Depth=3
	v_cmp_ne_u16_e32 vcc_lo, 0, v75
	v_mov_b32_e32 v74, 0
	s_and_not1_b32 s13, s13, exec_lo
	s_and_b32 s17, vcc_lo, exec_lo
	s_delay_alu instid0(SALU_CYCLE_1)
	s_or_b32 s13, s13, s17
	s_or_b32 exec_lo, exec_lo, s31
	s_and_saveexec_b32 s17, s13
	s_cbranch_execnz .LBB6_11848
	s_branch .LBB6_11849
.LBB6_13260:                            ;   in Loop: Header=BB6_10858 Depth=3
	s_mov_b32 s13, -1
	s_mov_b32 s34, exec_lo
                                        ; implicit-def: $sgpr17
	v_cmpx_eq_u16_e32 0x80, v76
; %bb.13261:                            ;   in Loop: Header=BB6_10858 Depth=3
	s_mov_b32 s17, 0x7f800001
	s_xor_b32 s13, exec_lo, -1
; %bb.13262:                            ;   in Loop: Header=BB6_10858 Depth=3
	s_or_b32 exec_lo, exec_lo, s34
	s_delay_alu instid0(SALU_CYCLE_1)
	s_and_b32 s13, s13, exec_lo
                                        ; implicit-def: $vgpr76
	s_or_saveexec_b32 s31, s31
	v_mov_b32_e32 v75, s17
	s_xor_b32 exec_lo, exec_lo, s31
	s_cbranch_execz .LBB6_11851
.LBB6_13263:                            ;   in Loop: Header=BB6_10858 Depth=3
	v_cmp_ne_u16_e32 vcc_lo, 0, v76
	v_mov_b32_e32 v75, 0
	s_and_not1_b32 s13, s13, exec_lo
	s_and_b32 s17, vcc_lo, exec_lo
	s_delay_alu instid0(SALU_CYCLE_1)
	s_or_b32 s13, s13, s17
	s_or_b32 exec_lo, exec_lo, s31
	s_and_saveexec_b32 s17, s13
	s_cbranch_execnz .LBB6_11852
	s_branch .LBB6_11853
.LBB6_13264:                            ;   in Loop: Header=BB6_10858 Depth=3
	s_mov_b32 s13, -1
	s_mov_b32 s34, exec_lo
                                        ; implicit-def: $sgpr17
	v_cmpx_eq_u16_e32 0x80, v75
; %bb.13265:                            ;   in Loop: Header=BB6_10858 Depth=3
	s_mov_b32 s17, 0x7f800001
	s_xor_b32 s13, exec_lo, -1
; %bb.13266:                            ;   in Loop: Header=BB6_10858 Depth=3
	s_or_b32 exec_lo, exec_lo, s34
	s_delay_alu instid0(SALU_CYCLE_1)
	s_and_b32 s13, s13, exec_lo
                                        ; implicit-def: $vgpr75
	s_or_saveexec_b32 s31, s31
	v_mov_b32_e32 v74, s17
	s_xor_b32 exec_lo, exec_lo, s31
	s_cbranch_execz .LBB6_11858
.LBB6_13267:                            ;   in Loop: Header=BB6_10858 Depth=3
	v_cmp_ne_u16_e32 vcc_lo, 0, v75
	v_mov_b32_e32 v74, 0
	s_and_not1_b32 s13, s13, exec_lo
	s_and_b32 s17, vcc_lo, exec_lo
	s_delay_alu instid0(SALU_CYCLE_1)
	s_or_b32 s13, s13, s17
	s_or_b32 exec_lo, exec_lo, s31
	s_and_saveexec_b32 s17, s13
	s_cbranch_execnz .LBB6_11859
	s_branch .LBB6_11860
.LBB6_13268:                            ;   in Loop: Header=BB6_10858 Depth=3
	s_mov_b32 s13, -1
	s_mov_b32 s34, exec_lo
                                        ; implicit-def: $sgpr17
	v_cmpx_eq_u16_e32 0x80, v75
; %bb.13269:                            ;   in Loop: Header=BB6_10858 Depth=3
	s_mov_b32 s17, 0x7f800001
	s_xor_b32 s13, exec_lo, -1
; %bb.13270:                            ;   in Loop: Header=BB6_10858 Depth=3
	s_or_b32 exec_lo, exec_lo, s34
	s_delay_alu instid0(SALU_CYCLE_1)
	s_and_b32 s13, s13, exec_lo
                                        ; implicit-def: $vgpr75
	s_or_saveexec_b32 s31, s31
	v_mov_b32_e32 v73, s17
	s_xor_b32 exec_lo, exec_lo, s31
	s_cbranch_execz .LBB6_11862
.LBB6_13271:                            ;   in Loop: Header=BB6_10858 Depth=3
	v_cmp_ne_u16_e32 vcc_lo, 0, v75
	v_mov_b32_e32 v73, 0
	s_and_not1_b32 s13, s13, exec_lo
	s_and_b32 s17, vcc_lo, exec_lo
	s_delay_alu instid0(SALU_CYCLE_1)
	s_or_b32 s13, s13, s17
	s_or_b32 exec_lo, exec_lo, s31
	s_and_saveexec_b32 s17, s13
	s_cbranch_execnz .LBB6_11863
	s_branch .LBB6_11864
.LBB6_13272:                            ;   in Loop: Header=BB6_10858 Depth=3
	s_mov_b32 s13, -1
	s_mov_b32 s34, exec_lo
                                        ; implicit-def: $sgpr17
	v_cmpx_eq_u16_e32 0x80, v74
; %bb.13273:                            ;   in Loop: Header=BB6_10858 Depth=3
	s_mov_b32 s17, 0x7f800001
	s_xor_b32 s13, exec_lo, -1
; %bb.13274:                            ;   in Loop: Header=BB6_10858 Depth=3
	s_or_b32 exec_lo, exec_lo, s34
	s_delay_alu instid0(SALU_CYCLE_1)
	s_and_b32 s13, s13, exec_lo
	s_or_saveexec_b32 s31, s31
	v_mov_b32_e32 v75, s17
	s_xor_b32 exec_lo, exec_lo, s31
	s_cbranch_execz .LBB6_11876
.LBB6_13275:                            ;   in Loop: Header=BB6_10858 Depth=3
	v_cmp_ne_u16_e32 vcc_lo, 0, v74
	v_mov_b32_e32 v75, 0
	s_and_not1_b32 s13, s13, exec_lo
	s_and_b32 s17, vcc_lo, exec_lo
	s_delay_alu instid0(SALU_CYCLE_1)
	s_or_b32 s13, s13, s17
	s_or_b32 exec_lo, exec_lo, s31
	s_and_saveexec_b32 s17, s13
	s_cbranch_execnz .LBB6_11877
	s_branch .LBB6_11878
.LBB6_13276:                            ;   in Loop: Header=BB6_10858 Depth=3
	s_mov_b32 s13, -1
	s_mov_b32 s34, exec_lo
                                        ; implicit-def: $sgpr17
	v_cmpx_eq_u16_e32 0x80, v73
; %bb.13277:                            ;   in Loop: Header=BB6_10858 Depth=3
	s_mov_b32 s17, 0x7f800001
	s_xor_b32 s13, exec_lo, -1
; %bb.13278:                            ;   in Loop: Header=BB6_10858 Depth=3
	s_or_b32 exec_lo, exec_lo, s34
	s_delay_alu instid0(SALU_CYCLE_1)
	s_and_b32 s13, s13, exec_lo
	s_or_saveexec_b32 s31, s31
	v_mov_b32_e32 v76, s17
	s_xor_b32 exec_lo, exec_lo, s31
	s_cbranch_execz .LBB6_11880
.LBB6_13279:                            ;   in Loop: Header=BB6_10858 Depth=3
	v_cmp_ne_u16_e32 vcc_lo, 0, v73
	v_mov_b32_e32 v76, 0
	s_and_not1_b32 s13, s13, exec_lo
	s_and_b32 s17, vcc_lo, exec_lo
	s_delay_alu instid0(SALU_CYCLE_1)
	s_or_b32 s13, s13, s17
	s_or_b32 exec_lo, exec_lo, s31
	s_and_saveexec_b32 s17, s13
	s_cbranch_execnz .LBB6_11881
	s_branch .LBB6_11882
.LBB6_13280:                            ;   in Loop: Header=BB6_10858 Depth=3
	s_mov_b32 s13, -1
	s_mov_b32 s34, exec_lo
                                        ; implicit-def: $sgpr17
	v_cmpx_eq_u16_e32 0x80, v74
; %bb.13281:                            ;   in Loop: Header=BB6_10858 Depth=3
	s_mov_b32 s17, 0x7f800001
	s_xor_b32 s13, exec_lo, -1
; %bb.13282:                            ;   in Loop: Header=BB6_10858 Depth=3
	s_or_b32 exec_lo, exec_lo, s34
	s_delay_alu instid0(SALU_CYCLE_1)
	s_and_b32 s13, s13, exec_lo
	s_or_saveexec_b32 s31, s31
	v_mov_b32_e32 v75, s17
	s_xor_b32 exec_lo, exec_lo, s31
	s_cbranch_execz .LBB6_11887
.LBB6_13283:                            ;   in Loop: Header=BB6_10858 Depth=3
	v_cmp_ne_u16_e32 vcc_lo, 0, v74
	v_mov_b32_e32 v75, 0
	s_and_not1_b32 s13, s13, exec_lo
	s_and_b32 s17, vcc_lo, exec_lo
	s_delay_alu instid0(SALU_CYCLE_1)
	s_or_b32 s13, s13, s17
	s_or_b32 exec_lo, exec_lo, s31
	s_and_saveexec_b32 s17, s13
	s_cbranch_execnz .LBB6_11888
	s_branch .LBB6_11889
.LBB6_13284:                            ;   in Loop: Header=BB6_10858 Depth=3
	s_mov_b32 s13, -1
	s_mov_b32 s34, exec_lo
                                        ; implicit-def: $sgpr17
	v_cmpx_eq_u16_e32 0x80, v73
; %bb.13285:                            ;   in Loop: Header=BB6_10858 Depth=3
	s_mov_b32 s17, 0x7f800001
	s_xor_b32 s13, exec_lo, -1
; %bb.13286:                            ;   in Loop: Header=BB6_10858 Depth=3
	s_or_b32 exec_lo, exec_lo, s34
	s_delay_alu instid0(SALU_CYCLE_1)
	s_and_b32 s13, s13, exec_lo
	s_or_saveexec_b32 s31, s31
	v_mov_b32_e32 v20, s17
	s_xor_b32 exec_lo, exec_lo, s31
	s_cbranch_execz .LBB6_11891
.LBB6_13287:                            ;   in Loop: Header=BB6_10858 Depth=3
	v_cmp_ne_u16_e32 vcc_lo, 0, v73
	v_mov_b32_e32 v20, 0
	s_and_not1_b32 s13, s13, exec_lo
	s_and_b32 s17, vcc_lo, exec_lo
	s_delay_alu instid0(SALU_CYCLE_1)
	s_or_b32 s13, s13, s17
	s_or_b32 exec_lo, exec_lo, s31
	s_and_saveexec_b32 s17, s13
	s_cbranch_execnz .LBB6_11892
	s_branch .LBB6_11893
.LBB6_13288:                            ;   in Loop: Header=BB6_10858 Depth=3
	s_mov_b32 s13, -1
	s_mov_b32 s34, exec_lo
                                        ; implicit-def: $sgpr17
	v_cmpx_eq_u16_e32 0x80, v73
; %bb.13289:                            ;   in Loop: Header=BB6_10858 Depth=3
	s_mov_b32 s17, 0x7f800001
	s_xor_b32 s13, exec_lo, -1
; %bb.13290:                            ;   in Loop: Header=BB6_10858 Depth=3
	s_or_b32 exec_lo, exec_lo, s34
	s_delay_alu instid0(SALU_CYCLE_1)
	s_and_b32 s13, s13, exec_lo
                                        ; implicit-def: $vgpr73
	s_or_saveexec_b32 s31, s31
	v_mov_b32_e32 v20, s17
	s_xor_b32 exec_lo, exec_lo, s31
	s_cbranch_execz .LBB6_11905
.LBB6_13291:                            ;   in Loop: Header=BB6_10858 Depth=3
	v_cmp_ne_u16_e32 vcc_lo, 0, v73
	v_mov_b32_e32 v20, 0
	s_and_not1_b32 s13, s13, exec_lo
	s_and_b32 s17, vcc_lo, exec_lo
	s_delay_alu instid0(SALU_CYCLE_1)
	s_or_b32 s13, s13, s17
	s_or_b32 exec_lo, exec_lo, s31
	s_and_saveexec_b32 s17, s13
	s_cbranch_execnz .LBB6_11906
	s_branch .LBB6_11907
.LBB6_13292:                            ;   in Loop: Header=BB6_10858 Depth=3
	s_mov_b32 s13, -1
	s_mov_b32 s34, exec_lo
                                        ; implicit-def: $sgpr17
	v_cmpx_eq_u16_e32 0x80, v74
; %bb.13293:                            ;   in Loop: Header=BB6_10858 Depth=3
	s_mov_b32 s17, 0x7f800001
	s_xor_b32 s13, exec_lo, -1
; %bb.13294:                            ;   in Loop: Header=BB6_10858 Depth=3
	s_or_b32 exec_lo, exec_lo, s34
	s_delay_alu instid0(SALU_CYCLE_1)
	s_and_b32 s13, s13, exec_lo
                                        ; implicit-def: $vgpr74
	s_or_saveexec_b32 s31, s31
	v_mov_b32_e32 v73, s17
	s_xor_b32 exec_lo, exec_lo, s31
	s_cbranch_execz .LBB6_11909
.LBB6_13295:                            ;   in Loop: Header=BB6_10858 Depth=3
	v_cmp_ne_u16_e32 vcc_lo, 0, v74
	v_mov_b32_e32 v73, 0
	s_and_not1_b32 s13, s13, exec_lo
	s_and_b32 s17, vcc_lo, exec_lo
	s_delay_alu instid0(SALU_CYCLE_1)
	s_or_b32 s13, s13, s17
	s_or_b32 exec_lo, exec_lo, s31
	s_and_saveexec_b32 s17, s13
	s_cbranch_execnz .LBB6_11910
	s_branch .LBB6_11911
.LBB6_13296:                            ;   in Loop: Header=BB6_10858 Depth=3
	s_mov_b32 s13, -1
	s_mov_b32 s34, exec_lo
                                        ; implicit-def: $sgpr17
	v_cmpx_eq_u16_e32 0x80, v73
; %bb.13297:                            ;   in Loop: Header=BB6_10858 Depth=3
	s_mov_b32 s17, 0x7f800001
	s_xor_b32 s13, exec_lo, -1
; %bb.13298:                            ;   in Loop: Header=BB6_10858 Depth=3
	s_or_b32 exec_lo, exec_lo, s34
	s_delay_alu instid0(SALU_CYCLE_1)
	s_and_b32 s13, s13, exec_lo
                                        ; implicit-def: $vgpr73
	s_or_saveexec_b32 s31, s31
	v_mov_b32_e32 v20, s17
	s_xor_b32 exec_lo, exec_lo, s31
	s_cbranch_execz .LBB6_11916
.LBB6_13299:                            ;   in Loop: Header=BB6_10858 Depth=3
	v_cmp_ne_u16_e32 vcc_lo, 0, v73
	v_mov_b32_e32 v20, 0
	s_and_not1_b32 s13, s13, exec_lo
	s_and_b32 s17, vcc_lo, exec_lo
	s_delay_alu instid0(SALU_CYCLE_1)
	s_or_b32 s13, s13, s17
	s_or_b32 exec_lo, exec_lo, s31
	s_and_saveexec_b32 s17, s13
	s_cbranch_execnz .LBB6_11917
	s_branch .LBB6_11918
.LBB6_13300:                            ;   in Loop: Header=BB6_10858 Depth=3
	s_mov_b32 s13, -1
	s_mov_b32 s34, exec_lo
                                        ; implicit-def: $sgpr17
	v_cmpx_eq_u16_e32 0x80, v74
; %bb.13301:                            ;   in Loop: Header=BB6_10858 Depth=3
	s_mov_b32 s17, 0x7f800001
	s_xor_b32 s13, exec_lo, -1
; %bb.13302:                            ;   in Loop: Header=BB6_10858 Depth=3
	s_or_b32 exec_lo, exec_lo, s34
	s_delay_alu instid0(SALU_CYCLE_1)
	s_and_b32 s13, s13, exec_lo
                                        ; implicit-def: $vgpr74
	s_or_saveexec_b32 s31, s31
	v_mov_b32_e32 v73, s17
	s_xor_b32 exec_lo, exec_lo, s31
	s_cbranch_execz .LBB6_11920
.LBB6_13303:                            ;   in Loop: Header=BB6_10858 Depth=3
	v_cmp_ne_u16_e32 vcc_lo, 0, v74
	v_mov_b32_e32 v73, 0
	s_and_not1_b32 s13, s13, exec_lo
	s_and_b32 s17, vcc_lo, exec_lo
	s_delay_alu instid0(SALU_CYCLE_1)
	s_or_b32 s13, s13, s17
	s_or_b32 exec_lo, exec_lo, s31
	s_and_saveexec_b32 s17, s13
	s_cbranch_execnz .LBB6_11921
	s_branch .LBB6_11922
.LBB6_13304:                            ;   in Loop: Header=BB6_10858 Depth=3
	s_mov_b32 s13, -1
	s_mov_b32 s34, exec_lo
                                        ; implicit-def: $sgpr17
	v_cmpx_eq_u16_e32 0x80, v74
; %bb.13305:                            ;   in Loop: Header=BB6_10858 Depth=3
	s_mov_b32 s17, 0x7f800001
	s_xor_b32 s13, exec_lo, -1
; %bb.13306:                            ;   in Loop: Header=BB6_10858 Depth=3
	s_or_b32 exec_lo, exec_lo, s34
	s_delay_alu instid0(SALU_CYCLE_1)
	s_and_b32 s13, s13, exec_lo
	s_or_saveexec_b32 s31, s31
	v_mov_b32_e32 v75, s17
	s_xor_b32 exec_lo, exec_lo, s31
	s_cbranch_execz .LBB6_11934
.LBB6_13307:                            ;   in Loop: Header=BB6_10858 Depth=3
	v_cmp_ne_u16_e32 vcc_lo, 0, v74
	v_mov_b32_e32 v75, 0
	s_and_not1_b32 s13, s13, exec_lo
	s_and_b32 s17, vcc_lo, exec_lo
	s_delay_alu instid0(SALU_CYCLE_1)
	s_or_b32 s13, s13, s17
	s_or_b32 exec_lo, exec_lo, s31
	s_and_saveexec_b32 s17, s13
	s_cbranch_execnz .LBB6_11935
	s_branch .LBB6_11936
.LBB6_13308:                            ;   in Loop: Header=BB6_10858 Depth=3
	s_mov_b32 s13, -1
	s_mov_b32 s34, exec_lo
                                        ; implicit-def: $sgpr17
	v_cmpx_eq_u16_e32 0x80, v73
; %bb.13309:                            ;   in Loop: Header=BB6_10858 Depth=3
	s_mov_b32 s17, 0x7f800001
	s_xor_b32 s13, exec_lo, -1
; %bb.13310:                            ;   in Loop: Header=BB6_10858 Depth=3
	s_or_b32 exec_lo, exec_lo, s34
	s_delay_alu instid0(SALU_CYCLE_1)
	s_and_b32 s13, s13, exec_lo
	s_or_saveexec_b32 s31, s31
	v_mov_b32_e32 v76, s17
	s_xor_b32 exec_lo, exec_lo, s31
	s_cbranch_execz .LBB6_11938
.LBB6_13311:                            ;   in Loop: Header=BB6_10858 Depth=3
	v_cmp_ne_u16_e32 vcc_lo, 0, v73
	v_mov_b32_e32 v76, 0
	s_and_not1_b32 s13, s13, exec_lo
	s_and_b32 s17, vcc_lo, exec_lo
	s_delay_alu instid0(SALU_CYCLE_1)
	s_or_b32 s13, s13, s17
	s_or_b32 exec_lo, exec_lo, s31
	s_and_saveexec_b32 s17, s13
	s_cbranch_execnz .LBB6_11939
	s_branch .LBB6_11940
.LBB6_13312:                            ;   in Loop: Header=BB6_10858 Depth=3
	s_mov_b32 s13, -1
	s_mov_b32 s34, exec_lo
                                        ; implicit-def: $sgpr17
	v_cmpx_eq_u16_e32 0x80, v74
; %bb.13313:                            ;   in Loop: Header=BB6_10858 Depth=3
	s_mov_b32 s17, 0x7f800001
	s_xor_b32 s13, exec_lo, -1
; %bb.13314:                            ;   in Loop: Header=BB6_10858 Depth=3
	s_or_b32 exec_lo, exec_lo, s34
	s_delay_alu instid0(SALU_CYCLE_1)
	s_and_b32 s13, s13, exec_lo
	s_or_saveexec_b32 s31, s31
	v_mov_b32_e32 v75, s17
	s_xor_b32 exec_lo, exec_lo, s31
	s_cbranch_execz .LBB6_11945
.LBB6_13315:                            ;   in Loop: Header=BB6_10858 Depth=3
	v_cmp_ne_u16_e32 vcc_lo, 0, v74
	v_mov_b32_e32 v75, 0
	s_and_not1_b32 s13, s13, exec_lo
	s_and_b32 s17, vcc_lo, exec_lo
	s_delay_alu instid0(SALU_CYCLE_1)
	s_or_b32 s13, s13, s17
	s_or_b32 exec_lo, exec_lo, s31
	s_and_saveexec_b32 s17, s13
	s_cbranch_execnz .LBB6_11946
	s_branch .LBB6_11947
.LBB6_13316:                            ;   in Loop: Header=BB6_10858 Depth=3
	s_mov_b32 s13, -1
	s_mov_b32 s34, exec_lo
                                        ; implicit-def: $sgpr17
	v_cmpx_eq_u16_e32 0x80, v73
; %bb.13317:                            ;   in Loop: Header=BB6_10858 Depth=3
	s_mov_b32 s17, 0x7f800001
	s_xor_b32 s13, exec_lo, -1
; %bb.13318:                            ;   in Loop: Header=BB6_10858 Depth=3
	s_or_b32 exec_lo, exec_lo, s34
	s_delay_alu instid0(SALU_CYCLE_1)
	s_and_b32 s13, s13, exec_lo
	s_or_saveexec_b32 s31, s31
	v_mov_b32_e32 v74, s17
	s_xor_b32 exec_lo, exec_lo, s31
	s_cbranch_execz .LBB6_11949
.LBB6_13319:                            ;   in Loop: Header=BB6_10858 Depth=3
	v_cmp_ne_u16_e32 vcc_lo, 0, v73
	v_mov_b32_e32 v74, 0
	s_and_not1_b32 s13, s13, exec_lo
	s_and_b32 s17, vcc_lo, exec_lo
	s_delay_alu instid0(SALU_CYCLE_1)
	s_or_b32 s13, s13, s17
	s_or_b32 exec_lo, exec_lo, s31
	s_and_saveexec_b32 s17, s13
	s_cbranch_execnz .LBB6_11950
	s_branch .LBB6_11951
.LBB6_13320:                            ;   in Loop: Header=BB6_10858 Depth=3
	s_mov_b32 s13, -1
	s_mov_b32 s34, exec_lo
                                        ; implicit-def: $sgpr17
	v_cmpx_eq_u16_e32 0x80, v77
; %bb.13321:                            ;   in Loop: Header=BB6_10858 Depth=3
	s_mov_b32 s17, 0x7f800001
	s_xor_b32 s13, exec_lo, -1
; %bb.13322:                            ;   in Loop: Header=BB6_10858 Depth=3
	s_or_b32 exec_lo, exec_lo, s34
	s_delay_alu instid0(SALU_CYCLE_1)
	s_and_b32 s13, s13, exec_lo
                                        ; implicit-def: $vgpr77
	s_or_saveexec_b32 s31, s31
	v_mov_b32_e32 v76, s17
	s_xor_b32 exec_lo, exec_lo, s31
	s_cbranch_execz .LBB6_11963
.LBB6_13323:                            ;   in Loop: Header=BB6_10858 Depth=3
	v_cmp_ne_u16_e32 vcc_lo, 0, v77
	v_mov_b32_e32 v76, 0
	s_and_not1_b32 s13, s13, exec_lo
	s_and_b32 s17, vcc_lo, exec_lo
	s_delay_alu instid0(SALU_CYCLE_1)
	s_or_b32 s13, s13, s17
	s_or_b32 exec_lo, exec_lo, s31
	s_and_saveexec_b32 s17, s13
	s_cbranch_execnz .LBB6_11964
	s_branch .LBB6_11965
.LBB6_13324:                            ;   in Loop: Header=BB6_10858 Depth=3
	s_mov_b32 s13, -1
	s_mov_b32 s34, exec_lo
                                        ; implicit-def: $sgpr17
	v_cmpx_eq_u16_e32 0x80, v78
; %bb.13325:                            ;   in Loop: Header=BB6_10858 Depth=3
	s_mov_b32 s17, 0x7f800001
	s_xor_b32 s13, exec_lo, -1
; %bb.13326:                            ;   in Loop: Header=BB6_10858 Depth=3
	s_or_b32 exec_lo, exec_lo, s34
	s_delay_alu instid0(SALU_CYCLE_1)
	s_and_b32 s13, s13, exec_lo
                                        ; implicit-def: $vgpr78
	s_or_saveexec_b32 s31, s31
	v_mov_b32_e32 v77, s17
	s_xor_b32 exec_lo, exec_lo, s31
	s_cbranch_execz .LBB6_11967
.LBB6_13327:                            ;   in Loop: Header=BB6_10858 Depth=3
	v_cmp_ne_u16_e32 vcc_lo, 0, v78
	v_mov_b32_e32 v77, 0
	s_and_not1_b32 s13, s13, exec_lo
	s_and_b32 s17, vcc_lo, exec_lo
	s_delay_alu instid0(SALU_CYCLE_1)
	s_or_b32 s13, s13, s17
	s_or_b32 exec_lo, exec_lo, s31
	s_and_saveexec_b32 s17, s13
	s_cbranch_execnz .LBB6_11968
	s_branch .LBB6_11969
.LBB6_13328:                            ;   in Loop: Header=BB6_10858 Depth=3
	s_mov_b32 s13, -1
	s_mov_b32 s34, exec_lo
                                        ; implicit-def: $sgpr17
	v_cmpx_eq_u16_e32 0x80, v77
; %bb.13329:                            ;   in Loop: Header=BB6_10858 Depth=3
	s_mov_b32 s17, 0x7f800001
	s_xor_b32 s13, exec_lo, -1
; %bb.13330:                            ;   in Loop: Header=BB6_10858 Depth=3
	s_or_b32 exec_lo, exec_lo, s34
	s_delay_alu instid0(SALU_CYCLE_1)
	s_and_b32 s13, s13, exec_lo
                                        ; implicit-def: $vgpr77
	s_or_saveexec_b32 s31, s31
	v_mov_b32_e32 v76, s17
	s_xor_b32 exec_lo, exec_lo, s31
	s_cbranch_execz .LBB6_11974
.LBB6_13331:                            ;   in Loop: Header=BB6_10858 Depth=3
	v_cmp_ne_u16_e32 vcc_lo, 0, v77
	v_mov_b32_e32 v76, 0
	s_and_not1_b32 s13, s13, exec_lo
	s_and_b32 s17, vcc_lo, exec_lo
	s_delay_alu instid0(SALU_CYCLE_1)
	s_or_b32 s13, s13, s17
	s_or_b32 exec_lo, exec_lo, s31
	s_and_saveexec_b32 s17, s13
	s_cbranch_execnz .LBB6_11975
	s_branch .LBB6_11976
.LBB6_13332:                            ;   in Loop: Header=BB6_10858 Depth=3
	s_mov_b32 s13, -1
	s_mov_b32 s34, exec_lo
                                        ; implicit-def: $sgpr17
	v_cmpx_eq_u16_e32 0x80, v77
; %bb.13333:                            ;   in Loop: Header=BB6_10858 Depth=3
	s_mov_b32 s17, 0x7f800001
	s_xor_b32 s13, exec_lo, -1
; %bb.13334:                            ;   in Loop: Header=BB6_10858 Depth=3
	s_or_b32 exec_lo, exec_lo, s34
	s_delay_alu instid0(SALU_CYCLE_1)
	s_and_b32 s13, s13, exec_lo
                                        ; implicit-def: $vgpr77
	s_or_saveexec_b32 s31, s31
	v_mov_b32_e32 v75, s17
	s_xor_b32 exec_lo, exec_lo, s31
	s_cbranch_execz .LBB6_11978
.LBB6_13335:                            ;   in Loop: Header=BB6_10858 Depth=3
	v_cmp_ne_u16_e32 vcc_lo, 0, v77
	v_mov_b32_e32 v75, 0
	s_and_not1_b32 s13, s13, exec_lo
	s_and_b32 s17, vcc_lo, exec_lo
	s_delay_alu instid0(SALU_CYCLE_1)
	s_or_b32 s13, s13, s17
	s_or_b32 exec_lo, exec_lo, s31
	s_and_saveexec_b32 s17, s13
	s_cbranch_execnz .LBB6_11979
	s_branch .LBB6_11980
.LBB6_13336:                            ;   in Loop: Header=BB6_10858 Depth=3
	s_mov_b32 s13, -1
	s_mov_b32 s34, exec_lo
                                        ; implicit-def: $sgpr17
	v_cmpx_eq_u16_e32 0x80, v76
; %bb.13337:                            ;   in Loop: Header=BB6_10858 Depth=3
	s_mov_b32 s17, 0x7f800001
	s_xor_b32 s13, exec_lo, -1
; %bb.13338:                            ;   in Loop: Header=BB6_10858 Depth=3
	s_or_b32 exec_lo, exec_lo, s34
	s_delay_alu instid0(SALU_CYCLE_1)
	s_and_b32 s13, s13, exec_lo
	s_or_saveexec_b32 s31, s31
	v_mov_b32_e32 v77, s17
	s_xor_b32 exec_lo, exec_lo, s31
	s_cbranch_execz .LBB6_11992
.LBB6_13339:                            ;   in Loop: Header=BB6_10858 Depth=3
	v_cmp_ne_u16_e32 vcc_lo, 0, v76
	v_mov_b32_e32 v77, 0
	s_and_not1_b32 s13, s13, exec_lo
	s_and_b32 s17, vcc_lo, exec_lo
	s_delay_alu instid0(SALU_CYCLE_1)
	s_or_b32 s13, s13, s17
	s_or_b32 exec_lo, exec_lo, s31
	s_and_saveexec_b32 s17, s13
	s_cbranch_execnz .LBB6_11993
	s_branch .LBB6_11994
.LBB6_13340:                            ;   in Loop: Header=BB6_10858 Depth=3
	s_mov_b32 s13, -1
	s_mov_b32 s34, exec_lo
                                        ; implicit-def: $sgpr17
	v_cmpx_eq_u16_e32 0x80, v75
; %bb.13341:                            ;   in Loop: Header=BB6_10858 Depth=3
	s_mov_b32 s17, 0x7f800001
	s_xor_b32 s13, exec_lo, -1
; %bb.13342:                            ;   in Loop: Header=BB6_10858 Depth=3
	s_or_b32 exec_lo, exec_lo, s34
	s_delay_alu instid0(SALU_CYCLE_1)
	s_and_b32 s13, s13, exec_lo
	s_or_saveexec_b32 s31, s31
	v_mov_b32_e32 v78, s17
	s_xor_b32 exec_lo, exec_lo, s31
	s_cbranch_execz .LBB6_11996
.LBB6_13343:                            ;   in Loop: Header=BB6_10858 Depth=3
	v_cmp_ne_u16_e32 vcc_lo, 0, v75
	v_mov_b32_e32 v78, 0
	s_and_not1_b32 s13, s13, exec_lo
	s_and_b32 s17, vcc_lo, exec_lo
	s_delay_alu instid0(SALU_CYCLE_1)
	s_or_b32 s13, s13, s17
	s_or_b32 exec_lo, exec_lo, s31
	s_and_saveexec_b32 s17, s13
	s_cbranch_execnz .LBB6_11997
	s_branch .LBB6_11998
.LBB6_13344:                            ;   in Loop: Header=BB6_10858 Depth=3
	s_mov_b32 s13, -1
	s_mov_b32 s34, exec_lo
                                        ; implicit-def: $sgpr17
	v_cmpx_eq_u16_e32 0x80, v76
; %bb.13345:                            ;   in Loop: Header=BB6_10858 Depth=3
	s_mov_b32 s17, 0x7f800001
	s_xor_b32 s13, exec_lo, -1
; %bb.13346:                            ;   in Loop: Header=BB6_10858 Depth=3
	s_or_b32 exec_lo, exec_lo, s34
	s_delay_alu instid0(SALU_CYCLE_1)
	s_and_b32 s13, s13, exec_lo
	s_or_saveexec_b32 s31, s31
	v_mov_b32_e32 v77, s17
	s_xor_b32 exec_lo, exec_lo, s31
	s_cbranch_execz .LBB6_12003
.LBB6_13347:                            ;   in Loop: Header=BB6_10858 Depth=3
	v_cmp_ne_u16_e32 vcc_lo, 0, v76
	v_mov_b32_e32 v77, 0
	s_and_not1_b32 s13, s13, exec_lo
	s_and_b32 s17, vcc_lo, exec_lo
	s_delay_alu instid0(SALU_CYCLE_1)
	s_or_b32 s13, s13, s17
	s_or_b32 exec_lo, exec_lo, s31
	s_and_saveexec_b32 s17, s13
	s_cbranch_execnz .LBB6_12004
	s_branch .LBB6_12005
.LBB6_13348:                            ;   in Loop: Header=BB6_10858 Depth=3
	s_mov_b32 s13, -1
	s_mov_b32 s34, exec_lo
                                        ; implicit-def: $sgpr17
	v_cmpx_eq_u16_e32 0x80, v75
; %bb.13349:                            ;   in Loop: Header=BB6_10858 Depth=3
	s_mov_b32 s17, 0x7f800001
	s_xor_b32 s13, exec_lo, -1
; %bb.13350:                            ;   in Loop: Header=BB6_10858 Depth=3
	s_or_b32 exec_lo, exec_lo, s34
	s_delay_alu instid0(SALU_CYCLE_1)
	s_and_b32 s13, s13, exec_lo
	s_or_saveexec_b32 s31, s31
	v_mov_b32_e32 v21, s17
	s_xor_b32 exec_lo, exec_lo, s31
	s_cbranch_execz .LBB6_12007
.LBB6_13351:                            ;   in Loop: Header=BB6_10858 Depth=3
	v_cmp_ne_u16_e32 vcc_lo, 0, v75
	v_mov_b32_e32 v21, 0
	s_and_not1_b32 s13, s13, exec_lo
	s_and_b32 s17, vcc_lo, exec_lo
	s_delay_alu instid0(SALU_CYCLE_1)
	s_or_b32 s13, s13, s17
	s_or_b32 exec_lo, exec_lo, s31
	s_and_saveexec_b32 s17, s13
	s_cbranch_execnz .LBB6_12008
	s_branch .LBB6_12009
.LBB6_13352:                            ;   in Loop: Header=BB6_10858 Depth=3
	s_mov_b32 s13, -1
	s_mov_b32 s34, exec_lo
                                        ; implicit-def: $sgpr17
	v_cmpx_eq_u16_e32 0x80, v75
; %bb.13353:                            ;   in Loop: Header=BB6_10858 Depth=3
	s_mov_b32 s17, 0x7f800001
	s_xor_b32 s13, exec_lo, -1
; %bb.13354:                            ;   in Loop: Header=BB6_10858 Depth=3
	s_or_b32 exec_lo, exec_lo, s34
	s_delay_alu instid0(SALU_CYCLE_1)
	s_and_b32 s13, s13, exec_lo
                                        ; implicit-def: $vgpr75
	s_or_saveexec_b32 s31, s31
	v_mov_b32_e32 v21, s17
	s_xor_b32 exec_lo, exec_lo, s31
	s_cbranch_execz .LBB6_12021
.LBB6_13355:                            ;   in Loop: Header=BB6_10858 Depth=3
	v_cmp_ne_u16_e32 vcc_lo, 0, v75
	v_mov_b32_e32 v21, 0
	s_and_not1_b32 s13, s13, exec_lo
	s_and_b32 s17, vcc_lo, exec_lo
	s_delay_alu instid0(SALU_CYCLE_1)
	s_or_b32 s13, s13, s17
	s_or_b32 exec_lo, exec_lo, s31
	s_and_saveexec_b32 s17, s13
	s_cbranch_execnz .LBB6_12022
	s_branch .LBB6_12023
.LBB6_13356:                            ;   in Loop: Header=BB6_10858 Depth=3
	s_mov_b32 s13, -1
	s_mov_b32 s34, exec_lo
                                        ; implicit-def: $sgpr17
	v_cmpx_eq_u16_e32 0x80, v76
; %bb.13357:                            ;   in Loop: Header=BB6_10858 Depth=3
	s_mov_b32 s17, 0x7f800001
	s_xor_b32 s13, exec_lo, -1
; %bb.13358:                            ;   in Loop: Header=BB6_10858 Depth=3
	s_or_b32 exec_lo, exec_lo, s34
	s_delay_alu instid0(SALU_CYCLE_1)
	s_and_b32 s13, s13, exec_lo
                                        ; implicit-def: $vgpr76
	s_or_saveexec_b32 s31, s31
	v_mov_b32_e32 v75, s17
	s_xor_b32 exec_lo, exec_lo, s31
	s_cbranch_execz .LBB6_12025
.LBB6_13359:                            ;   in Loop: Header=BB6_10858 Depth=3
	v_cmp_ne_u16_e32 vcc_lo, 0, v76
	v_mov_b32_e32 v75, 0
	s_and_not1_b32 s13, s13, exec_lo
	s_and_b32 s17, vcc_lo, exec_lo
	s_delay_alu instid0(SALU_CYCLE_1)
	s_or_b32 s13, s13, s17
	s_or_b32 exec_lo, exec_lo, s31
	s_and_saveexec_b32 s17, s13
	s_cbranch_execnz .LBB6_12026
	s_branch .LBB6_12027
.LBB6_13360:                            ;   in Loop: Header=BB6_10858 Depth=3
	s_mov_b32 s13, -1
	s_mov_b32 s34, exec_lo
                                        ; implicit-def: $sgpr17
	v_cmpx_eq_u16_e32 0x80, v75
; %bb.13361:                            ;   in Loop: Header=BB6_10858 Depth=3
	s_mov_b32 s17, 0x7f800001
	s_xor_b32 s13, exec_lo, -1
; %bb.13362:                            ;   in Loop: Header=BB6_10858 Depth=3
	s_or_b32 exec_lo, exec_lo, s34
	s_delay_alu instid0(SALU_CYCLE_1)
	s_and_b32 s13, s13, exec_lo
                                        ; implicit-def: $vgpr75
	s_or_saveexec_b32 s31, s31
	v_mov_b32_e32 v21, s17
	s_xor_b32 exec_lo, exec_lo, s31
	s_cbranch_execz .LBB6_12032
.LBB6_13363:                            ;   in Loop: Header=BB6_10858 Depth=3
	v_cmp_ne_u16_e32 vcc_lo, 0, v75
	v_mov_b32_e32 v21, 0
	s_and_not1_b32 s13, s13, exec_lo
	s_and_b32 s17, vcc_lo, exec_lo
	s_delay_alu instid0(SALU_CYCLE_1)
	s_or_b32 s13, s13, s17
	s_or_b32 exec_lo, exec_lo, s31
	s_and_saveexec_b32 s17, s13
	s_cbranch_execnz .LBB6_12033
	s_branch .LBB6_12034
.LBB6_13364:                            ;   in Loop: Header=BB6_10858 Depth=3
	s_mov_b32 s13, -1
	s_mov_b32 s34, exec_lo
                                        ; implicit-def: $sgpr17
	v_cmpx_eq_u16_e32 0x80, v76
; %bb.13365:                            ;   in Loop: Header=BB6_10858 Depth=3
	s_mov_b32 s17, 0x7f800001
	s_xor_b32 s13, exec_lo, -1
; %bb.13366:                            ;   in Loop: Header=BB6_10858 Depth=3
	s_or_b32 exec_lo, exec_lo, s34
	s_delay_alu instid0(SALU_CYCLE_1)
	s_and_b32 s13, s13, exec_lo
                                        ; implicit-def: $vgpr76
	s_or_saveexec_b32 s31, s31
	v_mov_b32_e32 v75, s17
	s_xor_b32 exec_lo, exec_lo, s31
	s_cbranch_execz .LBB6_12036
.LBB6_13367:                            ;   in Loop: Header=BB6_10858 Depth=3
	v_cmp_ne_u16_e32 vcc_lo, 0, v76
	v_mov_b32_e32 v75, 0
	s_and_not1_b32 s13, s13, exec_lo
	s_and_b32 s17, vcc_lo, exec_lo
	s_delay_alu instid0(SALU_CYCLE_1)
	s_or_b32 s13, s13, s17
	s_or_b32 exec_lo, exec_lo, s31
	s_and_saveexec_b32 s17, s13
	s_cbranch_execnz .LBB6_12037
	s_branch .LBB6_12038
.LBB6_13368:                            ;   in Loop: Header=BB6_10858 Depth=3
	s_mov_b32 s13, -1
	s_mov_b32 s34, exec_lo
                                        ; implicit-def: $sgpr17
	v_cmpx_eq_u16_e32 0x80, v76
; %bb.13369:                            ;   in Loop: Header=BB6_10858 Depth=3
	s_mov_b32 s17, 0x7f800001
	s_xor_b32 s13, exec_lo, -1
; %bb.13370:                            ;   in Loop: Header=BB6_10858 Depth=3
	s_or_b32 exec_lo, exec_lo, s34
	s_delay_alu instid0(SALU_CYCLE_1)
	s_and_b32 s13, s13, exec_lo
	s_or_saveexec_b32 s31, s31
	v_mov_b32_e32 v77, s17
	s_xor_b32 exec_lo, exec_lo, s31
	s_cbranch_execz .LBB6_12050
.LBB6_13371:                            ;   in Loop: Header=BB6_10858 Depth=3
	v_cmp_ne_u16_e32 vcc_lo, 0, v76
	v_mov_b32_e32 v77, 0
	s_and_not1_b32 s13, s13, exec_lo
	s_and_b32 s17, vcc_lo, exec_lo
	s_delay_alu instid0(SALU_CYCLE_1)
	s_or_b32 s13, s13, s17
	s_or_b32 exec_lo, exec_lo, s31
	s_and_saveexec_b32 s17, s13
	s_cbranch_execnz .LBB6_12051
	s_branch .LBB6_12052
.LBB6_13372:                            ;   in Loop: Header=BB6_10858 Depth=3
	s_mov_b32 s13, -1
	s_mov_b32 s34, exec_lo
                                        ; implicit-def: $sgpr17
	v_cmpx_eq_u16_e32 0x80, v75
; %bb.13373:                            ;   in Loop: Header=BB6_10858 Depth=3
	s_mov_b32 s17, 0x7f800001
	s_xor_b32 s13, exec_lo, -1
; %bb.13374:                            ;   in Loop: Header=BB6_10858 Depth=3
	s_or_b32 exec_lo, exec_lo, s34
	s_delay_alu instid0(SALU_CYCLE_1)
	s_and_b32 s13, s13, exec_lo
	s_or_saveexec_b32 s31, s31
	v_mov_b32_e32 v78, s17
	s_xor_b32 exec_lo, exec_lo, s31
	s_cbranch_execz .LBB6_12054
.LBB6_13375:                            ;   in Loop: Header=BB6_10858 Depth=3
	v_cmp_ne_u16_e32 vcc_lo, 0, v75
	v_mov_b32_e32 v78, 0
	s_and_not1_b32 s13, s13, exec_lo
	s_and_b32 s17, vcc_lo, exec_lo
	s_delay_alu instid0(SALU_CYCLE_1)
	s_or_b32 s13, s13, s17
	s_or_b32 exec_lo, exec_lo, s31
	s_and_saveexec_b32 s17, s13
	s_cbranch_execnz .LBB6_12055
	s_branch .LBB6_12056
.LBB6_13376:                            ;   in Loop: Header=BB6_10858 Depth=3
	s_mov_b32 s13, -1
	s_mov_b32 s34, exec_lo
                                        ; implicit-def: $sgpr17
	v_cmpx_eq_u16_e32 0x80, v76
; %bb.13377:                            ;   in Loop: Header=BB6_10858 Depth=3
	s_mov_b32 s17, 0x7f800001
	s_xor_b32 s13, exec_lo, -1
; %bb.13378:                            ;   in Loop: Header=BB6_10858 Depth=3
	s_or_b32 exec_lo, exec_lo, s34
	s_delay_alu instid0(SALU_CYCLE_1)
	s_and_b32 s13, s13, exec_lo
	s_or_saveexec_b32 s31, s31
	v_mov_b32_e32 v77, s17
	s_xor_b32 exec_lo, exec_lo, s31
	s_cbranch_execz .LBB6_12061
.LBB6_13379:                            ;   in Loop: Header=BB6_10858 Depth=3
	v_cmp_ne_u16_e32 vcc_lo, 0, v76
	v_mov_b32_e32 v77, 0
	s_and_not1_b32 s13, s13, exec_lo
	s_and_b32 s17, vcc_lo, exec_lo
	s_delay_alu instid0(SALU_CYCLE_1)
	s_or_b32 s13, s13, s17
	s_or_b32 exec_lo, exec_lo, s31
	s_and_saveexec_b32 s17, s13
	s_cbranch_execnz .LBB6_12062
	s_branch .LBB6_12063
.LBB6_13380:                            ;   in Loop: Header=BB6_10858 Depth=3
	s_mov_b32 s13, -1
	s_mov_b32 s34, exec_lo
                                        ; implicit-def: $sgpr17
	v_cmpx_eq_u16_e32 0x80, v75
; %bb.13381:                            ;   in Loop: Header=BB6_10858 Depth=3
	s_mov_b32 s17, 0x7f800001
	s_xor_b32 s13, exec_lo, -1
; %bb.13382:                            ;   in Loop: Header=BB6_10858 Depth=3
	s_or_b32 exec_lo, exec_lo, s34
	s_delay_alu instid0(SALU_CYCLE_1)
	s_and_b32 s13, s13, exec_lo
	s_or_saveexec_b32 s31, s31
	v_mov_b32_e32 v76, s17
	s_xor_b32 exec_lo, exec_lo, s31
	s_cbranch_execz .LBB6_12065
.LBB6_13383:                            ;   in Loop: Header=BB6_10858 Depth=3
	v_cmp_ne_u16_e32 vcc_lo, 0, v75
	v_mov_b32_e32 v76, 0
	s_and_not1_b32 s13, s13, exec_lo
	s_and_b32 s17, vcc_lo, exec_lo
	s_delay_alu instid0(SALU_CYCLE_1)
	s_or_b32 s13, s13, s17
	s_or_b32 exec_lo, exec_lo, s31
	s_and_saveexec_b32 s17, s13
	s_cbranch_execnz .LBB6_12066
	s_branch .LBB6_12067
.LBB6_13384:                            ;   in Loop: Header=BB6_10858 Depth=3
	s_mov_b32 s13, -1
	s_mov_b32 s34, exec_lo
                                        ; implicit-def: $sgpr17
	v_cmpx_eq_u16_e32 0x80, v79
; %bb.13385:                            ;   in Loop: Header=BB6_10858 Depth=3
	s_mov_b32 s17, 0x7f800001
	s_xor_b32 s13, exec_lo, -1
; %bb.13386:                            ;   in Loop: Header=BB6_10858 Depth=3
	s_or_b32 exec_lo, exec_lo, s34
	s_delay_alu instid0(SALU_CYCLE_1)
	s_and_b32 s13, s13, exec_lo
                                        ; implicit-def: $vgpr79
	s_or_saveexec_b32 s31, s31
	v_mov_b32_e32 v78, s17
	s_xor_b32 exec_lo, exec_lo, s31
	s_cbranch_execz .LBB6_12079
.LBB6_13387:                            ;   in Loop: Header=BB6_10858 Depth=3
	v_cmp_ne_u16_e32 vcc_lo, 0, v79
	v_mov_b32_e32 v78, 0
	s_and_not1_b32 s13, s13, exec_lo
	s_and_b32 s17, vcc_lo, exec_lo
	s_delay_alu instid0(SALU_CYCLE_1)
	s_or_b32 s13, s13, s17
	s_or_b32 exec_lo, exec_lo, s31
	s_and_saveexec_b32 s17, s13
	s_cbranch_execnz .LBB6_12080
	s_branch .LBB6_12081
.LBB6_13388:                            ;   in Loop: Header=BB6_10858 Depth=3
	s_mov_b32 s13, -1
	s_mov_b32 s34, exec_lo
                                        ; implicit-def: $sgpr17
	v_cmpx_eq_u16_e32 0x80, v88
; %bb.13389:                            ;   in Loop: Header=BB6_10858 Depth=3
	s_mov_b32 s17, 0x7f800001
	s_xor_b32 s13, exec_lo, -1
; %bb.13390:                            ;   in Loop: Header=BB6_10858 Depth=3
	s_or_b32 exec_lo, exec_lo, s34
	s_delay_alu instid0(SALU_CYCLE_1)
	s_and_b32 s13, s13, exec_lo
                                        ; implicit-def: $vgpr88
	s_or_saveexec_b32 s31, s31
	v_mov_b32_e32 v79, s17
	s_xor_b32 exec_lo, exec_lo, s31
	s_cbranch_execz .LBB6_12083
.LBB6_13391:                            ;   in Loop: Header=BB6_10858 Depth=3
	v_cmp_ne_u16_e32 vcc_lo, 0, v88
	v_mov_b32_e32 v79, 0
	s_and_not1_b32 s13, s13, exec_lo
	s_and_b32 s17, vcc_lo, exec_lo
	s_delay_alu instid0(SALU_CYCLE_1)
	s_or_b32 s13, s13, s17
	s_or_b32 exec_lo, exec_lo, s31
	s_and_saveexec_b32 s17, s13
	s_cbranch_execnz .LBB6_12084
	s_branch .LBB6_12085
.LBB6_13392:                            ;   in Loop: Header=BB6_10858 Depth=3
	s_mov_b32 s13, -1
	s_mov_b32 s34, exec_lo
                                        ; implicit-def: $sgpr17
	v_cmpx_eq_u16_e32 0x80, v79
; %bb.13393:                            ;   in Loop: Header=BB6_10858 Depth=3
	s_mov_b32 s17, 0x7f800001
	s_xor_b32 s13, exec_lo, -1
; %bb.13394:                            ;   in Loop: Header=BB6_10858 Depth=3
	s_or_b32 exec_lo, exec_lo, s34
	s_delay_alu instid0(SALU_CYCLE_1)
	s_and_b32 s13, s13, exec_lo
                                        ; implicit-def: $vgpr79
	s_or_saveexec_b32 s31, s31
	v_mov_b32_e32 v78, s17
	s_xor_b32 exec_lo, exec_lo, s31
	s_cbranch_execz .LBB6_12090
.LBB6_13395:                            ;   in Loop: Header=BB6_10858 Depth=3
	v_cmp_ne_u16_e32 vcc_lo, 0, v79
	v_mov_b32_e32 v78, 0
	s_and_not1_b32 s13, s13, exec_lo
	s_and_b32 s17, vcc_lo, exec_lo
	s_delay_alu instid0(SALU_CYCLE_1)
	s_or_b32 s13, s13, s17
	s_or_b32 exec_lo, exec_lo, s31
	s_and_saveexec_b32 s17, s13
	s_cbranch_execnz .LBB6_12091
	s_branch .LBB6_12092
.LBB6_13396:                            ;   in Loop: Header=BB6_10858 Depth=3
	s_mov_b32 s13, -1
	s_mov_b32 s34, exec_lo
                                        ; implicit-def: $sgpr17
	v_cmpx_eq_u16_e32 0x80, v79
; %bb.13397:                            ;   in Loop: Header=BB6_10858 Depth=3
	s_mov_b32 s17, 0x7f800001
	s_xor_b32 s13, exec_lo, -1
; %bb.13398:                            ;   in Loop: Header=BB6_10858 Depth=3
	s_or_b32 exec_lo, exec_lo, s34
	s_delay_alu instid0(SALU_CYCLE_1)
	s_and_b32 s13, s13, exec_lo
                                        ; implicit-def: $vgpr79
	s_or_saveexec_b32 s31, s31
	v_mov_b32_e32 v77, s17
	s_xor_b32 exec_lo, exec_lo, s31
	s_cbranch_execz .LBB6_12094
.LBB6_13399:                            ;   in Loop: Header=BB6_10858 Depth=3
	v_cmp_ne_u16_e32 vcc_lo, 0, v79
	v_mov_b32_e32 v77, 0
	s_and_not1_b32 s13, s13, exec_lo
	s_and_b32 s17, vcc_lo, exec_lo
	s_delay_alu instid0(SALU_CYCLE_1)
	s_or_b32 s13, s13, s17
	s_or_b32 exec_lo, exec_lo, s31
	s_and_saveexec_b32 s17, s13
	s_cbranch_execnz .LBB6_12095
	s_branch .LBB6_12096
.LBB6_13400:                            ;   in Loop: Header=BB6_10858 Depth=3
	s_mov_b32 s13, -1
	s_mov_b32 s34, exec_lo
                                        ; implicit-def: $sgpr17
	v_cmpx_eq_u16_e32 0x80, v78
; %bb.13401:                            ;   in Loop: Header=BB6_10858 Depth=3
	s_mov_b32 s17, 0x7f800001
	s_xor_b32 s13, exec_lo, -1
; %bb.13402:                            ;   in Loop: Header=BB6_10858 Depth=3
	s_or_b32 exec_lo, exec_lo, s34
	s_delay_alu instid0(SALU_CYCLE_1)
	s_and_b32 s13, s13, exec_lo
	s_or_saveexec_b32 s31, s31
	v_mov_b32_e32 v79, s17
	s_xor_b32 exec_lo, exec_lo, s31
	s_cbranch_execz .LBB6_12108
.LBB6_13403:                            ;   in Loop: Header=BB6_10858 Depth=3
	v_cmp_ne_u16_e32 vcc_lo, 0, v78
	v_mov_b32_e32 v79, 0
	s_and_not1_b32 s13, s13, exec_lo
	s_and_b32 s17, vcc_lo, exec_lo
	s_delay_alu instid0(SALU_CYCLE_1)
	s_or_b32 s13, s13, s17
	s_or_b32 exec_lo, exec_lo, s31
	s_and_saveexec_b32 s17, s13
	s_cbranch_execnz .LBB6_12109
	s_branch .LBB6_12110
.LBB6_13404:                            ;   in Loop: Header=BB6_10858 Depth=3
	s_mov_b32 s13, -1
	s_mov_b32 s34, exec_lo
                                        ; implicit-def: $sgpr17
	v_cmpx_eq_u16_e32 0x80, v77
; %bb.13405:                            ;   in Loop: Header=BB6_10858 Depth=3
	s_mov_b32 s17, 0x7f800001
	s_xor_b32 s13, exec_lo, -1
; %bb.13406:                            ;   in Loop: Header=BB6_10858 Depth=3
	s_or_b32 exec_lo, exec_lo, s34
	s_delay_alu instid0(SALU_CYCLE_1)
	s_and_b32 s13, s13, exec_lo
	s_or_saveexec_b32 s31, s31
	v_mov_b32_e32 v88, s17
	s_xor_b32 exec_lo, exec_lo, s31
	s_cbranch_execz .LBB6_12112
.LBB6_13407:                            ;   in Loop: Header=BB6_10858 Depth=3
	v_cmp_ne_u16_e32 vcc_lo, 0, v77
	v_mov_b32_e32 v88, 0
	s_and_not1_b32 s13, s13, exec_lo
	s_and_b32 s17, vcc_lo, exec_lo
	s_delay_alu instid0(SALU_CYCLE_1)
	s_or_b32 s13, s13, s17
	s_or_b32 exec_lo, exec_lo, s31
	s_and_saveexec_b32 s17, s13
	s_cbranch_execnz .LBB6_12113
	s_branch .LBB6_12114
.LBB6_13408:                            ;   in Loop: Header=BB6_10858 Depth=3
	s_mov_b32 s13, -1
	s_mov_b32 s34, exec_lo
                                        ; implicit-def: $sgpr17
	v_cmpx_eq_u16_e32 0x80, v78
; %bb.13409:                            ;   in Loop: Header=BB6_10858 Depth=3
	s_mov_b32 s17, 0x7f800001
	s_xor_b32 s13, exec_lo, -1
; %bb.13410:                            ;   in Loop: Header=BB6_10858 Depth=3
	s_or_b32 exec_lo, exec_lo, s34
	s_delay_alu instid0(SALU_CYCLE_1)
	s_and_b32 s13, s13, exec_lo
	s_or_saveexec_b32 s31, s31
	v_mov_b32_e32 v79, s17
	s_xor_b32 exec_lo, exec_lo, s31
	s_cbranch_execz .LBB6_12119
.LBB6_13411:                            ;   in Loop: Header=BB6_10858 Depth=3
	v_cmp_ne_u16_e32 vcc_lo, 0, v78
	v_mov_b32_e32 v79, 0
	s_and_not1_b32 s13, s13, exec_lo
	s_and_b32 s17, vcc_lo, exec_lo
	s_delay_alu instid0(SALU_CYCLE_1)
	s_or_b32 s13, s13, s17
	s_or_b32 exec_lo, exec_lo, s31
	s_and_saveexec_b32 s17, s13
	s_cbranch_execnz .LBB6_12120
	s_branch .LBB6_12121
.LBB6_13412:                            ;   in Loop: Header=BB6_10858 Depth=3
	s_mov_b32 s13, -1
	s_mov_b32 s34, exec_lo
                                        ; implicit-def: $sgpr17
	v_cmpx_eq_u16_e32 0x80, v77
; %bb.13413:                            ;   in Loop: Header=BB6_10858 Depth=3
	s_mov_b32 s17, 0x7f800001
	s_xor_b32 s13, exec_lo, -1
; %bb.13414:                            ;   in Loop: Header=BB6_10858 Depth=3
	s_or_b32 exec_lo, exec_lo, s34
	s_delay_alu instid0(SALU_CYCLE_1)
	s_and_b32 s13, s13, exec_lo
	s_or_saveexec_b32 s31, s31
	v_mov_b32_e32 v22, s17
	s_xor_b32 exec_lo, exec_lo, s31
	s_cbranch_execz .LBB6_12123
.LBB6_13415:                            ;   in Loop: Header=BB6_10858 Depth=3
	v_cmp_ne_u16_e32 vcc_lo, 0, v77
	v_mov_b32_e32 v22, 0
	s_and_not1_b32 s13, s13, exec_lo
	s_and_b32 s17, vcc_lo, exec_lo
	s_delay_alu instid0(SALU_CYCLE_1)
	s_or_b32 s13, s13, s17
	s_or_b32 exec_lo, exec_lo, s31
	s_and_saveexec_b32 s17, s13
	s_cbranch_execnz .LBB6_12124
	s_branch .LBB6_12125
.LBB6_13416:                            ;   in Loop: Header=BB6_10858 Depth=3
	s_mov_b32 s13, -1
	s_mov_b32 s34, exec_lo
                                        ; implicit-def: $sgpr17
	v_cmpx_eq_u16_e32 0x80, v77
; %bb.13417:                            ;   in Loop: Header=BB6_10858 Depth=3
	s_mov_b32 s17, 0x7f800001
	s_xor_b32 s13, exec_lo, -1
; %bb.13418:                            ;   in Loop: Header=BB6_10858 Depth=3
	s_or_b32 exec_lo, exec_lo, s34
	s_delay_alu instid0(SALU_CYCLE_1)
	s_and_b32 s13, s13, exec_lo
                                        ; implicit-def: $vgpr77
	s_or_saveexec_b32 s31, s31
	v_mov_b32_e32 v22, s17
	s_xor_b32 exec_lo, exec_lo, s31
	s_cbranch_execz .LBB6_12137
.LBB6_13419:                            ;   in Loop: Header=BB6_10858 Depth=3
	v_cmp_ne_u16_e32 vcc_lo, 0, v77
	v_mov_b32_e32 v22, 0
	s_and_not1_b32 s13, s13, exec_lo
	s_and_b32 s17, vcc_lo, exec_lo
	s_delay_alu instid0(SALU_CYCLE_1)
	s_or_b32 s13, s13, s17
	s_or_b32 exec_lo, exec_lo, s31
	s_and_saveexec_b32 s17, s13
	s_cbranch_execnz .LBB6_12138
	s_branch .LBB6_12139
.LBB6_13420:                            ;   in Loop: Header=BB6_10858 Depth=3
	s_mov_b32 s13, -1
	s_mov_b32 s34, exec_lo
                                        ; implicit-def: $sgpr17
	v_cmpx_eq_u16_e32 0x80, v78
; %bb.13421:                            ;   in Loop: Header=BB6_10858 Depth=3
	s_mov_b32 s17, 0x7f800001
	s_xor_b32 s13, exec_lo, -1
; %bb.13422:                            ;   in Loop: Header=BB6_10858 Depth=3
	s_or_b32 exec_lo, exec_lo, s34
	s_delay_alu instid0(SALU_CYCLE_1)
	s_and_b32 s13, s13, exec_lo
                                        ; implicit-def: $vgpr78
	s_or_saveexec_b32 s31, s31
	v_mov_b32_e32 v77, s17
	s_xor_b32 exec_lo, exec_lo, s31
	s_cbranch_execz .LBB6_12141
.LBB6_13423:                            ;   in Loop: Header=BB6_10858 Depth=3
	v_cmp_ne_u16_e32 vcc_lo, 0, v78
	v_mov_b32_e32 v77, 0
	s_and_not1_b32 s13, s13, exec_lo
	s_and_b32 s17, vcc_lo, exec_lo
	s_delay_alu instid0(SALU_CYCLE_1)
	s_or_b32 s13, s13, s17
	s_or_b32 exec_lo, exec_lo, s31
	s_and_saveexec_b32 s17, s13
	s_cbranch_execnz .LBB6_12142
	s_branch .LBB6_12143
.LBB6_13424:                            ;   in Loop: Header=BB6_10858 Depth=3
	s_mov_b32 s13, -1
	s_mov_b32 s34, exec_lo
                                        ; implicit-def: $sgpr17
	v_cmpx_eq_u16_e32 0x80, v77
; %bb.13425:                            ;   in Loop: Header=BB6_10858 Depth=3
	s_mov_b32 s17, 0x7f800001
	s_xor_b32 s13, exec_lo, -1
; %bb.13426:                            ;   in Loop: Header=BB6_10858 Depth=3
	s_or_b32 exec_lo, exec_lo, s34
	s_delay_alu instid0(SALU_CYCLE_1)
	s_and_b32 s13, s13, exec_lo
                                        ; implicit-def: $vgpr77
	s_or_saveexec_b32 s31, s31
	v_mov_b32_e32 v22, s17
	s_xor_b32 exec_lo, exec_lo, s31
	s_cbranch_execz .LBB6_12148
.LBB6_13427:                            ;   in Loop: Header=BB6_10858 Depth=3
	v_cmp_ne_u16_e32 vcc_lo, 0, v77
	v_mov_b32_e32 v22, 0
	s_and_not1_b32 s13, s13, exec_lo
	s_and_b32 s17, vcc_lo, exec_lo
	s_delay_alu instid0(SALU_CYCLE_1)
	s_or_b32 s13, s13, s17
	s_or_b32 exec_lo, exec_lo, s31
	s_and_saveexec_b32 s17, s13
	s_cbranch_execnz .LBB6_12149
	s_branch .LBB6_12150
.LBB6_13428:                            ;   in Loop: Header=BB6_10858 Depth=3
	s_mov_b32 s13, -1
	s_mov_b32 s34, exec_lo
                                        ; implicit-def: $sgpr17
	v_cmpx_eq_u16_e32 0x80, v78
; %bb.13429:                            ;   in Loop: Header=BB6_10858 Depth=3
	s_mov_b32 s17, 0x7f800001
	s_xor_b32 s13, exec_lo, -1
; %bb.13430:                            ;   in Loop: Header=BB6_10858 Depth=3
	s_or_b32 exec_lo, exec_lo, s34
	s_delay_alu instid0(SALU_CYCLE_1)
	s_and_b32 s13, s13, exec_lo
                                        ; implicit-def: $vgpr78
	s_or_saveexec_b32 s31, s31
	v_mov_b32_e32 v77, s17
	s_xor_b32 exec_lo, exec_lo, s31
	s_cbranch_execz .LBB6_12152
.LBB6_13431:                            ;   in Loop: Header=BB6_10858 Depth=3
	v_cmp_ne_u16_e32 vcc_lo, 0, v78
	v_mov_b32_e32 v77, 0
	s_and_not1_b32 s13, s13, exec_lo
	s_and_b32 s17, vcc_lo, exec_lo
	s_delay_alu instid0(SALU_CYCLE_1)
	s_or_b32 s13, s13, s17
	s_or_b32 exec_lo, exec_lo, s31
	s_and_saveexec_b32 s17, s13
	s_cbranch_execnz .LBB6_12153
	s_branch .LBB6_12154
.LBB6_13432:                            ;   in Loop: Header=BB6_10858 Depth=3
	s_mov_b32 s13, -1
	s_mov_b32 s34, exec_lo
                                        ; implicit-def: $sgpr17
	v_cmpx_eq_u16_e32 0x80, v78
; %bb.13433:                            ;   in Loop: Header=BB6_10858 Depth=3
	s_mov_b32 s17, 0x7f800001
	s_xor_b32 s13, exec_lo, -1
; %bb.13434:                            ;   in Loop: Header=BB6_10858 Depth=3
	s_or_b32 exec_lo, exec_lo, s34
	s_delay_alu instid0(SALU_CYCLE_1)
	s_and_b32 s13, s13, exec_lo
	s_or_saveexec_b32 s31, s31
	v_mov_b32_e32 v79, s17
	s_xor_b32 exec_lo, exec_lo, s31
	s_cbranch_execz .LBB6_12166
.LBB6_13435:                            ;   in Loop: Header=BB6_10858 Depth=3
	v_cmp_ne_u16_e32 vcc_lo, 0, v78
	v_mov_b32_e32 v79, 0
	s_and_not1_b32 s13, s13, exec_lo
	s_and_b32 s17, vcc_lo, exec_lo
	s_delay_alu instid0(SALU_CYCLE_1)
	s_or_b32 s13, s13, s17
	s_or_b32 exec_lo, exec_lo, s31
	s_and_saveexec_b32 s17, s13
	s_cbranch_execnz .LBB6_12167
	s_branch .LBB6_12168
.LBB6_13436:                            ;   in Loop: Header=BB6_10858 Depth=3
	s_mov_b32 s13, -1
	s_mov_b32 s34, exec_lo
                                        ; implicit-def: $sgpr17
	v_cmpx_eq_u16_e32 0x80, v77
; %bb.13437:                            ;   in Loop: Header=BB6_10858 Depth=3
	s_mov_b32 s17, 0x7f800001
	s_xor_b32 s13, exec_lo, -1
; %bb.13438:                            ;   in Loop: Header=BB6_10858 Depth=3
	s_or_b32 exec_lo, exec_lo, s34
	s_delay_alu instid0(SALU_CYCLE_1)
	s_and_b32 s13, s13, exec_lo
	s_or_saveexec_b32 s31, s31
	v_mov_b32_e32 v88, s17
	s_xor_b32 exec_lo, exec_lo, s31
	s_cbranch_execz .LBB6_12170
.LBB6_13439:                            ;   in Loop: Header=BB6_10858 Depth=3
	v_cmp_ne_u16_e32 vcc_lo, 0, v77
	v_mov_b32_e32 v88, 0
	s_and_not1_b32 s13, s13, exec_lo
	s_and_b32 s17, vcc_lo, exec_lo
	s_delay_alu instid0(SALU_CYCLE_1)
	s_or_b32 s13, s13, s17
	s_or_b32 exec_lo, exec_lo, s31
	s_and_saveexec_b32 s17, s13
	s_cbranch_execnz .LBB6_12171
	s_branch .LBB6_12172
.LBB6_13440:                            ;   in Loop: Header=BB6_10858 Depth=3
	s_mov_b32 s13, -1
	s_mov_b32 s34, exec_lo
                                        ; implicit-def: $sgpr17
	v_cmpx_eq_u16_e32 0x80, v78
; %bb.13441:                            ;   in Loop: Header=BB6_10858 Depth=3
	s_mov_b32 s17, 0x7f800001
	s_xor_b32 s13, exec_lo, -1
; %bb.13442:                            ;   in Loop: Header=BB6_10858 Depth=3
	s_or_b32 exec_lo, exec_lo, s34
	s_delay_alu instid0(SALU_CYCLE_1)
	s_and_b32 s13, s13, exec_lo
	s_or_saveexec_b32 s31, s31
	v_mov_b32_e32 v79, s17
	s_xor_b32 exec_lo, exec_lo, s31
	s_cbranch_execz .LBB6_12177
.LBB6_13443:                            ;   in Loop: Header=BB6_10858 Depth=3
	v_cmp_ne_u16_e32 vcc_lo, 0, v78
	v_mov_b32_e32 v79, 0
	s_and_not1_b32 s13, s13, exec_lo
	s_and_b32 s17, vcc_lo, exec_lo
	s_delay_alu instid0(SALU_CYCLE_1)
	s_or_b32 s13, s13, s17
	s_or_b32 exec_lo, exec_lo, s31
	s_and_saveexec_b32 s17, s13
	s_cbranch_execnz .LBB6_12178
	s_branch .LBB6_12179
.LBB6_13444:                            ;   in Loop: Header=BB6_10858 Depth=3
	s_mov_b32 s13, -1
	s_mov_b32 s34, exec_lo
                                        ; implicit-def: $sgpr17
	v_cmpx_eq_u16_e32 0x80, v77
; %bb.13445:                            ;   in Loop: Header=BB6_10858 Depth=3
	s_mov_b32 s17, 0x7f800001
	s_xor_b32 s13, exec_lo, -1
; %bb.13446:                            ;   in Loop: Header=BB6_10858 Depth=3
	s_or_b32 exec_lo, exec_lo, s34
	s_delay_alu instid0(SALU_CYCLE_1)
	s_and_b32 s13, s13, exec_lo
	s_or_saveexec_b32 s31, s31
	v_mov_b32_e32 v78, s17
	s_xor_b32 exec_lo, exec_lo, s31
	s_cbranch_execz .LBB6_12181
.LBB6_13447:                            ;   in Loop: Header=BB6_10858 Depth=3
	v_cmp_ne_u16_e32 vcc_lo, 0, v77
	v_mov_b32_e32 v78, 0
	s_and_not1_b32 s13, s13, exec_lo
	s_and_b32 s17, vcc_lo, exec_lo
	s_delay_alu instid0(SALU_CYCLE_1)
	s_or_b32 s13, s13, s17
	s_or_b32 exec_lo, exec_lo, s31
	s_and_saveexec_b32 s17, s13
	s_cbranch_execnz .LBB6_12182
	s_branch .LBB6_12183
.LBB6_13448:                            ;   in Loop: Header=BB6_10858 Depth=3
	s_mov_b32 s13, -1
	s_mov_b32 s34, exec_lo
                                        ; implicit-def: $sgpr17
	v_cmpx_eq_u16_e32 0x80, v89
; %bb.13449:                            ;   in Loop: Header=BB6_10858 Depth=3
	s_mov_b32 s17, 0x7f800001
	s_xor_b32 s13, exec_lo, -1
; %bb.13450:                            ;   in Loop: Header=BB6_10858 Depth=3
	s_or_b32 exec_lo, exec_lo, s34
	s_delay_alu instid0(SALU_CYCLE_1)
	s_and_b32 s13, s13, exec_lo
                                        ; implicit-def: $vgpr89
	s_or_saveexec_b32 s31, s31
	v_mov_b32_e32 v88, s17
	s_xor_b32 exec_lo, exec_lo, s31
	s_cbranch_execz .LBB6_12195
.LBB6_13451:                            ;   in Loop: Header=BB6_10858 Depth=3
	v_cmp_ne_u16_e32 vcc_lo, 0, v89
	v_mov_b32_e32 v88, 0
	s_and_not1_b32 s13, s13, exec_lo
	s_and_b32 s17, vcc_lo, exec_lo
	s_delay_alu instid0(SALU_CYCLE_1)
	s_or_b32 s13, s13, s17
	s_or_b32 exec_lo, exec_lo, s31
	s_and_saveexec_b32 s17, s13
	s_cbranch_execnz .LBB6_12196
	s_branch .LBB6_12197
.LBB6_13452:                            ;   in Loop: Header=BB6_10858 Depth=3
	s_mov_b32 s13, -1
	s_mov_b32 s34, exec_lo
                                        ; implicit-def: $sgpr17
	v_cmpx_eq_u16_e32 0x80, v90
; %bb.13453:                            ;   in Loop: Header=BB6_10858 Depth=3
	s_mov_b32 s17, 0x7f800001
	s_xor_b32 s13, exec_lo, -1
; %bb.13454:                            ;   in Loop: Header=BB6_10858 Depth=3
	s_or_b32 exec_lo, exec_lo, s34
	s_delay_alu instid0(SALU_CYCLE_1)
	s_and_b32 s13, s13, exec_lo
                                        ; implicit-def: $vgpr90
	s_or_saveexec_b32 s31, s31
	v_mov_b32_e32 v89, s17
	s_xor_b32 exec_lo, exec_lo, s31
	s_cbranch_execz .LBB6_12199
.LBB6_13455:                            ;   in Loop: Header=BB6_10858 Depth=3
	v_cmp_ne_u16_e32 vcc_lo, 0, v90
	v_mov_b32_e32 v89, 0
	s_and_not1_b32 s13, s13, exec_lo
	s_and_b32 s17, vcc_lo, exec_lo
	s_delay_alu instid0(SALU_CYCLE_1)
	s_or_b32 s13, s13, s17
	s_or_b32 exec_lo, exec_lo, s31
	s_and_saveexec_b32 s17, s13
	s_cbranch_execnz .LBB6_12200
	s_branch .LBB6_12201
.LBB6_13456:                            ;   in Loop: Header=BB6_10858 Depth=3
	s_mov_b32 s13, -1
	s_mov_b32 s34, exec_lo
                                        ; implicit-def: $sgpr17
	v_cmpx_eq_u16_e32 0x80, v89
; %bb.13457:                            ;   in Loop: Header=BB6_10858 Depth=3
	s_mov_b32 s17, 0x7f800001
	s_xor_b32 s13, exec_lo, -1
; %bb.13458:                            ;   in Loop: Header=BB6_10858 Depth=3
	s_or_b32 exec_lo, exec_lo, s34
	s_delay_alu instid0(SALU_CYCLE_1)
	s_and_b32 s13, s13, exec_lo
                                        ; implicit-def: $vgpr89
	s_or_saveexec_b32 s31, s31
	v_mov_b32_e32 v88, s17
	s_xor_b32 exec_lo, exec_lo, s31
	s_cbranch_execz .LBB6_12206
.LBB6_13459:                            ;   in Loop: Header=BB6_10858 Depth=3
	v_cmp_ne_u16_e32 vcc_lo, 0, v89
	v_mov_b32_e32 v88, 0
	s_and_not1_b32 s13, s13, exec_lo
	s_and_b32 s17, vcc_lo, exec_lo
	s_delay_alu instid0(SALU_CYCLE_1)
	s_or_b32 s13, s13, s17
	s_or_b32 exec_lo, exec_lo, s31
	s_and_saveexec_b32 s17, s13
	s_cbranch_execnz .LBB6_12207
	s_branch .LBB6_12208
.LBB6_13460:                            ;   in Loop: Header=BB6_10858 Depth=3
	s_mov_b32 s13, -1
	s_mov_b32 s34, exec_lo
                                        ; implicit-def: $sgpr17
	v_cmpx_eq_u16_e32 0x80, v89
; %bb.13461:                            ;   in Loop: Header=BB6_10858 Depth=3
	s_mov_b32 s17, 0x7f800001
	s_xor_b32 s13, exec_lo, -1
; %bb.13462:                            ;   in Loop: Header=BB6_10858 Depth=3
	s_or_b32 exec_lo, exec_lo, s34
	s_delay_alu instid0(SALU_CYCLE_1)
	s_and_b32 s13, s13, exec_lo
                                        ; implicit-def: $vgpr89
	s_or_saveexec_b32 s31, s31
	v_mov_b32_e32 v79, s17
	s_xor_b32 exec_lo, exec_lo, s31
	s_cbranch_execz .LBB6_12210
.LBB6_13463:                            ;   in Loop: Header=BB6_10858 Depth=3
	v_cmp_ne_u16_e32 vcc_lo, 0, v89
	v_mov_b32_e32 v79, 0
	s_and_not1_b32 s13, s13, exec_lo
	s_and_b32 s17, vcc_lo, exec_lo
	s_delay_alu instid0(SALU_CYCLE_1)
	s_or_b32 s13, s13, s17
	s_or_b32 exec_lo, exec_lo, s31
	s_and_saveexec_b32 s17, s13
	s_cbranch_execnz .LBB6_12211
	s_branch .LBB6_12212
.LBB6_13464:                            ;   in Loop: Header=BB6_10858 Depth=3
	s_mov_b32 s13, -1
	s_mov_b32 s34, exec_lo
                                        ; implicit-def: $sgpr17
	v_cmpx_eq_u16_e32 0x80, v88
; %bb.13465:                            ;   in Loop: Header=BB6_10858 Depth=3
	s_mov_b32 s17, 0x7f800001
	s_xor_b32 s13, exec_lo, -1
; %bb.13466:                            ;   in Loop: Header=BB6_10858 Depth=3
	s_or_b32 exec_lo, exec_lo, s34
	s_delay_alu instid0(SALU_CYCLE_1)
	s_and_b32 s13, s13, exec_lo
	s_or_saveexec_b32 s31, s31
	v_mov_b32_e32 v89, s17
	s_xor_b32 exec_lo, exec_lo, s31
	s_cbranch_execz .LBB6_12224
.LBB6_13467:                            ;   in Loop: Header=BB6_10858 Depth=3
	v_cmp_ne_u16_e32 vcc_lo, 0, v88
	v_mov_b32_e32 v89, 0
	s_and_not1_b32 s13, s13, exec_lo
	s_and_b32 s17, vcc_lo, exec_lo
	s_delay_alu instid0(SALU_CYCLE_1)
	s_or_b32 s13, s13, s17
	s_or_b32 exec_lo, exec_lo, s31
	s_and_saveexec_b32 s17, s13
	s_cbranch_execnz .LBB6_12225
	s_branch .LBB6_12226
.LBB6_13468:                            ;   in Loop: Header=BB6_10858 Depth=3
	s_mov_b32 s13, -1
	s_mov_b32 s34, exec_lo
                                        ; implicit-def: $sgpr17
	v_cmpx_eq_u16_e32 0x80, v79
; %bb.13469:                            ;   in Loop: Header=BB6_10858 Depth=3
	s_mov_b32 s17, 0x7f800001
	s_xor_b32 s13, exec_lo, -1
; %bb.13470:                            ;   in Loop: Header=BB6_10858 Depth=3
	s_or_b32 exec_lo, exec_lo, s34
	s_delay_alu instid0(SALU_CYCLE_1)
	s_and_b32 s13, s13, exec_lo
	s_or_saveexec_b32 s31, s31
	v_mov_b32_e32 v90, s17
	s_xor_b32 exec_lo, exec_lo, s31
	s_cbranch_execz .LBB6_12228
.LBB6_13471:                            ;   in Loop: Header=BB6_10858 Depth=3
	v_cmp_ne_u16_e32 vcc_lo, 0, v79
	v_mov_b32_e32 v90, 0
	s_and_not1_b32 s13, s13, exec_lo
	s_and_b32 s17, vcc_lo, exec_lo
	s_delay_alu instid0(SALU_CYCLE_1)
	s_or_b32 s13, s13, s17
	s_or_b32 exec_lo, exec_lo, s31
	s_and_saveexec_b32 s17, s13
	s_cbranch_execnz .LBB6_12229
	s_branch .LBB6_12230
.LBB6_13472:                            ;   in Loop: Header=BB6_10858 Depth=3
	s_mov_b32 s13, -1
	s_mov_b32 s34, exec_lo
                                        ; implicit-def: $sgpr17
	v_cmpx_eq_u16_e32 0x80, v88
; %bb.13473:                            ;   in Loop: Header=BB6_10858 Depth=3
	s_mov_b32 s17, 0x7f800001
	s_xor_b32 s13, exec_lo, -1
; %bb.13474:                            ;   in Loop: Header=BB6_10858 Depth=3
	s_or_b32 exec_lo, exec_lo, s34
	s_delay_alu instid0(SALU_CYCLE_1)
	s_and_b32 s13, s13, exec_lo
	s_or_saveexec_b32 s31, s31
	v_mov_b32_e32 v89, s17
	s_xor_b32 exec_lo, exec_lo, s31
	s_cbranch_execz .LBB6_12235
.LBB6_13475:                            ;   in Loop: Header=BB6_10858 Depth=3
	v_cmp_ne_u16_e32 vcc_lo, 0, v88
	v_mov_b32_e32 v89, 0
	s_and_not1_b32 s13, s13, exec_lo
	s_and_b32 s17, vcc_lo, exec_lo
	s_delay_alu instid0(SALU_CYCLE_1)
	s_or_b32 s13, s13, s17
	s_or_b32 exec_lo, exec_lo, s31
	s_and_saveexec_b32 s17, s13
	s_cbranch_execnz .LBB6_12236
	s_branch .LBB6_12237
.LBB6_13476:                            ;   in Loop: Header=BB6_10858 Depth=3
	s_mov_b32 s13, -1
	s_mov_b32 s34, exec_lo
                                        ; implicit-def: $sgpr17
	v_cmpx_eq_u16_e32 0x80, v79
; %bb.13477:                            ;   in Loop: Header=BB6_10858 Depth=3
	s_mov_b32 s17, 0x7f800001
	s_xor_b32 s13, exec_lo, -1
; %bb.13478:                            ;   in Loop: Header=BB6_10858 Depth=3
	s_or_b32 exec_lo, exec_lo, s34
	s_delay_alu instid0(SALU_CYCLE_1)
	s_and_b32 s13, s13, exec_lo
	s_or_saveexec_b32 s31, s31
	v_mov_b32_e32 v23, s17
	s_xor_b32 exec_lo, exec_lo, s31
	s_cbranch_execz .LBB6_12239
.LBB6_13479:                            ;   in Loop: Header=BB6_10858 Depth=3
	v_cmp_ne_u16_e32 vcc_lo, 0, v79
	v_mov_b32_e32 v23, 0
	s_and_not1_b32 s13, s13, exec_lo
	s_and_b32 s17, vcc_lo, exec_lo
	s_delay_alu instid0(SALU_CYCLE_1)
	s_or_b32 s13, s13, s17
	s_or_b32 exec_lo, exec_lo, s31
	s_and_saveexec_b32 s17, s13
	s_cbranch_execnz .LBB6_12240
	s_branch .LBB6_12241
.LBB6_13480:                            ;   in Loop: Header=BB6_10858 Depth=3
	s_mov_b32 s13, -1
	s_mov_b32 s34, exec_lo
                                        ; implicit-def: $sgpr17
	v_cmpx_eq_u16_e32 0x80, v79
; %bb.13481:                            ;   in Loop: Header=BB6_10858 Depth=3
	s_mov_b32 s17, 0x7f800001
	s_xor_b32 s13, exec_lo, -1
; %bb.13482:                            ;   in Loop: Header=BB6_10858 Depth=3
	s_or_b32 exec_lo, exec_lo, s34
	s_delay_alu instid0(SALU_CYCLE_1)
	s_and_b32 s13, s13, exec_lo
                                        ; implicit-def: $vgpr79
	s_or_saveexec_b32 s31, s31
	v_mov_b32_e32 v23, s17
	s_xor_b32 exec_lo, exec_lo, s31
	s_cbranch_execz .LBB6_12253
.LBB6_13483:                            ;   in Loop: Header=BB6_10858 Depth=3
	v_cmp_ne_u16_e32 vcc_lo, 0, v79
	v_mov_b32_e32 v23, 0
	s_and_not1_b32 s13, s13, exec_lo
	s_and_b32 s17, vcc_lo, exec_lo
	s_delay_alu instid0(SALU_CYCLE_1)
	s_or_b32 s13, s13, s17
	s_or_b32 exec_lo, exec_lo, s31
	s_and_saveexec_b32 s17, s13
	s_cbranch_execnz .LBB6_12254
	s_branch .LBB6_12255
.LBB6_13484:                            ;   in Loop: Header=BB6_10858 Depth=3
	s_mov_b32 s13, -1
	s_mov_b32 s34, exec_lo
                                        ; implicit-def: $sgpr17
	v_cmpx_eq_u16_e32 0x80, v88
; %bb.13485:                            ;   in Loop: Header=BB6_10858 Depth=3
	s_mov_b32 s17, 0x7f800001
	s_xor_b32 s13, exec_lo, -1
; %bb.13486:                            ;   in Loop: Header=BB6_10858 Depth=3
	s_or_b32 exec_lo, exec_lo, s34
	s_delay_alu instid0(SALU_CYCLE_1)
	s_and_b32 s13, s13, exec_lo
                                        ; implicit-def: $vgpr88
	s_or_saveexec_b32 s31, s31
	v_mov_b32_e32 v79, s17
	s_xor_b32 exec_lo, exec_lo, s31
	s_cbranch_execz .LBB6_12257
.LBB6_13487:                            ;   in Loop: Header=BB6_10858 Depth=3
	v_cmp_ne_u16_e32 vcc_lo, 0, v88
	v_mov_b32_e32 v79, 0
	s_and_not1_b32 s13, s13, exec_lo
	s_and_b32 s17, vcc_lo, exec_lo
	s_delay_alu instid0(SALU_CYCLE_1)
	s_or_b32 s13, s13, s17
	s_or_b32 exec_lo, exec_lo, s31
	s_and_saveexec_b32 s17, s13
	s_cbranch_execnz .LBB6_12258
	s_branch .LBB6_12259
.LBB6_13488:                            ;   in Loop: Header=BB6_10858 Depth=3
	s_mov_b32 s13, -1
	s_mov_b32 s34, exec_lo
                                        ; implicit-def: $sgpr17
	v_cmpx_eq_u16_e32 0x80, v79
; %bb.13489:                            ;   in Loop: Header=BB6_10858 Depth=3
	s_mov_b32 s17, 0x7f800001
	s_xor_b32 s13, exec_lo, -1
; %bb.13490:                            ;   in Loop: Header=BB6_10858 Depth=3
	s_or_b32 exec_lo, exec_lo, s34
	s_delay_alu instid0(SALU_CYCLE_1)
	s_and_b32 s13, s13, exec_lo
                                        ; implicit-def: $vgpr79
	s_or_saveexec_b32 s31, s31
	v_mov_b32_e32 v23, s17
	s_xor_b32 exec_lo, exec_lo, s31
	s_cbranch_execz .LBB6_12264
.LBB6_13491:                            ;   in Loop: Header=BB6_10858 Depth=3
	v_cmp_ne_u16_e32 vcc_lo, 0, v79
	v_mov_b32_e32 v23, 0
	s_and_not1_b32 s13, s13, exec_lo
	s_and_b32 s17, vcc_lo, exec_lo
	s_delay_alu instid0(SALU_CYCLE_1)
	s_or_b32 s13, s13, s17
	s_or_b32 exec_lo, exec_lo, s31
	s_and_saveexec_b32 s17, s13
	s_cbranch_execnz .LBB6_12265
	s_branch .LBB6_12266
.LBB6_13492:                            ;   in Loop: Header=BB6_10858 Depth=3
	s_mov_b32 s13, -1
	s_mov_b32 s34, exec_lo
                                        ; implicit-def: $sgpr17
	v_cmpx_eq_u16_e32 0x80, v88
; %bb.13493:                            ;   in Loop: Header=BB6_10858 Depth=3
	s_mov_b32 s17, 0x7f800001
	s_xor_b32 s13, exec_lo, -1
; %bb.13494:                            ;   in Loop: Header=BB6_10858 Depth=3
	s_or_b32 exec_lo, exec_lo, s34
	s_delay_alu instid0(SALU_CYCLE_1)
	s_and_b32 s13, s13, exec_lo
                                        ; implicit-def: $vgpr88
	s_or_saveexec_b32 s31, s31
	v_mov_b32_e32 v79, s17
	s_xor_b32 exec_lo, exec_lo, s31
	s_cbranch_execz .LBB6_12268
.LBB6_13495:                            ;   in Loop: Header=BB6_10858 Depth=3
	v_cmp_ne_u16_e32 vcc_lo, 0, v88
	v_mov_b32_e32 v79, 0
	s_and_not1_b32 s13, s13, exec_lo
	s_and_b32 s17, vcc_lo, exec_lo
	s_delay_alu instid0(SALU_CYCLE_1)
	s_or_b32 s13, s13, s17
	s_or_b32 exec_lo, exec_lo, s31
	s_and_saveexec_b32 s17, s13
	s_cbranch_execnz .LBB6_12269
	s_branch .LBB6_12270
.LBB6_13496:                            ;   in Loop: Header=BB6_10858 Depth=3
	s_mov_b32 s13, -1
	s_mov_b32 s34, exec_lo
                                        ; implicit-def: $sgpr17
	v_cmpx_eq_u16_e32 0x80, v88
; %bb.13497:                            ;   in Loop: Header=BB6_10858 Depth=3
	s_mov_b32 s17, 0x7f800001
	s_xor_b32 s13, exec_lo, -1
; %bb.13498:                            ;   in Loop: Header=BB6_10858 Depth=3
	s_or_b32 exec_lo, exec_lo, s34
	s_delay_alu instid0(SALU_CYCLE_1)
	s_and_b32 s13, s13, exec_lo
	s_or_saveexec_b32 s31, s31
	v_mov_b32_e32 v89, s17
	s_xor_b32 exec_lo, exec_lo, s31
	s_cbranch_execz .LBB6_12282
.LBB6_13499:                            ;   in Loop: Header=BB6_10858 Depth=3
	v_cmp_ne_u16_e32 vcc_lo, 0, v88
	v_mov_b32_e32 v89, 0
	s_and_not1_b32 s13, s13, exec_lo
	s_and_b32 s17, vcc_lo, exec_lo
	s_delay_alu instid0(SALU_CYCLE_1)
	s_or_b32 s13, s13, s17
	s_or_b32 exec_lo, exec_lo, s31
	s_and_saveexec_b32 s17, s13
	s_cbranch_execnz .LBB6_12283
	s_branch .LBB6_12284
.LBB6_13500:                            ;   in Loop: Header=BB6_10858 Depth=3
	s_mov_b32 s13, -1
	s_mov_b32 s34, exec_lo
                                        ; implicit-def: $sgpr17
	v_cmpx_eq_u16_e32 0x80, v79
; %bb.13501:                            ;   in Loop: Header=BB6_10858 Depth=3
	s_mov_b32 s17, 0x7f800001
	s_xor_b32 s13, exec_lo, -1
; %bb.13502:                            ;   in Loop: Header=BB6_10858 Depth=3
	s_or_b32 exec_lo, exec_lo, s34
	s_delay_alu instid0(SALU_CYCLE_1)
	s_and_b32 s13, s13, exec_lo
	s_or_saveexec_b32 s31, s31
	v_mov_b32_e32 v90, s17
	s_xor_b32 exec_lo, exec_lo, s31
	s_cbranch_execz .LBB6_12286
.LBB6_13503:                            ;   in Loop: Header=BB6_10858 Depth=3
	v_cmp_ne_u16_e32 vcc_lo, 0, v79
	v_mov_b32_e32 v90, 0
	s_and_not1_b32 s13, s13, exec_lo
	s_and_b32 s17, vcc_lo, exec_lo
	s_delay_alu instid0(SALU_CYCLE_1)
	s_or_b32 s13, s13, s17
	s_or_b32 exec_lo, exec_lo, s31
	s_and_saveexec_b32 s17, s13
	s_cbranch_execnz .LBB6_12287
	s_branch .LBB6_12288
.LBB6_13504:                            ;   in Loop: Header=BB6_10858 Depth=3
	s_mov_b32 s13, -1
	s_mov_b32 s34, exec_lo
                                        ; implicit-def: $sgpr17
	v_cmpx_eq_u16_e32 0x80, v88
; %bb.13505:                            ;   in Loop: Header=BB6_10858 Depth=3
	s_mov_b32 s17, 0x7f800001
	s_xor_b32 s13, exec_lo, -1
; %bb.13506:                            ;   in Loop: Header=BB6_10858 Depth=3
	s_or_b32 exec_lo, exec_lo, s34
	s_delay_alu instid0(SALU_CYCLE_1)
	s_and_b32 s13, s13, exec_lo
	s_or_saveexec_b32 s31, s31
	v_mov_b32_e32 v89, s17
	s_xor_b32 exec_lo, exec_lo, s31
	s_cbranch_execz .LBB6_12293
.LBB6_13507:                            ;   in Loop: Header=BB6_10858 Depth=3
	v_cmp_ne_u16_e32 vcc_lo, 0, v88
	v_mov_b32_e32 v89, 0
	s_and_not1_b32 s13, s13, exec_lo
	s_and_b32 s17, vcc_lo, exec_lo
	s_delay_alu instid0(SALU_CYCLE_1)
	s_or_b32 s13, s13, s17
	s_or_b32 exec_lo, exec_lo, s31
	s_and_saveexec_b32 s17, s13
	s_cbranch_execnz .LBB6_12294
	s_branch .LBB6_12295
.LBB6_13508:                            ;   in Loop: Header=BB6_10858 Depth=3
	s_mov_b32 s13, -1
	s_mov_b32 s34, exec_lo
                                        ; implicit-def: $sgpr17
	v_cmpx_eq_u16_e32 0x80, v79
; %bb.13509:                            ;   in Loop: Header=BB6_10858 Depth=3
	s_mov_b32 s17, 0x7f800001
	s_xor_b32 s13, exec_lo, -1
; %bb.13510:                            ;   in Loop: Header=BB6_10858 Depth=3
	s_or_b32 exec_lo, exec_lo, s34
	s_delay_alu instid0(SALU_CYCLE_1)
	s_and_b32 s13, s13, exec_lo
	s_or_saveexec_b32 s31, s31
	v_mov_b32_e32 v88, s17
	s_xor_b32 exec_lo, exec_lo, s31
	s_cbranch_execz .LBB6_12297
.LBB6_13511:                            ;   in Loop: Header=BB6_10858 Depth=3
	v_cmp_ne_u16_e32 vcc_lo, 0, v79
	v_mov_b32_e32 v88, 0
	s_and_not1_b32 s13, s13, exec_lo
	s_and_b32 s17, vcc_lo, exec_lo
	s_delay_alu instid0(SALU_CYCLE_1)
	s_or_b32 s13, s13, s17
	s_or_b32 exec_lo, exec_lo, s31
	s_and_saveexec_b32 s17, s13
	s_cbranch_execnz .LBB6_12298
	s_branch .LBB6_12299
.LBB6_13512:                            ;   in Loop: Header=BB6_10858 Depth=3
	s_mov_b32 s13, -1
	s_mov_b32 s34, exec_lo
                                        ; implicit-def: $sgpr17
	v_cmpx_eq_u16_e32 0x80, v91
; %bb.13513:                            ;   in Loop: Header=BB6_10858 Depth=3
	s_mov_b32 s17, 0x7f800001
	s_xor_b32 s13, exec_lo, -1
; %bb.13514:                            ;   in Loop: Header=BB6_10858 Depth=3
	s_or_b32 exec_lo, exec_lo, s34
	s_delay_alu instid0(SALU_CYCLE_1)
	s_and_b32 s13, s13, exec_lo
                                        ; implicit-def: $vgpr91
	s_or_saveexec_b32 s31, s31
	v_mov_b32_e32 v90, s17
	s_xor_b32 exec_lo, exec_lo, s31
	s_cbranch_execz .LBB6_12311
.LBB6_13515:                            ;   in Loop: Header=BB6_10858 Depth=3
	v_cmp_ne_u16_e32 vcc_lo, 0, v91
	v_mov_b32_e32 v90, 0
	s_and_not1_b32 s13, s13, exec_lo
	s_and_b32 s17, vcc_lo, exec_lo
	s_delay_alu instid0(SALU_CYCLE_1)
	s_or_b32 s13, s13, s17
	s_or_b32 exec_lo, exec_lo, s31
	s_and_saveexec_b32 s17, s13
	s_cbranch_execnz .LBB6_12312
	s_branch .LBB6_12313
.LBB6_13516:                            ;   in Loop: Header=BB6_10858 Depth=3
	s_mov_b32 s13, -1
	s_mov_b32 s34, exec_lo
                                        ; implicit-def: $sgpr17
	v_cmpx_eq_u16_e32 0x80, v92
; %bb.13517:                            ;   in Loop: Header=BB6_10858 Depth=3
	s_mov_b32 s17, 0x7f800001
	s_xor_b32 s13, exec_lo, -1
; %bb.13518:                            ;   in Loop: Header=BB6_10858 Depth=3
	s_or_b32 exec_lo, exec_lo, s34
	s_delay_alu instid0(SALU_CYCLE_1)
	s_and_b32 s13, s13, exec_lo
                                        ; implicit-def: $vgpr92
	s_or_saveexec_b32 s31, s31
	v_mov_b32_e32 v91, s17
	s_xor_b32 exec_lo, exec_lo, s31
	s_cbranch_execz .LBB6_12315
.LBB6_13519:                            ;   in Loop: Header=BB6_10858 Depth=3
	v_cmp_ne_u16_e32 vcc_lo, 0, v92
	v_mov_b32_e32 v91, 0
	s_and_not1_b32 s13, s13, exec_lo
	s_and_b32 s17, vcc_lo, exec_lo
	s_delay_alu instid0(SALU_CYCLE_1)
	s_or_b32 s13, s13, s17
	s_or_b32 exec_lo, exec_lo, s31
	s_and_saveexec_b32 s17, s13
	s_cbranch_execnz .LBB6_12316
	s_branch .LBB6_12317
.LBB6_13520:                            ;   in Loop: Header=BB6_10858 Depth=3
	s_mov_b32 s13, -1
	s_mov_b32 s34, exec_lo
                                        ; implicit-def: $sgpr17
	v_cmpx_eq_u16_e32 0x80, v91
; %bb.13521:                            ;   in Loop: Header=BB6_10858 Depth=3
	s_mov_b32 s17, 0x7f800001
	s_xor_b32 s13, exec_lo, -1
; %bb.13522:                            ;   in Loop: Header=BB6_10858 Depth=3
	s_or_b32 exec_lo, exec_lo, s34
	s_delay_alu instid0(SALU_CYCLE_1)
	s_and_b32 s13, s13, exec_lo
                                        ; implicit-def: $vgpr91
	s_or_saveexec_b32 s31, s31
	v_mov_b32_e32 v90, s17
	s_xor_b32 exec_lo, exec_lo, s31
	s_cbranch_execz .LBB6_12322
.LBB6_13523:                            ;   in Loop: Header=BB6_10858 Depth=3
	v_cmp_ne_u16_e32 vcc_lo, 0, v91
	v_mov_b32_e32 v90, 0
	s_and_not1_b32 s13, s13, exec_lo
	s_and_b32 s17, vcc_lo, exec_lo
	s_delay_alu instid0(SALU_CYCLE_1)
	s_or_b32 s13, s13, s17
	s_or_b32 exec_lo, exec_lo, s31
	s_and_saveexec_b32 s17, s13
	s_cbranch_execnz .LBB6_12323
	s_branch .LBB6_12324
.LBB6_13524:                            ;   in Loop: Header=BB6_10858 Depth=3
	s_mov_b32 s13, -1
	s_mov_b32 s34, exec_lo
                                        ; implicit-def: $sgpr17
	v_cmpx_eq_u16_e32 0x80, v91
; %bb.13525:                            ;   in Loop: Header=BB6_10858 Depth=3
	s_mov_b32 s17, 0x7f800001
	s_xor_b32 s13, exec_lo, -1
; %bb.13526:                            ;   in Loop: Header=BB6_10858 Depth=3
	s_or_b32 exec_lo, exec_lo, s34
	s_delay_alu instid0(SALU_CYCLE_1)
	s_and_b32 s13, s13, exec_lo
                                        ; implicit-def: $vgpr91
	s_or_saveexec_b32 s31, s31
	v_mov_b32_e32 v89, s17
	s_xor_b32 exec_lo, exec_lo, s31
	s_cbranch_execz .LBB6_12326
.LBB6_13527:                            ;   in Loop: Header=BB6_10858 Depth=3
	v_cmp_ne_u16_e32 vcc_lo, 0, v91
	v_mov_b32_e32 v89, 0
	s_and_not1_b32 s13, s13, exec_lo
	s_and_b32 s17, vcc_lo, exec_lo
	s_delay_alu instid0(SALU_CYCLE_1)
	s_or_b32 s13, s13, s17
	s_or_b32 exec_lo, exec_lo, s31
	s_and_saveexec_b32 s17, s13
	s_cbranch_execnz .LBB6_12327
	s_branch .LBB6_12328
.LBB6_13528:                            ;   in Loop: Header=BB6_10858 Depth=3
	s_mov_b32 s13, -1
	s_mov_b32 s34, exec_lo
                                        ; implicit-def: $sgpr17
	v_cmpx_eq_u16_e32 0x80, v90
; %bb.13529:                            ;   in Loop: Header=BB6_10858 Depth=3
	s_mov_b32 s17, 0x7f800001
	s_xor_b32 s13, exec_lo, -1
; %bb.13530:                            ;   in Loop: Header=BB6_10858 Depth=3
	s_or_b32 exec_lo, exec_lo, s34
	s_delay_alu instid0(SALU_CYCLE_1)
	s_and_b32 s13, s13, exec_lo
	s_or_saveexec_b32 s31, s31
	v_mov_b32_e32 v91, s17
	s_xor_b32 exec_lo, exec_lo, s31
	s_cbranch_execz .LBB6_12340
.LBB6_13531:                            ;   in Loop: Header=BB6_10858 Depth=3
	v_cmp_ne_u16_e32 vcc_lo, 0, v90
	v_mov_b32_e32 v91, 0
	s_and_not1_b32 s13, s13, exec_lo
	s_and_b32 s17, vcc_lo, exec_lo
	s_delay_alu instid0(SALU_CYCLE_1)
	s_or_b32 s13, s13, s17
	s_or_b32 exec_lo, exec_lo, s31
	s_and_saveexec_b32 s17, s13
	s_cbranch_execnz .LBB6_12341
	s_branch .LBB6_12342
.LBB6_13532:                            ;   in Loop: Header=BB6_10858 Depth=3
	s_mov_b32 s13, -1
	s_mov_b32 s34, exec_lo
                                        ; implicit-def: $sgpr17
	v_cmpx_eq_u16_e32 0x80, v89
; %bb.13533:                            ;   in Loop: Header=BB6_10858 Depth=3
	s_mov_b32 s17, 0x7f800001
	s_xor_b32 s13, exec_lo, -1
; %bb.13534:                            ;   in Loop: Header=BB6_10858 Depth=3
	s_or_b32 exec_lo, exec_lo, s34
	s_delay_alu instid0(SALU_CYCLE_1)
	s_and_b32 s13, s13, exec_lo
	s_or_saveexec_b32 s31, s31
	v_mov_b32_e32 v92, s17
	s_xor_b32 exec_lo, exec_lo, s31
	s_cbranch_execz .LBB6_12344
.LBB6_13535:                            ;   in Loop: Header=BB6_10858 Depth=3
	v_cmp_ne_u16_e32 vcc_lo, 0, v89
	v_mov_b32_e32 v92, 0
	s_and_not1_b32 s13, s13, exec_lo
	s_and_b32 s17, vcc_lo, exec_lo
	s_delay_alu instid0(SALU_CYCLE_1)
	s_or_b32 s13, s13, s17
	s_or_b32 exec_lo, exec_lo, s31
	s_and_saveexec_b32 s17, s13
	s_cbranch_execnz .LBB6_12345
	s_branch .LBB6_12346
.LBB6_13536:                            ;   in Loop: Header=BB6_10858 Depth=3
	s_mov_b32 s13, -1
	s_mov_b32 s34, exec_lo
                                        ; implicit-def: $sgpr17
	v_cmpx_eq_u16_e32 0x80, v90
; %bb.13537:                            ;   in Loop: Header=BB6_10858 Depth=3
	s_mov_b32 s17, 0x7f800001
	s_xor_b32 s13, exec_lo, -1
; %bb.13538:                            ;   in Loop: Header=BB6_10858 Depth=3
	s_or_b32 exec_lo, exec_lo, s34
	s_delay_alu instid0(SALU_CYCLE_1)
	s_and_b32 s13, s13, exec_lo
	s_or_saveexec_b32 s31, s31
	v_mov_b32_e32 v91, s17
	s_xor_b32 exec_lo, exec_lo, s31
	s_cbranch_execz .LBB6_12351
.LBB6_13539:                            ;   in Loop: Header=BB6_10858 Depth=3
	v_cmp_ne_u16_e32 vcc_lo, 0, v90
	v_mov_b32_e32 v91, 0
	s_and_not1_b32 s13, s13, exec_lo
	s_and_b32 s17, vcc_lo, exec_lo
	s_delay_alu instid0(SALU_CYCLE_1)
	s_or_b32 s13, s13, s17
	s_or_b32 exec_lo, exec_lo, s31
	s_and_saveexec_b32 s17, s13
	s_cbranch_execnz .LBB6_12352
	s_branch .LBB6_12353
.LBB6_13540:                            ;   in Loop: Header=BB6_10858 Depth=3
	s_mov_b32 s13, -1
	s_mov_b32 s34, exec_lo
                                        ; implicit-def: $sgpr17
	v_cmpx_eq_u16_e32 0x80, v89
; %bb.13541:                            ;   in Loop: Header=BB6_10858 Depth=3
	s_mov_b32 s17, 0x7f800001
	s_xor_b32 s13, exec_lo, -1
; %bb.13542:                            ;   in Loop: Header=BB6_10858 Depth=3
	s_or_b32 exec_lo, exec_lo, s34
	s_delay_alu instid0(SALU_CYCLE_1)
	s_and_b32 s13, s13, exec_lo
	s_or_saveexec_b32 s31, s31
	v_mov_b32_e32 v12, s17
	s_xor_b32 exec_lo, exec_lo, s31
	s_cbranch_execz .LBB6_12355
.LBB6_13543:                            ;   in Loop: Header=BB6_10858 Depth=3
	v_cmp_ne_u16_e32 vcc_lo, 0, v89
	v_mov_b32_e32 v12, 0
	s_and_not1_b32 s13, s13, exec_lo
	s_and_b32 s17, vcc_lo, exec_lo
	s_delay_alu instid0(SALU_CYCLE_1)
	s_or_b32 s13, s13, s17
	s_or_b32 exec_lo, exec_lo, s31
	s_and_saveexec_b32 s17, s13
	s_cbranch_execnz .LBB6_12356
	s_branch .LBB6_12357
.LBB6_13544:                            ;   in Loop: Header=BB6_10858 Depth=3
	s_mov_b32 s13, -1
	s_mov_b32 s34, exec_lo
                                        ; implicit-def: $sgpr17
	v_cmpx_eq_u16_e32 0x80, v89
; %bb.13545:                            ;   in Loop: Header=BB6_10858 Depth=3
	s_mov_b32 s17, 0x7f800001
	s_xor_b32 s13, exec_lo, -1
; %bb.13546:                            ;   in Loop: Header=BB6_10858 Depth=3
	s_or_b32 exec_lo, exec_lo, s34
	s_delay_alu instid0(SALU_CYCLE_1)
	s_and_b32 s13, s13, exec_lo
                                        ; implicit-def: $vgpr89
	s_or_saveexec_b32 s31, s31
	v_mov_b32_e32 v12, s17
	s_xor_b32 exec_lo, exec_lo, s31
	s_cbranch_execz .LBB6_12369
.LBB6_13547:                            ;   in Loop: Header=BB6_10858 Depth=3
	v_cmp_ne_u16_e32 vcc_lo, 0, v89
	v_mov_b32_e32 v12, 0
	s_and_not1_b32 s13, s13, exec_lo
	s_and_b32 s17, vcc_lo, exec_lo
	s_delay_alu instid0(SALU_CYCLE_1)
	s_or_b32 s13, s13, s17
	s_or_b32 exec_lo, exec_lo, s31
	s_and_saveexec_b32 s17, s13
	s_cbranch_execnz .LBB6_12370
	s_branch .LBB6_12371
.LBB6_13548:                            ;   in Loop: Header=BB6_10858 Depth=3
	s_mov_b32 s13, -1
	s_mov_b32 s34, exec_lo
                                        ; implicit-def: $sgpr17
	v_cmpx_eq_u16_e32 0x80, v90
; %bb.13549:                            ;   in Loop: Header=BB6_10858 Depth=3
	s_mov_b32 s17, 0x7f800001
	s_xor_b32 s13, exec_lo, -1
; %bb.13550:                            ;   in Loop: Header=BB6_10858 Depth=3
	s_or_b32 exec_lo, exec_lo, s34
	s_delay_alu instid0(SALU_CYCLE_1)
	s_and_b32 s13, s13, exec_lo
                                        ; implicit-def: $vgpr90
	s_or_saveexec_b32 s31, s31
	v_mov_b32_e32 v89, s17
	s_xor_b32 exec_lo, exec_lo, s31
	s_cbranch_execz .LBB6_12373
.LBB6_13551:                            ;   in Loop: Header=BB6_10858 Depth=3
	v_cmp_ne_u16_e32 vcc_lo, 0, v90
	v_mov_b32_e32 v89, 0
	s_and_not1_b32 s13, s13, exec_lo
	s_and_b32 s17, vcc_lo, exec_lo
	s_delay_alu instid0(SALU_CYCLE_1)
	s_or_b32 s13, s13, s17
	s_or_b32 exec_lo, exec_lo, s31
	s_and_saveexec_b32 s17, s13
	s_cbranch_execnz .LBB6_12374
	s_branch .LBB6_12375
.LBB6_13552:                            ;   in Loop: Header=BB6_10858 Depth=3
	s_mov_b32 s13, -1
	s_mov_b32 s34, exec_lo
                                        ; implicit-def: $sgpr17
	v_cmpx_eq_u16_e32 0x80, v89
; %bb.13553:                            ;   in Loop: Header=BB6_10858 Depth=3
	s_mov_b32 s17, 0x7f800001
	s_xor_b32 s13, exec_lo, -1
; %bb.13554:                            ;   in Loop: Header=BB6_10858 Depth=3
	s_or_b32 exec_lo, exec_lo, s34
	s_delay_alu instid0(SALU_CYCLE_1)
	s_and_b32 s13, s13, exec_lo
                                        ; implicit-def: $vgpr89
	s_or_saveexec_b32 s31, s31
	v_mov_b32_e32 v12, s17
	s_xor_b32 exec_lo, exec_lo, s31
	s_cbranch_execz .LBB6_12380
.LBB6_13555:                            ;   in Loop: Header=BB6_10858 Depth=3
	v_cmp_ne_u16_e32 vcc_lo, 0, v89
	v_mov_b32_e32 v12, 0
	s_and_not1_b32 s13, s13, exec_lo
	s_and_b32 s17, vcc_lo, exec_lo
	s_delay_alu instid0(SALU_CYCLE_1)
	s_or_b32 s13, s13, s17
	s_or_b32 exec_lo, exec_lo, s31
	s_and_saveexec_b32 s17, s13
	s_cbranch_execnz .LBB6_12381
	s_branch .LBB6_12382
.LBB6_13556:                            ;   in Loop: Header=BB6_10858 Depth=3
	s_mov_b32 s13, -1
	s_mov_b32 s34, exec_lo
                                        ; implicit-def: $sgpr17
	v_cmpx_eq_u16_e32 0x80, v90
; %bb.13557:                            ;   in Loop: Header=BB6_10858 Depth=3
	s_mov_b32 s17, 0x7f800001
	s_xor_b32 s13, exec_lo, -1
; %bb.13558:                            ;   in Loop: Header=BB6_10858 Depth=3
	s_or_b32 exec_lo, exec_lo, s34
	s_delay_alu instid0(SALU_CYCLE_1)
	s_and_b32 s13, s13, exec_lo
                                        ; implicit-def: $vgpr90
	s_or_saveexec_b32 s31, s31
	v_mov_b32_e32 v89, s17
	s_xor_b32 exec_lo, exec_lo, s31
	s_cbranch_execz .LBB6_12384
.LBB6_13559:                            ;   in Loop: Header=BB6_10858 Depth=3
	v_cmp_ne_u16_e32 vcc_lo, 0, v90
	v_mov_b32_e32 v89, 0
	s_and_not1_b32 s13, s13, exec_lo
	s_and_b32 s17, vcc_lo, exec_lo
	s_delay_alu instid0(SALU_CYCLE_1)
	s_or_b32 s13, s13, s17
	s_or_b32 exec_lo, exec_lo, s31
	s_and_saveexec_b32 s17, s13
	s_cbranch_execnz .LBB6_12385
	s_branch .LBB6_12386
.LBB6_13560:                            ;   in Loop: Header=BB6_10858 Depth=3
	s_mov_b32 s13, -1
	s_mov_b32 s34, exec_lo
                                        ; implicit-def: $sgpr17
	v_cmpx_eq_u16_e32 0x80, v90
; %bb.13561:                            ;   in Loop: Header=BB6_10858 Depth=3
	s_mov_b32 s17, 0x7f800001
	s_xor_b32 s13, exec_lo, -1
; %bb.13562:                            ;   in Loop: Header=BB6_10858 Depth=3
	s_or_b32 exec_lo, exec_lo, s34
	s_delay_alu instid0(SALU_CYCLE_1)
	s_and_b32 s13, s13, exec_lo
	s_or_saveexec_b32 s31, s31
	v_mov_b32_e32 v91, s17
	s_xor_b32 exec_lo, exec_lo, s31
	s_cbranch_execz .LBB6_12398
.LBB6_13563:                            ;   in Loop: Header=BB6_10858 Depth=3
	v_cmp_ne_u16_e32 vcc_lo, 0, v90
	v_mov_b32_e32 v91, 0
	s_and_not1_b32 s13, s13, exec_lo
	s_and_b32 s17, vcc_lo, exec_lo
	s_delay_alu instid0(SALU_CYCLE_1)
	s_or_b32 s13, s13, s17
	s_or_b32 exec_lo, exec_lo, s31
	s_and_saveexec_b32 s17, s13
	s_cbranch_execnz .LBB6_12399
	s_branch .LBB6_12400
.LBB6_13564:                            ;   in Loop: Header=BB6_10858 Depth=3
	s_mov_b32 s13, -1
	s_mov_b32 s34, exec_lo
                                        ; implicit-def: $sgpr17
	v_cmpx_eq_u16_e32 0x80, v89
; %bb.13565:                            ;   in Loop: Header=BB6_10858 Depth=3
	s_mov_b32 s17, 0x7f800001
	s_xor_b32 s13, exec_lo, -1
; %bb.13566:                            ;   in Loop: Header=BB6_10858 Depth=3
	s_or_b32 exec_lo, exec_lo, s34
	s_delay_alu instid0(SALU_CYCLE_1)
	s_and_b32 s13, s13, exec_lo
	s_or_saveexec_b32 s31, s31
	v_mov_b32_e32 v92, s17
	s_xor_b32 exec_lo, exec_lo, s31
	s_cbranch_execz .LBB6_12402
.LBB6_13567:                            ;   in Loop: Header=BB6_10858 Depth=3
	v_cmp_ne_u16_e32 vcc_lo, 0, v89
	v_mov_b32_e32 v92, 0
	s_and_not1_b32 s13, s13, exec_lo
	s_and_b32 s17, vcc_lo, exec_lo
	s_delay_alu instid0(SALU_CYCLE_1)
	s_or_b32 s13, s13, s17
	s_or_b32 exec_lo, exec_lo, s31
	s_and_saveexec_b32 s17, s13
	s_cbranch_execnz .LBB6_12403
	s_branch .LBB6_12404
.LBB6_13568:                            ;   in Loop: Header=BB6_10858 Depth=3
	s_mov_b32 s13, -1
	s_mov_b32 s34, exec_lo
                                        ; implicit-def: $sgpr17
	v_cmpx_eq_u16_e32 0x80, v90
; %bb.13569:                            ;   in Loop: Header=BB6_10858 Depth=3
	s_mov_b32 s17, 0x7f800001
	s_xor_b32 s13, exec_lo, -1
; %bb.13570:                            ;   in Loop: Header=BB6_10858 Depth=3
	s_or_b32 exec_lo, exec_lo, s34
	s_delay_alu instid0(SALU_CYCLE_1)
	s_and_b32 s13, s13, exec_lo
	s_or_saveexec_b32 s31, s31
	v_mov_b32_e32 v91, s17
	s_xor_b32 exec_lo, exec_lo, s31
	s_cbranch_execz .LBB6_12409
.LBB6_13571:                            ;   in Loop: Header=BB6_10858 Depth=3
	v_cmp_ne_u16_e32 vcc_lo, 0, v90
	v_mov_b32_e32 v91, 0
	s_and_not1_b32 s13, s13, exec_lo
	s_and_b32 s17, vcc_lo, exec_lo
	s_delay_alu instid0(SALU_CYCLE_1)
	s_or_b32 s13, s13, s17
	s_or_b32 exec_lo, exec_lo, s31
	s_and_saveexec_b32 s17, s13
	s_cbranch_execnz .LBB6_12410
	s_branch .LBB6_12411
.LBB6_13572:                            ;   in Loop: Header=BB6_10858 Depth=3
	s_mov_b32 s13, -1
	s_mov_b32 s34, exec_lo
                                        ; implicit-def: $sgpr17
	v_cmpx_eq_u16_e32 0x80, v89
; %bb.13573:                            ;   in Loop: Header=BB6_10858 Depth=3
	s_mov_b32 s17, 0x7f800001
	s_xor_b32 s13, exec_lo, -1
; %bb.13574:                            ;   in Loop: Header=BB6_10858 Depth=3
	s_or_b32 exec_lo, exec_lo, s34
	s_delay_alu instid0(SALU_CYCLE_1)
	s_and_b32 s13, s13, exec_lo
	s_or_saveexec_b32 s31, s31
	v_mov_b32_e32 v90, s17
	s_xor_b32 exec_lo, exec_lo, s31
	s_cbranch_execz .LBB6_12413
.LBB6_13575:                            ;   in Loop: Header=BB6_10858 Depth=3
	v_cmp_ne_u16_e32 vcc_lo, 0, v89
	v_mov_b32_e32 v90, 0
	s_and_not1_b32 s13, s13, exec_lo
	s_and_b32 s17, vcc_lo, exec_lo
	s_delay_alu instid0(SALU_CYCLE_1)
	s_or_b32 s13, s13, s17
	s_or_b32 exec_lo, exec_lo, s31
	s_and_saveexec_b32 s17, s13
	s_cbranch_execnz .LBB6_12414
	s_branch .LBB6_12415
.LBB6_13576:                            ;   in Loop: Header=BB6_10858 Depth=3
	s_mov_b32 s13, -1
	s_mov_b32 s34, exec_lo
                                        ; implicit-def: $sgpr17
	v_cmpx_eq_u16_e32 0x80, v93
; %bb.13577:                            ;   in Loop: Header=BB6_10858 Depth=3
	s_mov_b32 s17, 0x7f800001
	s_xor_b32 s13, exec_lo, -1
; %bb.13578:                            ;   in Loop: Header=BB6_10858 Depth=3
	s_or_b32 exec_lo, exec_lo, s34
	s_delay_alu instid0(SALU_CYCLE_1)
	s_and_b32 s13, s13, exec_lo
                                        ; implicit-def: $vgpr93
	s_or_saveexec_b32 s31, s31
	v_mov_b32_e32 v92, s17
	s_xor_b32 exec_lo, exec_lo, s31
	s_cbranch_execz .LBB6_12427
.LBB6_13579:                            ;   in Loop: Header=BB6_10858 Depth=3
	v_cmp_ne_u16_e32 vcc_lo, 0, v93
	v_mov_b32_e32 v92, 0
	s_and_not1_b32 s13, s13, exec_lo
	s_and_b32 s17, vcc_lo, exec_lo
	s_delay_alu instid0(SALU_CYCLE_1)
	s_or_b32 s13, s13, s17
	s_or_b32 exec_lo, exec_lo, s31
	s_and_saveexec_b32 s17, s13
	s_cbranch_execnz .LBB6_12428
	s_branch .LBB6_12429
.LBB6_13580:                            ;   in Loop: Header=BB6_10858 Depth=3
	s_mov_b32 s13, -1
	s_mov_b32 s34, exec_lo
                                        ; implicit-def: $sgpr17
	v_cmpx_eq_u16_e32 0x80, v94
; %bb.13581:                            ;   in Loop: Header=BB6_10858 Depth=3
	s_mov_b32 s17, 0x7f800001
	s_xor_b32 s13, exec_lo, -1
; %bb.13582:                            ;   in Loop: Header=BB6_10858 Depth=3
	s_or_b32 exec_lo, exec_lo, s34
	s_delay_alu instid0(SALU_CYCLE_1)
	s_and_b32 s13, s13, exec_lo
                                        ; implicit-def: $vgpr94
	s_or_saveexec_b32 s31, s31
	v_mov_b32_e32 v93, s17
	s_xor_b32 exec_lo, exec_lo, s31
	s_cbranch_execz .LBB6_12431
.LBB6_13583:                            ;   in Loop: Header=BB6_10858 Depth=3
	v_cmp_ne_u16_e32 vcc_lo, 0, v94
	v_mov_b32_e32 v93, 0
	s_and_not1_b32 s13, s13, exec_lo
	s_and_b32 s17, vcc_lo, exec_lo
	s_delay_alu instid0(SALU_CYCLE_1)
	s_or_b32 s13, s13, s17
	s_or_b32 exec_lo, exec_lo, s31
	s_and_saveexec_b32 s17, s13
	s_cbranch_execnz .LBB6_12432
	s_branch .LBB6_12433
.LBB6_13584:                            ;   in Loop: Header=BB6_10858 Depth=3
	s_mov_b32 s13, -1
	s_mov_b32 s34, exec_lo
                                        ; implicit-def: $sgpr17
	v_cmpx_eq_u16_e32 0x80, v93
; %bb.13585:                            ;   in Loop: Header=BB6_10858 Depth=3
	s_mov_b32 s17, 0x7f800001
	s_xor_b32 s13, exec_lo, -1
; %bb.13586:                            ;   in Loop: Header=BB6_10858 Depth=3
	s_or_b32 exec_lo, exec_lo, s34
	s_delay_alu instid0(SALU_CYCLE_1)
	s_and_b32 s13, s13, exec_lo
                                        ; implicit-def: $vgpr93
	s_or_saveexec_b32 s31, s31
	v_mov_b32_e32 v92, s17
	s_xor_b32 exec_lo, exec_lo, s31
	s_cbranch_execz .LBB6_12438
.LBB6_13587:                            ;   in Loop: Header=BB6_10858 Depth=3
	v_cmp_ne_u16_e32 vcc_lo, 0, v93
	v_mov_b32_e32 v92, 0
	s_and_not1_b32 s13, s13, exec_lo
	s_and_b32 s17, vcc_lo, exec_lo
	s_delay_alu instid0(SALU_CYCLE_1)
	s_or_b32 s13, s13, s17
	s_or_b32 exec_lo, exec_lo, s31
	s_and_saveexec_b32 s17, s13
	s_cbranch_execnz .LBB6_12439
	s_branch .LBB6_12440
.LBB6_13588:                            ;   in Loop: Header=BB6_10858 Depth=3
	s_mov_b32 s13, -1
	s_mov_b32 s34, exec_lo
                                        ; implicit-def: $sgpr17
	v_cmpx_eq_u16_e32 0x80, v93
; %bb.13589:                            ;   in Loop: Header=BB6_10858 Depth=3
	s_mov_b32 s17, 0x7f800001
	s_xor_b32 s13, exec_lo, -1
; %bb.13590:                            ;   in Loop: Header=BB6_10858 Depth=3
	s_or_b32 exec_lo, exec_lo, s34
	s_delay_alu instid0(SALU_CYCLE_1)
	s_and_b32 s13, s13, exec_lo
                                        ; implicit-def: $vgpr93
	s_or_saveexec_b32 s31, s31
	v_mov_b32_e32 v91, s17
	s_xor_b32 exec_lo, exec_lo, s31
	s_cbranch_execz .LBB6_12442
.LBB6_13591:                            ;   in Loop: Header=BB6_10858 Depth=3
	v_cmp_ne_u16_e32 vcc_lo, 0, v93
	v_mov_b32_e32 v91, 0
	s_and_not1_b32 s13, s13, exec_lo
	s_and_b32 s17, vcc_lo, exec_lo
	s_delay_alu instid0(SALU_CYCLE_1)
	s_or_b32 s13, s13, s17
	s_or_b32 exec_lo, exec_lo, s31
	s_and_saveexec_b32 s17, s13
	s_cbranch_execnz .LBB6_12443
	s_branch .LBB6_12444
.LBB6_13592:                            ;   in Loop: Header=BB6_10858 Depth=3
	s_mov_b32 s13, -1
	s_mov_b32 s34, exec_lo
                                        ; implicit-def: $sgpr17
	v_cmpx_eq_u16_e32 0x80, v92
; %bb.13593:                            ;   in Loop: Header=BB6_10858 Depth=3
	s_mov_b32 s17, 0x7f800001
	s_xor_b32 s13, exec_lo, -1
; %bb.13594:                            ;   in Loop: Header=BB6_10858 Depth=3
	s_or_b32 exec_lo, exec_lo, s34
	s_delay_alu instid0(SALU_CYCLE_1)
	s_and_b32 s13, s13, exec_lo
	s_or_saveexec_b32 s31, s31
	v_mov_b32_e32 v93, s17
	s_xor_b32 exec_lo, exec_lo, s31
	s_cbranch_execz .LBB6_12456
.LBB6_13595:                            ;   in Loop: Header=BB6_10858 Depth=3
	v_cmp_ne_u16_e32 vcc_lo, 0, v92
	v_mov_b32_e32 v93, 0
	s_and_not1_b32 s13, s13, exec_lo
	s_and_b32 s17, vcc_lo, exec_lo
	s_delay_alu instid0(SALU_CYCLE_1)
	s_or_b32 s13, s13, s17
	s_or_b32 exec_lo, exec_lo, s31
	s_and_saveexec_b32 s17, s13
	s_cbranch_execnz .LBB6_12457
	s_branch .LBB6_12458
.LBB6_13596:                            ;   in Loop: Header=BB6_10858 Depth=3
	s_mov_b32 s13, -1
	s_mov_b32 s34, exec_lo
                                        ; implicit-def: $sgpr17
	v_cmpx_eq_u16_e32 0x80, v91
; %bb.13597:                            ;   in Loop: Header=BB6_10858 Depth=3
	s_mov_b32 s17, 0x7f800001
	s_xor_b32 s13, exec_lo, -1
; %bb.13598:                            ;   in Loop: Header=BB6_10858 Depth=3
	s_or_b32 exec_lo, exec_lo, s34
	s_delay_alu instid0(SALU_CYCLE_1)
	s_and_b32 s13, s13, exec_lo
	s_or_saveexec_b32 s31, s31
	v_mov_b32_e32 v94, s17
	s_xor_b32 exec_lo, exec_lo, s31
	s_cbranch_execz .LBB6_12460
.LBB6_13599:                            ;   in Loop: Header=BB6_10858 Depth=3
	v_cmp_ne_u16_e32 vcc_lo, 0, v91
	v_mov_b32_e32 v94, 0
	s_and_not1_b32 s13, s13, exec_lo
	s_and_b32 s17, vcc_lo, exec_lo
	s_delay_alu instid0(SALU_CYCLE_1)
	s_or_b32 s13, s13, s17
	s_or_b32 exec_lo, exec_lo, s31
	s_and_saveexec_b32 s17, s13
	s_cbranch_execnz .LBB6_12461
	s_branch .LBB6_12462
.LBB6_13600:                            ;   in Loop: Header=BB6_10858 Depth=3
	s_mov_b32 s13, -1
	s_mov_b32 s34, exec_lo
                                        ; implicit-def: $sgpr17
	v_cmpx_eq_u16_e32 0x80, v92
; %bb.13601:                            ;   in Loop: Header=BB6_10858 Depth=3
	s_mov_b32 s17, 0x7f800001
	s_xor_b32 s13, exec_lo, -1
; %bb.13602:                            ;   in Loop: Header=BB6_10858 Depth=3
	s_or_b32 exec_lo, exec_lo, s34
	s_delay_alu instid0(SALU_CYCLE_1)
	s_and_b32 s13, s13, exec_lo
	s_or_saveexec_b32 s31, s31
	v_mov_b32_e32 v93, s17
	s_xor_b32 exec_lo, exec_lo, s31
	s_cbranch_execz .LBB6_12467
.LBB6_13603:                            ;   in Loop: Header=BB6_10858 Depth=3
	v_cmp_ne_u16_e32 vcc_lo, 0, v92
	v_mov_b32_e32 v93, 0
	s_and_not1_b32 s13, s13, exec_lo
	s_and_b32 s17, vcc_lo, exec_lo
	s_delay_alu instid0(SALU_CYCLE_1)
	s_or_b32 s13, s13, s17
	s_or_b32 exec_lo, exec_lo, s31
	s_and_saveexec_b32 s17, s13
	s_cbranch_execnz .LBB6_12468
	s_branch .LBB6_12469
.LBB6_13604:                            ;   in Loop: Header=BB6_10858 Depth=3
	s_mov_b32 s13, -1
	s_mov_b32 s34, exec_lo
                                        ; implicit-def: $sgpr17
	v_cmpx_eq_u16_e32 0x80, v91
; %bb.13605:                            ;   in Loop: Header=BB6_10858 Depth=3
	s_mov_b32 s17, 0x7f800001
	s_xor_b32 s13, exec_lo, -1
; %bb.13606:                            ;   in Loop: Header=BB6_10858 Depth=3
	s_or_b32 exec_lo, exec_lo, s34
	s_delay_alu instid0(SALU_CYCLE_1)
	s_and_b32 s13, s13, exec_lo
	s_or_saveexec_b32 s31, s31
	v_mov_b32_e32 v13, s17
	s_xor_b32 exec_lo, exec_lo, s31
	s_cbranch_execz .LBB6_12471
.LBB6_13607:                            ;   in Loop: Header=BB6_10858 Depth=3
	v_cmp_ne_u16_e32 vcc_lo, 0, v91
	v_mov_b32_e32 v13, 0
	s_and_not1_b32 s13, s13, exec_lo
	s_and_b32 s17, vcc_lo, exec_lo
	s_delay_alu instid0(SALU_CYCLE_1)
	s_or_b32 s13, s13, s17
	s_or_b32 exec_lo, exec_lo, s31
	s_and_saveexec_b32 s17, s13
	s_cbranch_execnz .LBB6_12472
	s_branch .LBB6_12473
.LBB6_13608:                            ;   in Loop: Header=BB6_10858 Depth=3
	s_mov_b32 s13, -1
	s_mov_b32 s34, exec_lo
                                        ; implicit-def: $sgpr17
	v_cmpx_eq_u16_e32 0x80, v91
; %bb.13609:                            ;   in Loop: Header=BB6_10858 Depth=3
	s_mov_b32 s17, 0x7f800001
	s_xor_b32 s13, exec_lo, -1
; %bb.13610:                            ;   in Loop: Header=BB6_10858 Depth=3
	s_or_b32 exec_lo, exec_lo, s34
	s_delay_alu instid0(SALU_CYCLE_1)
	s_and_b32 s13, s13, exec_lo
                                        ; implicit-def: $vgpr91
	s_or_saveexec_b32 s31, s31
	v_mov_b32_e32 v13, s17
	s_xor_b32 exec_lo, exec_lo, s31
	s_cbranch_execz .LBB6_12485
.LBB6_13611:                            ;   in Loop: Header=BB6_10858 Depth=3
	v_cmp_ne_u16_e32 vcc_lo, 0, v91
	v_mov_b32_e32 v13, 0
	s_and_not1_b32 s13, s13, exec_lo
	s_and_b32 s17, vcc_lo, exec_lo
	s_delay_alu instid0(SALU_CYCLE_1)
	s_or_b32 s13, s13, s17
	s_or_b32 exec_lo, exec_lo, s31
	s_and_saveexec_b32 s17, s13
	s_cbranch_execnz .LBB6_12486
	s_branch .LBB6_12487
.LBB6_13612:                            ;   in Loop: Header=BB6_10858 Depth=3
	s_mov_b32 s13, -1
	s_mov_b32 s34, exec_lo
                                        ; implicit-def: $sgpr17
	v_cmpx_eq_u16_e32 0x80, v92
; %bb.13613:                            ;   in Loop: Header=BB6_10858 Depth=3
	s_mov_b32 s17, 0x7f800001
	s_xor_b32 s13, exec_lo, -1
; %bb.13614:                            ;   in Loop: Header=BB6_10858 Depth=3
	s_or_b32 exec_lo, exec_lo, s34
	s_delay_alu instid0(SALU_CYCLE_1)
	s_and_b32 s13, s13, exec_lo
                                        ; implicit-def: $vgpr92
	s_or_saveexec_b32 s31, s31
	v_mov_b32_e32 v91, s17
	s_xor_b32 exec_lo, exec_lo, s31
	s_cbranch_execz .LBB6_12489
.LBB6_13615:                            ;   in Loop: Header=BB6_10858 Depth=3
	v_cmp_ne_u16_e32 vcc_lo, 0, v92
	v_mov_b32_e32 v91, 0
	s_and_not1_b32 s13, s13, exec_lo
	s_and_b32 s17, vcc_lo, exec_lo
	s_delay_alu instid0(SALU_CYCLE_1)
	s_or_b32 s13, s13, s17
	s_or_b32 exec_lo, exec_lo, s31
	s_and_saveexec_b32 s17, s13
	s_cbranch_execnz .LBB6_12490
	s_branch .LBB6_12491
.LBB6_13616:                            ;   in Loop: Header=BB6_10858 Depth=3
	s_mov_b32 s13, -1
	s_mov_b32 s34, exec_lo
                                        ; implicit-def: $sgpr17
	v_cmpx_eq_u16_e32 0x80, v91
; %bb.13617:                            ;   in Loop: Header=BB6_10858 Depth=3
	s_mov_b32 s17, 0x7f800001
	s_xor_b32 s13, exec_lo, -1
; %bb.13618:                            ;   in Loop: Header=BB6_10858 Depth=3
	s_or_b32 exec_lo, exec_lo, s34
	s_delay_alu instid0(SALU_CYCLE_1)
	s_and_b32 s13, s13, exec_lo
                                        ; implicit-def: $vgpr91
	s_or_saveexec_b32 s31, s31
	v_mov_b32_e32 v13, s17
	s_xor_b32 exec_lo, exec_lo, s31
	s_cbranch_execz .LBB6_12496
.LBB6_13619:                            ;   in Loop: Header=BB6_10858 Depth=3
	v_cmp_ne_u16_e32 vcc_lo, 0, v91
	v_mov_b32_e32 v13, 0
	s_and_not1_b32 s13, s13, exec_lo
	s_and_b32 s17, vcc_lo, exec_lo
	s_delay_alu instid0(SALU_CYCLE_1)
	s_or_b32 s13, s13, s17
	s_or_b32 exec_lo, exec_lo, s31
	s_and_saveexec_b32 s17, s13
	s_cbranch_execnz .LBB6_12497
	s_branch .LBB6_12498
.LBB6_13620:                            ;   in Loop: Header=BB6_10858 Depth=3
	s_mov_b32 s13, -1
	s_mov_b32 s34, exec_lo
                                        ; implicit-def: $sgpr17
	v_cmpx_eq_u16_e32 0x80, v92
; %bb.13621:                            ;   in Loop: Header=BB6_10858 Depth=3
	s_mov_b32 s17, 0x7f800001
	s_xor_b32 s13, exec_lo, -1
; %bb.13622:                            ;   in Loop: Header=BB6_10858 Depth=3
	s_or_b32 exec_lo, exec_lo, s34
	s_delay_alu instid0(SALU_CYCLE_1)
	s_and_b32 s13, s13, exec_lo
                                        ; implicit-def: $vgpr92
	s_or_saveexec_b32 s31, s31
	v_mov_b32_e32 v91, s17
	s_xor_b32 exec_lo, exec_lo, s31
	s_cbranch_execz .LBB6_12500
.LBB6_13623:                            ;   in Loop: Header=BB6_10858 Depth=3
	v_cmp_ne_u16_e32 vcc_lo, 0, v92
	v_mov_b32_e32 v91, 0
	s_and_not1_b32 s13, s13, exec_lo
	s_and_b32 s17, vcc_lo, exec_lo
	s_delay_alu instid0(SALU_CYCLE_1)
	s_or_b32 s13, s13, s17
	s_or_b32 exec_lo, exec_lo, s31
	s_and_saveexec_b32 s17, s13
	s_cbranch_execnz .LBB6_12501
	s_branch .LBB6_12502
.LBB6_13624:                            ;   in Loop: Header=BB6_10858 Depth=3
	s_mov_b32 s13, -1
	s_mov_b32 s34, exec_lo
                                        ; implicit-def: $sgpr17
	v_cmpx_eq_u16_e32 0x80, v92
; %bb.13625:                            ;   in Loop: Header=BB6_10858 Depth=3
	s_mov_b32 s17, 0x7f800001
	s_xor_b32 s13, exec_lo, -1
; %bb.13626:                            ;   in Loop: Header=BB6_10858 Depth=3
	s_or_b32 exec_lo, exec_lo, s34
	s_delay_alu instid0(SALU_CYCLE_1)
	s_and_b32 s13, s13, exec_lo
	s_or_saveexec_b32 s31, s31
	v_mov_b32_e32 v93, s17
	s_xor_b32 exec_lo, exec_lo, s31
	s_cbranch_execz .LBB6_12514
.LBB6_13627:                            ;   in Loop: Header=BB6_10858 Depth=3
	v_cmp_ne_u16_e32 vcc_lo, 0, v92
	v_mov_b32_e32 v93, 0
	s_and_not1_b32 s13, s13, exec_lo
	s_and_b32 s17, vcc_lo, exec_lo
	s_delay_alu instid0(SALU_CYCLE_1)
	s_or_b32 s13, s13, s17
	s_or_b32 exec_lo, exec_lo, s31
	s_and_saveexec_b32 s17, s13
	s_cbranch_execnz .LBB6_12515
	s_branch .LBB6_12516
.LBB6_13628:                            ;   in Loop: Header=BB6_10858 Depth=3
	s_mov_b32 s13, -1
	s_mov_b32 s34, exec_lo
                                        ; implicit-def: $sgpr17
	v_cmpx_eq_u16_e32 0x80, v91
; %bb.13629:                            ;   in Loop: Header=BB6_10858 Depth=3
	s_mov_b32 s17, 0x7f800001
	s_xor_b32 s13, exec_lo, -1
; %bb.13630:                            ;   in Loop: Header=BB6_10858 Depth=3
	s_or_b32 exec_lo, exec_lo, s34
	s_delay_alu instid0(SALU_CYCLE_1)
	s_and_b32 s13, s13, exec_lo
	s_or_saveexec_b32 s31, s31
	v_mov_b32_e32 v94, s17
	s_xor_b32 exec_lo, exec_lo, s31
	s_cbranch_execz .LBB6_12518
.LBB6_13631:                            ;   in Loop: Header=BB6_10858 Depth=3
	v_cmp_ne_u16_e32 vcc_lo, 0, v91
	v_mov_b32_e32 v94, 0
	s_and_not1_b32 s13, s13, exec_lo
	s_and_b32 s17, vcc_lo, exec_lo
	s_delay_alu instid0(SALU_CYCLE_1)
	s_or_b32 s13, s13, s17
	s_or_b32 exec_lo, exec_lo, s31
	s_and_saveexec_b32 s17, s13
	s_cbranch_execnz .LBB6_12519
	s_branch .LBB6_12520
.LBB6_13632:                            ;   in Loop: Header=BB6_10858 Depth=3
	s_mov_b32 s13, -1
	s_mov_b32 s34, exec_lo
                                        ; implicit-def: $sgpr17
	v_cmpx_eq_u16_e32 0x80, v92
; %bb.13633:                            ;   in Loop: Header=BB6_10858 Depth=3
	s_mov_b32 s17, 0x7f800001
	s_xor_b32 s13, exec_lo, -1
; %bb.13634:                            ;   in Loop: Header=BB6_10858 Depth=3
	s_or_b32 exec_lo, exec_lo, s34
	s_delay_alu instid0(SALU_CYCLE_1)
	s_and_b32 s13, s13, exec_lo
	s_or_saveexec_b32 s31, s31
	v_mov_b32_e32 v93, s17
	s_xor_b32 exec_lo, exec_lo, s31
	s_cbranch_execz .LBB6_12525
.LBB6_13635:                            ;   in Loop: Header=BB6_10858 Depth=3
	v_cmp_ne_u16_e32 vcc_lo, 0, v92
	v_mov_b32_e32 v93, 0
	s_and_not1_b32 s13, s13, exec_lo
	s_and_b32 s17, vcc_lo, exec_lo
	s_delay_alu instid0(SALU_CYCLE_1)
	s_or_b32 s13, s13, s17
	s_or_b32 exec_lo, exec_lo, s31
	s_and_saveexec_b32 s17, s13
	s_cbranch_execnz .LBB6_12526
	s_branch .LBB6_12527
.LBB6_13636:                            ;   in Loop: Header=BB6_10858 Depth=3
	s_mov_b32 s13, -1
	s_mov_b32 s34, exec_lo
                                        ; implicit-def: $sgpr17
	v_cmpx_eq_u16_e32 0x80, v91
; %bb.13637:                            ;   in Loop: Header=BB6_10858 Depth=3
	s_mov_b32 s17, 0x7f800001
	s_xor_b32 s13, exec_lo, -1
; %bb.13638:                            ;   in Loop: Header=BB6_10858 Depth=3
	s_or_b32 exec_lo, exec_lo, s34
	s_delay_alu instid0(SALU_CYCLE_1)
	s_and_b32 s13, s13, exec_lo
	s_or_saveexec_b32 s31, s31
	v_mov_b32_e32 v92, s17
	s_xor_b32 exec_lo, exec_lo, s31
	s_cbranch_execz .LBB6_12529
.LBB6_13639:                            ;   in Loop: Header=BB6_10858 Depth=3
	v_cmp_ne_u16_e32 vcc_lo, 0, v91
	v_mov_b32_e32 v92, 0
	s_and_not1_b32 s13, s13, exec_lo
	s_and_b32 s17, vcc_lo, exec_lo
	s_delay_alu instid0(SALU_CYCLE_1)
	s_or_b32 s13, s13, s17
	s_or_b32 exec_lo, exec_lo, s31
	s_and_saveexec_b32 s17, s13
	s_cbranch_execnz .LBB6_12530
	s_branch .LBB6_12531
.LBB6_13640:                            ;   in Loop: Header=BB6_10858 Depth=3
	s_mov_b32 s13, -1
	s_mov_b32 s34, exec_lo
                                        ; implicit-def: $sgpr17
	v_cmpx_eq_u16_e32 0x80, v95
; %bb.13641:                            ;   in Loop: Header=BB6_10858 Depth=3
	s_mov_b32 s17, 0x7f800001
	s_xor_b32 s13, exec_lo, -1
; %bb.13642:                            ;   in Loop: Header=BB6_10858 Depth=3
	s_or_b32 exec_lo, exec_lo, s34
	s_delay_alu instid0(SALU_CYCLE_1)
	s_and_b32 s13, s13, exec_lo
                                        ; implicit-def: $vgpr95
	s_or_saveexec_b32 s31, s31
	v_mov_b32_e32 v94, s17
	s_xor_b32 exec_lo, exec_lo, s31
	s_cbranch_execz .LBB6_12543
.LBB6_13643:                            ;   in Loop: Header=BB6_10858 Depth=3
	v_cmp_ne_u16_e32 vcc_lo, 0, v95
	v_mov_b32_e32 v94, 0
	s_and_not1_b32 s13, s13, exec_lo
	s_and_b32 s17, vcc_lo, exec_lo
	s_delay_alu instid0(SALU_CYCLE_1)
	s_or_b32 s13, s13, s17
	s_or_b32 exec_lo, exec_lo, s31
	s_and_saveexec_b32 s17, s13
	s_cbranch_execnz .LBB6_12544
	s_branch .LBB6_12545
.LBB6_13644:                            ;   in Loop: Header=BB6_10858 Depth=3
	s_mov_b32 s13, -1
	s_mov_b32 s34, exec_lo
                                        ; implicit-def: $sgpr17
	v_cmpx_eq_u16_e32 0x80, v104
; %bb.13645:                            ;   in Loop: Header=BB6_10858 Depth=3
	s_mov_b32 s17, 0x7f800001
	s_xor_b32 s13, exec_lo, -1
; %bb.13646:                            ;   in Loop: Header=BB6_10858 Depth=3
	s_or_b32 exec_lo, exec_lo, s34
	s_delay_alu instid0(SALU_CYCLE_1)
	s_and_b32 s13, s13, exec_lo
                                        ; implicit-def: $vgpr104
	s_or_saveexec_b32 s31, s31
	v_mov_b32_e32 v95, s17
	s_xor_b32 exec_lo, exec_lo, s31
	s_cbranch_execz .LBB6_12547
.LBB6_13647:                            ;   in Loop: Header=BB6_10858 Depth=3
	v_cmp_ne_u16_e32 vcc_lo, 0, v104
	v_mov_b32_e32 v95, 0
	s_and_not1_b32 s13, s13, exec_lo
	s_and_b32 s17, vcc_lo, exec_lo
	s_delay_alu instid0(SALU_CYCLE_1)
	s_or_b32 s13, s13, s17
	s_or_b32 exec_lo, exec_lo, s31
	s_and_saveexec_b32 s17, s13
	s_cbranch_execnz .LBB6_12548
	s_branch .LBB6_12549
.LBB6_13648:                            ;   in Loop: Header=BB6_10858 Depth=3
	s_mov_b32 s13, -1
	s_mov_b32 s34, exec_lo
                                        ; implicit-def: $sgpr17
	v_cmpx_eq_u16_e32 0x80, v95
; %bb.13649:                            ;   in Loop: Header=BB6_10858 Depth=3
	s_mov_b32 s17, 0x7f800001
	s_xor_b32 s13, exec_lo, -1
; %bb.13650:                            ;   in Loop: Header=BB6_10858 Depth=3
	s_or_b32 exec_lo, exec_lo, s34
	s_delay_alu instid0(SALU_CYCLE_1)
	s_and_b32 s13, s13, exec_lo
                                        ; implicit-def: $vgpr95
	s_or_saveexec_b32 s31, s31
	v_mov_b32_e32 v94, s17
	s_xor_b32 exec_lo, exec_lo, s31
	s_cbranch_execz .LBB6_12554
.LBB6_13651:                            ;   in Loop: Header=BB6_10858 Depth=3
	v_cmp_ne_u16_e32 vcc_lo, 0, v95
	v_mov_b32_e32 v94, 0
	s_and_not1_b32 s13, s13, exec_lo
	s_and_b32 s17, vcc_lo, exec_lo
	s_delay_alu instid0(SALU_CYCLE_1)
	s_or_b32 s13, s13, s17
	s_or_b32 exec_lo, exec_lo, s31
	s_and_saveexec_b32 s17, s13
	s_cbranch_execnz .LBB6_12555
	s_branch .LBB6_12556
.LBB6_13652:                            ;   in Loop: Header=BB6_10858 Depth=3
	s_mov_b32 s13, -1
	s_mov_b32 s34, exec_lo
                                        ; implicit-def: $sgpr17
	v_cmpx_eq_u16_e32 0x80, v95
; %bb.13653:                            ;   in Loop: Header=BB6_10858 Depth=3
	s_mov_b32 s17, 0x7f800001
	s_xor_b32 s13, exec_lo, -1
; %bb.13654:                            ;   in Loop: Header=BB6_10858 Depth=3
	s_or_b32 exec_lo, exec_lo, s34
	s_delay_alu instid0(SALU_CYCLE_1)
	s_and_b32 s13, s13, exec_lo
                                        ; implicit-def: $vgpr95
	s_or_saveexec_b32 s31, s31
	v_mov_b32_e32 v93, s17
	s_xor_b32 exec_lo, exec_lo, s31
	s_cbranch_execz .LBB6_12558
.LBB6_13655:                            ;   in Loop: Header=BB6_10858 Depth=3
	v_cmp_ne_u16_e32 vcc_lo, 0, v95
	v_mov_b32_e32 v93, 0
	s_and_not1_b32 s13, s13, exec_lo
	s_and_b32 s17, vcc_lo, exec_lo
	s_delay_alu instid0(SALU_CYCLE_1)
	s_or_b32 s13, s13, s17
	s_or_b32 exec_lo, exec_lo, s31
	s_and_saveexec_b32 s17, s13
	s_cbranch_execnz .LBB6_12559
	s_branch .LBB6_12560
.LBB6_13656:                            ;   in Loop: Header=BB6_10858 Depth=3
	s_mov_b32 s13, -1
	s_mov_b32 s34, exec_lo
                                        ; implicit-def: $sgpr17
	v_cmpx_eq_u16_e32 0x80, v94
; %bb.13657:                            ;   in Loop: Header=BB6_10858 Depth=3
	s_mov_b32 s17, 0x7f800001
	s_xor_b32 s13, exec_lo, -1
; %bb.13658:                            ;   in Loop: Header=BB6_10858 Depth=3
	s_or_b32 exec_lo, exec_lo, s34
	s_delay_alu instid0(SALU_CYCLE_1)
	s_and_b32 s13, s13, exec_lo
	s_or_saveexec_b32 s31, s31
	v_mov_b32_e32 v95, s17
	s_xor_b32 exec_lo, exec_lo, s31
	s_cbranch_execz .LBB6_12572
.LBB6_13659:                            ;   in Loop: Header=BB6_10858 Depth=3
	v_cmp_ne_u16_e32 vcc_lo, 0, v94
	v_mov_b32_e32 v95, 0
	s_and_not1_b32 s13, s13, exec_lo
	s_and_b32 s17, vcc_lo, exec_lo
	s_delay_alu instid0(SALU_CYCLE_1)
	s_or_b32 s13, s13, s17
	s_or_b32 exec_lo, exec_lo, s31
	s_and_saveexec_b32 s17, s13
	s_cbranch_execnz .LBB6_12573
	s_branch .LBB6_12574
.LBB6_13660:                            ;   in Loop: Header=BB6_10858 Depth=3
	s_mov_b32 s13, -1
	s_mov_b32 s34, exec_lo
                                        ; implicit-def: $sgpr17
	v_cmpx_eq_u16_e32 0x80, v93
; %bb.13661:                            ;   in Loop: Header=BB6_10858 Depth=3
	s_mov_b32 s17, 0x7f800001
	s_xor_b32 s13, exec_lo, -1
; %bb.13662:                            ;   in Loop: Header=BB6_10858 Depth=3
	s_or_b32 exec_lo, exec_lo, s34
	s_delay_alu instid0(SALU_CYCLE_1)
	s_and_b32 s13, s13, exec_lo
	s_or_saveexec_b32 s31, s31
	v_mov_b32_e32 v104, s17
	s_xor_b32 exec_lo, exec_lo, s31
	s_cbranch_execz .LBB6_12576
.LBB6_13663:                            ;   in Loop: Header=BB6_10858 Depth=3
	v_cmp_ne_u16_e32 vcc_lo, 0, v93
	v_mov_b32_e32 v104, 0
	s_and_not1_b32 s13, s13, exec_lo
	s_and_b32 s17, vcc_lo, exec_lo
	s_delay_alu instid0(SALU_CYCLE_1)
	s_or_b32 s13, s13, s17
	s_or_b32 exec_lo, exec_lo, s31
	s_and_saveexec_b32 s17, s13
	s_cbranch_execnz .LBB6_12577
	s_branch .LBB6_12578
.LBB6_13664:                            ;   in Loop: Header=BB6_10858 Depth=3
	s_mov_b32 s13, -1
	s_mov_b32 s34, exec_lo
                                        ; implicit-def: $sgpr17
	v_cmpx_eq_u16_e32 0x80, v94
; %bb.13665:                            ;   in Loop: Header=BB6_10858 Depth=3
	s_mov_b32 s17, 0x7f800001
	s_xor_b32 s13, exec_lo, -1
; %bb.13666:                            ;   in Loop: Header=BB6_10858 Depth=3
	s_or_b32 exec_lo, exec_lo, s34
	s_delay_alu instid0(SALU_CYCLE_1)
	s_and_b32 s13, s13, exec_lo
	s_or_saveexec_b32 s31, s31
	v_mov_b32_e32 v95, s17
	s_xor_b32 exec_lo, exec_lo, s31
	s_cbranch_execz .LBB6_12583
.LBB6_13667:                            ;   in Loop: Header=BB6_10858 Depth=3
	v_cmp_ne_u16_e32 vcc_lo, 0, v94
	v_mov_b32_e32 v95, 0
	s_and_not1_b32 s13, s13, exec_lo
	s_and_b32 s17, vcc_lo, exec_lo
	s_delay_alu instid0(SALU_CYCLE_1)
	s_or_b32 s13, s13, s17
	s_or_b32 exec_lo, exec_lo, s31
	s_and_saveexec_b32 s17, s13
	s_cbranch_execnz .LBB6_12584
	s_branch .LBB6_12585
.LBB6_13668:                            ;   in Loop: Header=BB6_10858 Depth=3
	s_mov_b32 s13, -1
	s_mov_b32 s34, exec_lo
                                        ; implicit-def: $sgpr17
	v_cmpx_eq_u16_e32 0x80, v93
; %bb.13669:                            ;   in Loop: Header=BB6_10858 Depth=3
	s_mov_b32 s17, 0x7f800001
	s_xor_b32 s13, exec_lo, -1
; %bb.13670:                            ;   in Loop: Header=BB6_10858 Depth=3
	s_or_b32 exec_lo, exec_lo, s34
	s_delay_alu instid0(SALU_CYCLE_1)
	s_and_b32 s13, s13, exec_lo
	s_or_saveexec_b32 s31, s31
	v_mov_b32_e32 v14, s17
	s_xor_b32 exec_lo, exec_lo, s31
	s_cbranch_execz .LBB6_12587
.LBB6_13671:                            ;   in Loop: Header=BB6_10858 Depth=3
	v_cmp_ne_u16_e32 vcc_lo, 0, v93
	v_mov_b32_e32 v14, 0
	s_and_not1_b32 s13, s13, exec_lo
	s_and_b32 s17, vcc_lo, exec_lo
	s_delay_alu instid0(SALU_CYCLE_1)
	s_or_b32 s13, s13, s17
	s_or_b32 exec_lo, exec_lo, s31
	s_and_saveexec_b32 s17, s13
	s_cbranch_execnz .LBB6_12588
	s_branch .LBB6_12589
.LBB6_13672:                            ;   in Loop: Header=BB6_10858 Depth=3
	s_mov_b32 s13, -1
	s_mov_b32 s34, exec_lo
                                        ; implicit-def: $sgpr17
	v_cmpx_eq_u16_e32 0x80, v93
; %bb.13673:                            ;   in Loop: Header=BB6_10858 Depth=3
	s_mov_b32 s17, 0x7f800001
	s_xor_b32 s13, exec_lo, -1
; %bb.13674:                            ;   in Loop: Header=BB6_10858 Depth=3
	s_or_b32 exec_lo, exec_lo, s34
	s_delay_alu instid0(SALU_CYCLE_1)
	s_and_b32 s13, s13, exec_lo
                                        ; implicit-def: $vgpr93
	s_or_saveexec_b32 s31, s31
	v_mov_b32_e32 v14, s17
	s_xor_b32 exec_lo, exec_lo, s31
	s_cbranch_execz .LBB6_12601
.LBB6_13675:                            ;   in Loop: Header=BB6_10858 Depth=3
	v_cmp_ne_u16_e32 vcc_lo, 0, v93
	v_mov_b32_e32 v14, 0
	s_and_not1_b32 s13, s13, exec_lo
	s_and_b32 s17, vcc_lo, exec_lo
	s_delay_alu instid0(SALU_CYCLE_1)
	s_or_b32 s13, s13, s17
	s_or_b32 exec_lo, exec_lo, s31
	s_and_saveexec_b32 s17, s13
	s_cbranch_execnz .LBB6_12602
	s_branch .LBB6_12603
.LBB6_13676:                            ;   in Loop: Header=BB6_10858 Depth=3
	s_mov_b32 s13, -1
	s_mov_b32 s34, exec_lo
                                        ; implicit-def: $sgpr17
	v_cmpx_eq_u16_e32 0x80, v94
; %bb.13677:                            ;   in Loop: Header=BB6_10858 Depth=3
	s_mov_b32 s17, 0x7f800001
	s_xor_b32 s13, exec_lo, -1
; %bb.13678:                            ;   in Loop: Header=BB6_10858 Depth=3
	s_or_b32 exec_lo, exec_lo, s34
	s_delay_alu instid0(SALU_CYCLE_1)
	s_and_b32 s13, s13, exec_lo
                                        ; implicit-def: $vgpr94
	s_or_saveexec_b32 s31, s31
	v_mov_b32_e32 v93, s17
	s_xor_b32 exec_lo, exec_lo, s31
	s_cbranch_execz .LBB6_12605
.LBB6_13679:                            ;   in Loop: Header=BB6_10858 Depth=3
	v_cmp_ne_u16_e32 vcc_lo, 0, v94
	v_mov_b32_e32 v93, 0
	s_and_not1_b32 s13, s13, exec_lo
	s_and_b32 s17, vcc_lo, exec_lo
	s_delay_alu instid0(SALU_CYCLE_1)
	s_or_b32 s13, s13, s17
	s_or_b32 exec_lo, exec_lo, s31
	s_and_saveexec_b32 s17, s13
	s_cbranch_execnz .LBB6_12606
	s_branch .LBB6_12607
.LBB6_13680:                            ;   in Loop: Header=BB6_10858 Depth=3
	s_mov_b32 s13, -1
	s_mov_b32 s34, exec_lo
                                        ; implicit-def: $sgpr17
	v_cmpx_eq_u16_e32 0x80, v93
; %bb.13681:                            ;   in Loop: Header=BB6_10858 Depth=3
	s_mov_b32 s17, 0x7f800001
	s_xor_b32 s13, exec_lo, -1
; %bb.13682:                            ;   in Loop: Header=BB6_10858 Depth=3
	s_or_b32 exec_lo, exec_lo, s34
	s_delay_alu instid0(SALU_CYCLE_1)
	s_and_b32 s13, s13, exec_lo
                                        ; implicit-def: $vgpr93
	s_or_saveexec_b32 s31, s31
	v_mov_b32_e32 v14, s17
	s_xor_b32 exec_lo, exec_lo, s31
	s_cbranch_execz .LBB6_12612
.LBB6_13683:                            ;   in Loop: Header=BB6_10858 Depth=3
	v_cmp_ne_u16_e32 vcc_lo, 0, v93
	v_mov_b32_e32 v14, 0
	s_and_not1_b32 s13, s13, exec_lo
	s_and_b32 s17, vcc_lo, exec_lo
	s_delay_alu instid0(SALU_CYCLE_1)
	s_or_b32 s13, s13, s17
	s_or_b32 exec_lo, exec_lo, s31
	s_and_saveexec_b32 s17, s13
	s_cbranch_execnz .LBB6_12613
	s_branch .LBB6_12614
.LBB6_13684:                            ;   in Loop: Header=BB6_10858 Depth=3
	s_mov_b32 s13, -1
	s_mov_b32 s34, exec_lo
                                        ; implicit-def: $sgpr17
	v_cmpx_eq_u16_e32 0x80, v94
; %bb.13685:                            ;   in Loop: Header=BB6_10858 Depth=3
	s_mov_b32 s17, 0x7f800001
	s_xor_b32 s13, exec_lo, -1
; %bb.13686:                            ;   in Loop: Header=BB6_10858 Depth=3
	s_or_b32 exec_lo, exec_lo, s34
	s_delay_alu instid0(SALU_CYCLE_1)
	s_and_b32 s13, s13, exec_lo
                                        ; implicit-def: $vgpr94
	s_or_saveexec_b32 s31, s31
	v_mov_b32_e32 v93, s17
	s_xor_b32 exec_lo, exec_lo, s31
	s_cbranch_execz .LBB6_12616
.LBB6_13687:                            ;   in Loop: Header=BB6_10858 Depth=3
	v_cmp_ne_u16_e32 vcc_lo, 0, v94
	v_mov_b32_e32 v93, 0
	s_and_not1_b32 s13, s13, exec_lo
	s_and_b32 s17, vcc_lo, exec_lo
	s_delay_alu instid0(SALU_CYCLE_1)
	s_or_b32 s13, s13, s17
	s_or_b32 exec_lo, exec_lo, s31
	s_and_saveexec_b32 s17, s13
	s_cbranch_execnz .LBB6_12617
	s_branch .LBB6_12618
.LBB6_13688:                            ;   in Loop: Header=BB6_10858 Depth=3
	s_mov_b32 s13, -1
	s_mov_b32 s34, exec_lo
                                        ; implicit-def: $sgpr17
	v_cmpx_eq_u16_e32 0x80, v94
; %bb.13689:                            ;   in Loop: Header=BB6_10858 Depth=3
	s_mov_b32 s17, 0x7f800001
	s_xor_b32 s13, exec_lo, -1
; %bb.13690:                            ;   in Loop: Header=BB6_10858 Depth=3
	s_or_b32 exec_lo, exec_lo, s34
	s_delay_alu instid0(SALU_CYCLE_1)
	s_and_b32 s13, s13, exec_lo
	s_or_saveexec_b32 s31, s31
	v_mov_b32_e32 v95, s17
	s_xor_b32 exec_lo, exec_lo, s31
	s_cbranch_execz .LBB6_12630
.LBB6_13691:                            ;   in Loop: Header=BB6_10858 Depth=3
	v_cmp_ne_u16_e32 vcc_lo, 0, v94
	v_mov_b32_e32 v95, 0
	s_and_not1_b32 s13, s13, exec_lo
	s_and_b32 s17, vcc_lo, exec_lo
	s_delay_alu instid0(SALU_CYCLE_1)
	s_or_b32 s13, s13, s17
	s_or_b32 exec_lo, exec_lo, s31
	s_and_saveexec_b32 s17, s13
	s_cbranch_execnz .LBB6_12631
	s_branch .LBB6_12632
.LBB6_13692:                            ;   in Loop: Header=BB6_10858 Depth=3
	s_mov_b32 s13, -1
	s_mov_b32 s34, exec_lo
                                        ; implicit-def: $sgpr17
	v_cmpx_eq_u16_e32 0x80, v93
; %bb.13693:                            ;   in Loop: Header=BB6_10858 Depth=3
	s_mov_b32 s17, 0x7f800001
	s_xor_b32 s13, exec_lo, -1
; %bb.13694:                            ;   in Loop: Header=BB6_10858 Depth=3
	s_or_b32 exec_lo, exec_lo, s34
	s_delay_alu instid0(SALU_CYCLE_1)
	s_and_b32 s13, s13, exec_lo
	s_or_saveexec_b32 s31, s31
	v_mov_b32_e32 v104, s17
	s_xor_b32 exec_lo, exec_lo, s31
	s_cbranch_execz .LBB6_12634
.LBB6_13695:                            ;   in Loop: Header=BB6_10858 Depth=3
	v_cmp_ne_u16_e32 vcc_lo, 0, v93
	v_mov_b32_e32 v104, 0
	s_and_not1_b32 s13, s13, exec_lo
	s_and_b32 s17, vcc_lo, exec_lo
	s_delay_alu instid0(SALU_CYCLE_1)
	s_or_b32 s13, s13, s17
	s_or_b32 exec_lo, exec_lo, s31
	s_and_saveexec_b32 s17, s13
	s_cbranch_execnz .LBB6_12635
	s_branch .LBB6_12636
.LBB6_13696:                            ;   in Loop: Header=BB6_10858 Depth=3
	s_mov_b32 s13, -1
	s_mov_b32 s34, exec_lo
                                        ; implicit-def: $sgpr17
	v_cmpx_eq_u16_e32 0x80, v94
; %bb.13697:                            ;   in Loop: Header=BB6_10858 Depth=3
	s_mov_b32 s17, 0x7f800001
	s_xor_b32 s13, exec_lo, -1
; %bb.13698:                            ;   in Loop: Header=BB6_10858 Depth=3
	s_or_b32 exec_lo, exec_lo, s34
	s_delay_alu instid0(SALU_CYCLE_1)
	s_and_b32 s13, s13, exec_lo
	s_or_saveexec_b32 s31, s31
	v_mov_b32_e32 v95, s17
	s_xor_b32 exec_lo, exec_lo, s31
	s_cbranch_execz .LBB6_12641
.LBB6_13699:                            ;   in Loop: Header=BB6_10858 Depth=3
	v_cmp_ne_u16_e32 vcc_lo, 0, v94
	v_mov_b32_e32 v95, 0
	s_and_not1_b32 s13, s13, exec_lo
	s_and_b32 s17, vcc_lo, exec_lo
	s_delay_alu instid0(SALU_CYCLE_1)
	s_or_b32 s13, s13, s17
	s_or_b32 exec_lo, exec_lo, s31
	s_and_saveexec_b32 s17, s13
	s_cbranch_execnz .LBB6_12642
	s_branch .LBB6_12643
.LBB6_13700:                            ;   in Loop: Header=BB6_10858 Depth=3
	s_mov_b32 s13, -1
	s_mov_b32 s34, exec_lo
                                        ; implicit-def: $sgpr17
	v_cmpx_eq_u16_e32 0x80, v93
; %bb.13701:                            ;   in Loop: Header=BB6_10858 Depth=3
	s_mov_b32 s17, 0x7f800001
	s_xor_b32 s13, exec_lo, -1
; %bb.13702:                            ;   in Loop: Header=BB6_10858 Depth=3
	s_or_b32 exec_lo, exec_lo, s34
	s_delay_alu instid0(SALU_CYCLE_1)
	s_and_b32 s13, s13, exec_lo
	s_or_saveexec_b32 s31, s31
	v_mov_b32_e32 v94, s17
	s_xor_b32 exec_lo, exec_lo, s31
	s_cbranch_execz .LBB6_12645
.LBB6_13703:                            ;   in Loop: Header=BB6_10858 Depth=3
	v_cmp_ne_u16_e32 vcc_lo, 0, v93
	v_mov_b32_e32 v94, 0
	s_and_not1_b32 s13, s13, exec_lo
	s_and_b32 s17, vcc_lo, exec_lo
	s_delay_alu instid0(SALU_CYCLE_1)
	s_or_b32 s13, s13, s17
	s_or_b32 exec_lo, exec_lo, s31
	s_and_saveexec_b32 s17, s13
	s_cbranch_execnz .LBB6_12646
	s_branch .LBB6_12647
.LBB6_13704:                            ;   in Loop: Header=BB6_10858 Depth=3
	s_mov_b32 s13, -1
	s_mov_b32 s34, exec_lo
                                        ; implicit-def: $sgpr17
	v_cmpx_eq_u16_e32 0x80, v105
; %bb.13705:                            ;   in Loop: Header=BB6_10858 Depth=3
	s_mov_b32 s17, 0x7f800001
	s_xor_b32 s13, exec_lo, -1
; %bb.13706:                            ;   in Loop: Header=BB6_10858 Depth=3
	s_or_b32 exec_lo, exec_lo, s34
	s_delay_alu instid0(SALU_CYCLE_1)
	s_and_b32 s13, s13, exec_lo
                                        ; implicit-def: $vgpr105
	s_or_saveexec_b32 s31, s31
	v_mov_b32_e32 v104, s17
	s_xor_b32 exec_lo, exec_lo, s31
	s_cbranch_execz .LBB6_12659
.LBB6_13707:                            ;   in Loop: Header=BB6_10858 Depth=3
	v_cmp_ne_u16_e32 vcc_lo, 0, v105
	v_mov_b32_e32 v104, 0
	s_and_not1_b32 s13, s13, exec_lo
	s_and_b32 s17, vcc_lo, exec_lo
	s_delay_alu instid0(SALU_CYCLE_1)
	s_or_b32 s13, s13, s17
	s_or_b32 exec_lo, exec_lo, s31
	s_and_saveexec_b32 s17, s13
	s_cbranch_execnz .LBB6_12660
	s_branch .LBB6_12661
.LBB6_13708:                            ;   in Loop: Header=BB6_10858 Depth=3
	s_mov_b32 s13, -1
	s_mov_b32 s34, exec_lo
                                        ; implicit-def: $sgpr17
	v_cmpx_eq_u16_e32 0x80, v106
; %bb.13709:                            ;   in Loop: Header=BB6_10858 Depth=3
	s_mov_b32 s17, 0x7f800001
	s_xor_b32 s13, exec_lo, -1
; %bb.13710:                            ;   in Loop: Header=BB6_10858 Depth=3
	s_or_b32 exec_lo, exec_lo, s34
	s_delay_alu instid0(SALU_CYCLE_1)
	s_and_b32 s13, s13, exec_lo
                                        ; implicit-def: $vgpr106
	s_or_saveexec_b32 s31, s31
	v_mov_b32_e32 v105, s17
	s_xor_b32 exec_lo, exec_lo, s31
	s_cbranch_execz .LBB6_12663
.LBB6_13711:                            ;   in Loop: Header=BB6_10858 Depth=3
	v_cmp_ne_u16_e32 vcc_lo, 0, v106
	v_mov_b32_e32 v105, 0
	s_and_not1_b32 s13, s13, exec_lo
	s_and_b32 s17, vcc_lo, exec_lo
	s_delay_alu instid0(SALU_CYCLE_1)
	s_or_b32 s13, s13, s17
	s_or_b32 exec_lo, exec_lo, s31
	s_and_saveexec_b32 s17, s13
	s_cbranch_execnz .LBB6_12664
	s_branch .LBB6_12665
.LBB6_13712:                            ;   in Loop: Header=BB6_10858 Depth=3
	s_mov_b32 s13, -1
	s_mov_b32 s34, exec_lo
                                        ; implicit-def: $sgpr17
	v_cmpx_eq_u16_e32 0x80, v105
; %bb.13713:                            ;   in Loop: Header=BB6_10858 Depth=3
	s_mov_b32 s17, 0x7f800001
	s_xor_b32 s13, exec_lo, -1
; %bb.13714:                            ;   in Loop: Header=BB6_10858 Depth=3
	s_or_b32 exec_lo, exec_lo, s34
	s_delay_alu instid0(SALU_CYCLE_1)
	s_and_b32 s13, s13, exec_lo
                                        ; implicit-def: $vgpr105
	s_or_saveexec_b32 s31, s31
	v_mov_b32_e32 v104, s17
	s_xor_b32 exec_lo, exec_lo, s31
	s_cbranch_execz .LBB6_12670
.LBB6_13715:                            ;   in Loop: Header=BB6_10858 Depth=3
	v_cmp_ne_u16_e32 vcc_lo, 0, v105
	v_mov_b32_e32 v104, 0
	s_and_not1_b32 s13, s13, exec_lo
	s_and_b32 s17, vcc_lo, exec_lo
	s_delay_alu instid0(SALU_CYCLE_1)
	s_or_b32 s13, s13, s17
	s_or_b32 exec_lo, exec_lo, s31
	s_and_saveexec_b32 s17, s13
	s_cbranch_execnz .LBB6_12671
	s_branch .LBB6_12672
.LBB6_13716:                            ;   in Loop: Header=BB6_10858 Depth=3
	s_mov_b32 s13, -1
	s_mov_b32 s34, exec_lo
                                        ; implicit-def: $sgpr17
	v_cmpx_eq_u16_e32 0x80, v105
; %bb.13717:                            ;   in Loop: Header=BB6_10858 Depth=3
	s_mov_b32 s17, 0x7f800001
	s_xor_b32 s13, exec_lo, -1
; %bb.13718:                            ;   in Loop: Header=BB6_10858 Depth=3
	s_or_b32 exec_lo, exec_lo, s34
	s_delay_alu instid0(SALU_CYCLE_1)
	s_and_b32 s13, s13, exec_lo
                                        ; implicit-def: $vgpr105
	s_or_saveexec_b32 s31, s31
	v_mov_b32_e32 v95, s17
	s_xor_b32 exec_lo, exec_lo, s31
	s_cbranch_execz .LBB6_12674
.LBB6_13719:                            ;   in Loop: Header=BB6_10858 Depth=3
	v_cmp_ne_u16_e32 vcc_lo, 0, v105
	v_mov_b32_e32 v95, 0
	s_and_not1_b32 s13, s13, exec_lo
	s_and_b32 s17, vcc_lo, exec_lo
	s_delay_alu instid0(SALU_CYCLE_1)
	s_or_b32 s13, s13, s17
	s_or_b32 exec_lo, exec_lo, s31
	s_and_saveexec_b32 s17, s13
	s_cbranch_execnz .LBB6_12675
	s_branch .LBB6_12676
.LBB6_13720:                            ;   in Loop: Header=BB6_10858 Depth=3
	s_mov_b32 s13, -1
	s_mov_b32 s34, exec_lo
                                        ; implicit-def: $sgpr17
	v_cmpx_eq_u16_e32 0x80, v104
; %bb.13721:                            ;   in Loop: Header=BB6_10858 Depth=3
	s_mov_b32 s17, 0x7f800001
	s_xor_b32 s13, exec_lo, -1
; %bb.13722:                            ;   in Loop: Header=BB6_10858 Depth=3
	s_or_b32 exec_lo, exec_lo, s34
	s_delay_alu instid0(SALU_CYCLE_1)
	s_and_b32 s13, s13, exec_lo
	s_or_saveexec_b32 s31, s31
	v_mov_b32_e32 v105, s17
	s_xor_b32 exec_lo, exec_lo, s31
	s_cbranch_execz .LBB6_12688
.LBB6_13723:                            ;   in Loop: Header=BB6_10858 Depth=3
	v_cmp_ne_u16_e32 vcc_lo, 0, v104
	v_mov_b32_e32 v105, 0
	s_and_not1_b32 s13, s13, exec_lo
	s_and_b32 s17, vcc_lo, exec_lo
	s_delay_alu instid0(SALU_CYCLE_1)
	s_or_b32 s13, s13, s17
	s_or_b32 exec_lo, exec_lo, s31
	s_and_saveexec_b32 s17, s13
	s_cbranch_execnz .LBB6_12689
	s_branch .LBB6_12690
.LBB6_13724:                            ;   in Loop: Header=BB6_10858 Depth=3
	s_mov_b32 s13, -1
	s_mov_b32 s34, exec_lo
                                        ; implicit-def: $sgpr17
	v_cmpx_eq_u16_e32 0x80, v95
; %bb.13725:                            ;   in Loop: Header=BB6_10858 Depth=3
	s_mov_b32 s17, 0x7f800001
	s_xor_b32 s13, exec_lo, -1
; %bb.13726:                            ;   in Loop: Header=BB6_10858 Depth=3
	s_or_b32 exec_lo, exec_lo, s34
	s_delay_alu instid0(SALU_CYCLE_1)
	s_and_b32 s13, s13, exec_lo
	s_or_saveexec_b32 s31, s31
	v_mov_b32_e32 v106, s17
	s_xor_b32 exec_lo, exec_lo, s31
	s_cbranch_execz .LBB6_12692
.LBB6_13727:                            ;   in Loop: Header=BB6_10858 Depth=3
	v_cmp_ne_u16_e32 vcc_lo, 0, v95
	v_mov_b32_e32 v106, 0
	s_and_not1_b32 s13, s13, exec_lo
	s_and_b32 s17, vcc_lo, exec_lo
	s_delay_alu instid0(SALU_CYCLE_1)
	s_or_b32 s13, s13, s17
	s_or_b32 exec_lo, exec_lo, s31
	s_and_saveexec_b32 s17, s13
	s_cbranch_execnz .LBB6_12693
	s_branch .LBB6_12694
.LBB6_13728:                            ;   in Loop: Header=BB6_10858 Depth=3
	s_mov_b32 s13, -1
	s_mov_b32 s34, exec_lo
                                        ; implicit-def: $sgpr17
	v_cmpx_eq_u16_e32 0x80, v104
; %bb.13729:                            ;   in Loop: Header=BB6_10858 Depth=3
	s_mov_b32 s17, 0x7f800001
	s_xor_b32 s13, exec_lo, -1
; %bb.13730:                            ;   in Loop: Header=BB6_10858 Depth=3
	s_or_b32 exec_lo, exec_lo, s34
	s_delay_alu instid0(SALU_CYCLE_1)
	s_and_b32 s13, s13, exec_lo
	s_or_saveexec_b32 s31, s31
	v_mov_b32_e32 v105, s17
	s_xor_b32 exec_lo, exec_lo, s31
	s_cbranch_execz .LBB6_12699
.LBB6_13731:                            ;   in Loop: Header=BB6_10858 Depth=3
	v_cmp_ne_u16_e32 vcc_lo, 0, v104
	v_mov_b32_e32 v105, 0
	s_and_not1_b32 s13, s13, exec_lo
	s_and_b32 s17, vcc_lo, exec_lo
	s_delay_alu instid0(SALU_CYCLE_1)
	s_or_b32 s13, s13, s17
	s_or_b32 exec_lo, exec_lo, s31
	s_and_saveexec_b32 s17, s13
	s_cbranch_execnz .LBB6_12700
	s_branch .LBB6_12701
.LBB6_13732:                            ;   in Loop: Header=BB6_10858 Depth=3
	s_mov_b32 s13, -1
	s_mov_b32 s34, exec_lo
                                        ; implicit-def: $sgpr17
	v_cmpx_eq_u16_e32 0x80, v95
; %bb.13733:                            ;   in Loop: Header=BB6_10858 Depth=3
	s_mov_b32 s17, 0x7f800001
	s_xor_b32 s13, exec_lo, -1
; %bb.13734:                            ;   in Loop: Header=BB6_10858 Depth=3
	s_or_b32 exec_lo, exec_lo, s34
	s_delay_alu instid0(SALU_CYCLE_1)
	s_and_b32 s13, s13, exec_lo
	s_or_saveexec_b32 s31, s31
	v_mov_b32_e32 v15, s17
	s_xor_b32 exec_lo, exec_lo, s31
	s_cbranch_execz .LBB6_12703
.LBB6_13735:                            ;   in Loop: Header=BB6_10858 Depth=3
	v_cmp_ne_u16_e32 vcc_lo, 0, v95
	v_mov_b32_e32 v15, 0
	s_and_not1_b32 s13, s13, exec_lo
	s_and_b32 s17, vcc_lo, exec_lo
	s_delay_alu instid0(SALU_CYCLE_1)
	s_or_b32 s13, s13, s17
	s_or_b32 exec_lo, exec_lo, s31
	s_and_saveexec_b32 s17, s13
	s_cbranch_execnz .LBB6_12704
	s_branch .LBB6_12705
.LBB6_13736:                            ;   in Loop: Header=BB6_5644 Depth=2
	s_or_b32 exec_lo, exec_lo, s15
.LBB6_13737:                            ;   in Loop: Header=BB6_5644 Depth=2
	s_delay_alu instid0(SALU_CYCLE_1) | instskip(SKIP_4) | instid1(VALU_DEP_2)
	s_or_b32 exec_lo, exec_lo, s14
	v_lshlrev_b32_e32 v22, 11, v116
	v_mov_b32_e32 v14, 0
	s_mov_b32 s13, 0
	s_mov_b32 s15, exec_lo
                                        ; implicit-def: $vgpr15
                                        ; implicit-def: $vgpr16
                                        ; implicit-def: $vgpr8
	v_cmpx_ne_u32_e64 v182, v22
	s_cbranch_execz .LBB6_14466
; %bb.13738:                            ;   in Loop: Header=BB6_5644 Depth=2
	v_lshlrev_b32_e32 v2, 5, v2
	v_sub_nc_u32_e32 v9, v182, v22
	s_mov_b32 s16, exec_lo
	s_delay_alu instid0(VALU_DEP_2) | instskip(NEXT) | instid1(VALU_DEP_2)
	v_sub_nc_u32_e32 v2, v131, v2
	v_ashrrev_i32_e32 v10, 31, v9
	s_delay_alu instid0(VALU_DEP_2) | instskip(NEXT) | instid1(VALU_DEP_2)
	v_ashrrev_i32_e32 v8, 31, v2
	v_lshrrev_b32_e32 v10, 23, v10
	s_delay_alu instid0(VALU_DEP_2) | instskip(NEXT) | instid1(VALU_DEP_2)
	v_lshrrev_b32_e32 v8, 27, v8
	v_add_nc_u32_e32 v10, v9, v10
	s_delay_alu instid0(VALU_DEP_2) | instskip(NEXT) | instid1(VALU_DEP_1)
	v_add_nc_u32_e32 v8, v2, v8
	v_and_b32_e32 v11, 0xffffffe0, v8
	s_delay_alu instid0(VALU_DEP_1) | instskip(NEXT) | instid1(VALU_DEP_4)
	v_sub_nc_u32_e32 v23, v2, v11
	v_and_b32_e32 v2, 0xfffffe00, v10
	v_ashrrev_i32_e32 v11, 5, v8
	v_ashrrev_i32_e32 v10, 9, v10
	s_delay_alu instid0(VALU_DEP_4) | instskip(NEXT) | instid1(VALU_DEP_4)
	v_lshlrev_b32_e32 v8, 4, v23
	v_sub_nc_u32_e32 v24, v9, v2
	s_delay_alu instid0(VALU_DEP_2) | instskip(NEXT) | instid1(VALU_DEP_2)
	v_lshl_add_u32 v8, v11, 9, v8
	v_cmp_lt_i32_e64 s13, 15, v24
	s_delay_alu instid0(VALU_DEP_2) | instskip(NEXT) | instid1(VALU_DEP_2)
	v_sub_nc_u32_e32 v26, v9, v8
	v_add_co_ci_u32_e64 v10, vcc_lo, 0, v10, s13
	s_delay_alu instid0(VALU_DEP_1) | instskip(NEXT) | instid1(VALU_DEP_3)
	v_sub_nc_u32_e32 v25, v10, v11
	v_cmpx_lt_i32_e32 15, v26
	s_cbranch_execz .LBB6_14463
; %bb.13739:                            ;   in Loop: Header=BB6_5644 Depth=2
	s_cbranch_execnz .LBB6_17094
; %bb.13740:                            ;   in Loop: Header=BB6_5644 Depth=2
	ds_load_b128 v[9:12], v0
	ds_load_b64 v[13:14], v0
	v_add_nc_u32_e32 v8, v8, v22
	s_bitcmp1_b32 s30, 0
	s_mov_b32 s17, 0
	s_cselect_b32 s31, -1, 0
	s_delay_alu instid0(VALU_DEP_1) | instskip(SKIP_2) | instid1(VALU_DEP_2)
	v_ashrrev_i32_e32 v15, 31, v8
	s_waitcnt lgkmcnt(1)
	v_add_co_u32 v16, vcc_lo, v9, v8
	v_add_co_ci_u32_e32 v17, vcc_lo, v10, v15, vcc_lo
	v_add_co_u32 v18, vcc_lo, v11, v8
	v_add_co_ci_u32_e32 v19, vcc_lo, v12, v15, vcc_lo
	s_waitcnt lgkmcnt(0)
	v_add_co_u32 v20, vcc_lo, v13, v8
	v_add_co_ci_u32_e32 v21, vcc_lo, v14, v15, vcc_lo
	s_branch .LBB6_13744
.LBB6_13741:                            ;   in Loop: Header=BB6_13744 Depth=3
	s_or_b32 exec_lo, exec_lo, s14
	s_delay_alu instid0(VALU_DEP_1) | instskip(NEXT) | instid1(VALU_DEP_2)
	v_lshrrev_b32_e32 v15, 20, v15
	v_cmp_gt_i32_e32 vcc_lo, 16, v11
	v_min_i32_e32 v48, 15, v11
	v_lshrrev_b32_e32 v49, 24, v50
	s_delay_alu instid0(VALU_DEP_2) | instskip(NEXT) | instid1(VALU_DEP_2)
	v_dual_cndmask_b32 v15, 7, v15 :: v_dual_lshlrev_b32 v48, 3, v48
	v_and_b32_e32 v49, 0x80, v49
	s_delay_alu instid0(VALU_DEP_2) | instskip(SKIP_1) | instid1(VALU_DEP_2)
	v_or_b32_e32 v11, v11, v15
	v_and_b32_e32 v50, 7, v15
	v_cmp_ne_u32_e32 vcc_lo, 0, v11
	v_and_b32_e32 v48, 0xf8, v48
	s_delay_alu instid0(VALU_DEP_1) | instskip(NEXT) | instid1(VALU_DEP_1)
	v_or3_b32 v48, v49, v48, v50
	v_lshlrev_b32_e32 v15, 8, v48
	s_delay_alu instid0(VALU_DEP_1)
	v_cndmask_b32_e32 v11, 0, v15, vcc_lo
.LBB6_13742:                            ;   in Loop: Header=BB6_13744 Depth=3
	s_or_b32 exec_lo, exec_lo, s35
.LBB6_13743:                            ;   in Loop: Header=BB6_13744 Depth=3
	s_delay_alu instid0(SALU_CYCLE_1)
	s_or_b32 exec_lo, exec_lo, s34
	v_lshlrev_b32_e32 v15, 8, v34
	v_and_b32_e32 v33, 0xff, v33
	v_or_b32_e32 v9, v9, v35
	v_lshlrev_b32_e32 v32, 8, v32
	v_lshlrev_b32_e32 v34, 8, v36
	v_perm_b32 v12, v15, v12, 0xc0c0500
	v_lshlrev_b32_e32 v15, 16, v33
	v_and_b32_e32 v33, 0xff, v37
	v_lshlrev_b32_e32 v35, 8, v38
	v_lshlrev_b32_e32 v8, 24, v8
	v_perm_b32 v27, v32, v27, 0xc0c0500
	v_lshlrev_b32_e32 v10, 24, v10
	v_lshlrev_b32_e32 v32, 16, v33
	v_perm_b32 v13, v34, v13, 0xc0c0500
	v_perm_b32 v14, v35, v14, 0xc0c0500
	v_or_b32_e32 v11, v11, v39
	v_add_co_u32 v16, vcc_lo, v16, v148
	v_lshl_or_b32 v9, v9, 16, v12
	v_or3_b32 v8, v8, v15, v27
	v_or3_b32 v10, v10, v32, v13
	v_lshl_or_b32 v11, v11, 16, v14
	v_sub_nc_u32_e32 v26, v26, v132
	v_add_co_ci_u32_e32 v17, vcc_lo, v17, v149, vcc_lo
	v_add_co_u32 v18, vcc_lo, v18, v148
	v_add_co_ci_u32_e32 v19, vcc_lo, v19, v149, vcc_lo
	global_store_b128 v[20:21], v[8:11], off glc slc dlc
	v_cmp_gt_i32_e32 vcc_lo, 16, v26
	v_add_co_u32 v20, s14, v20, v148
	s_delay_alu instid0(VALU_DEP_1) | instskip(SKIP_2) | instid1(SALU_CYCLE_1)
	v_add_co_ci_u32_e64 v21, s14, v21, v149, s14
	v_sub_nc_u32_e32 v25, v25, v129
	s_or_b32 s17, vcc_lo, s17
	s_and_not1_b32 exec_lo, exec_lo, s17
	s_cbranch_execz .LBB6_14462
.LBB6_13744:                            ;   Parent Loop BB6_51 Depth=1
                                        ;     Parent Loop BB6_5644 Depth=2
                                        ; =>    This Inner Loop Header: Depth=3
	global_load_b128 v[12:15], v[16:17], off slc dlc
	global_load_b128 v[8:11], v[18:19], off slc dlc
	s_and_b32 vcc_lo, exec_lo, s31
	s_cbranch_vccz .LBB6_13754
; %bb.13745:                            ;   in Loop: Header=BB6_13744 Depth=3
	s_waitcnt vmcnt(1)
	v_and_b32_e32 v32, 0xff, v12
	s_mov_b32 s14, 0
	s_mov_b32 s35, exec_lo
                                        ; implicit-def: $sgpr34
	s_delay_alu instid0(VALU_DEP_1)
	v_cmpx_lt_i16_e32 0x7f, v32
	s_xor_b32 s35, exec_lo, s35
	s_cbranch_execnz .LBB6_14206
; %bb.13746:                            ;   in Loop: Header=BB6_13744 Depth=3
	s_or_saveexec_b32 s35, s35
	v_mov_b32_e32 v27, s34
	s_xor_b32 exec_lo, exec_lo, s35
	s_cbranch_execnz .LBB6_14209
.LBB6_13747:                            ;   in Loop: Header=BB6_13744 Depth=3
	s_or_b32 exec_lo, exec_lo, s35
	s_and_saveexec_b32 s34, s14
	s_cbranch_execz .LBB6_13749
.LBB6_13748:                            ;   in Loop: Header=BB6_13744 Depth=3
	v_and_b32_e32 v27, 7, v12
	v_bfe_u32 v34, v12, 3, 4
	v_lshlrev_b32_e32 v35, 24, v12
	s_delay_alu instid0(VALU_DEP_3) | instskip(NEXT) | instid1(VALU_DEP_3)
	v_clz_i32_u32_e32 v32, v27
	v_cmp_eq_u32_e32 vcc_lo, 0, v34
	s_delay_alu instid0(VALU_DEP_2) | instskip(NEXT) | instid1(VALU_DEP_1)
	v_min_u32_e32 v32, 32, v32
	v_subrev_nc_u32_e32 v33, 28, v32
	v_sub_nc_u32_e32 v32, 29, v32
	s_delay_alu instid0(VALU_DEP_2) | instskip(NEXT) | instid1(VALU_DEP_1)
	v_lshlrev_b32_e32 v33, v33, v12
	v_dual_cndmask_b32 v32, v34, v32 :: v_dual_and_b32 v33, 7, v33
	s_delay_alu instid0(VALU_DEP_1) | instskip(NEXT) | instid1(VALU_DEP_2)
	v_lshl_add_u32 v32, v32, 23, 0x3b800000
	v_cndmask_b32_e32 v27, v27, v33, vcc_lo
	v_and_b32_e32 v33, 0x80000000, v35
	s_delay_alu instid0(VALU_DEP_2) | instskip(NEXT) | instid1(VALU_DEP_1)
	v_lshlrev_b32_e32 v27, 20, v27
	v_or3_b32 v27, v33, v32, v27
.LBB6_13749:                            ;   in Loop: Header=BB6_13744 Depth=3
	s_or_b32 exec_lo, exec_lo, s34
	s_waitcnt vmcnt(0)
	v_and_b32_e32 v33, 0xff, v8
	s_mov_b32 s14, 0
	s_mov_b32 s35, exec_lo
                                        ; implicit-def: $sgpr34
	s_delay_alu instid0(VALU_DEP_1)
	v_cmpx_lt_i16_e32 0x7f, v33
	s_xor_b32 s35, exec_lo, s35
	s_cbranch_execnz .LBB6_14210
; %bb.13750:                            ;   in Loop: Header=BB6_13744 Depth=3
	s_or_saveexec_b32 s35, s35
	v_mov_b32_e32 v32, s34
	s_xor_b32 exec_lo, exec_lo, s35
	s_cbranch_execnz .LBB6_14213
.LBB6_13751:                            ;   in Loop: Header=BB6_13744 Depth=3
	s_or_b32 exec_lo, exec_lo, s35
	s_and_saveexec_b32 s34, s14
	s_cbranch_execz .LBB6_13753
.LBB6_13752:                            ;   in Loop: Header=BB6_13744 Depth=3
	v_bfe_u32 v35, v8, 3, 4
	v_lshlrev_b32_e32 v36, 24, v8
	s_delay_alu instid0(VALU_DEP_2) | instskip(SKIP_1) | instid1(VALU_DEP_1)
	v_cmp_eq_u32_e32 vcc_lo, 0, v35
	v_and_b32_e32 v32, 7, v8
	v_clz_i32_u32_e32 v33, v32
	s_delay_alu instid0(VALU_DEP_1) | instskip(NEXT) | instid1(VALU_DEP_1)
	v_min_u32_e32 v33, 32, v33
	v_subrev_nc_u32_e32 v34, 28, v33
	v_sub_nc_u32_e32 v33, 29, v33
	s_delay_alu instid0(VALU_DEP_1) | instskip(NEXT) | instid1(VALU_DEP_1)
	v_dual_cndmask_b32 v33, v35, v33 :: v_dual_lshlrev_b32 v34, v34, v8
	v_and_b32_e32 v34, 7, v34
	s_delay_alu instid0(VALU_DEP_2) | instskip(NEXT) | instid1(VALU_DEP_2)
	v_lshl_add_u32 v33, v33, 23, 0x3b800000
	v_cndmask_b32_e32 v32, v32, v34, vcc_lo
	v_and_b32_e32 v34, 0x80000000, v36
	s_delay_alu instid0(VALU_DEP_2) | instskip(NEXT) | instid1(VALU_DEP_1)
	v_lshlrev_b32_e32 v32, 20, v32
	v_or3_b32 v32, v34, v33, v32
.LBB6_13753:                            ;   in Loop: Header=BB6_13744 Depth=3
	s_or_b32 exec_lo, exec_lo, s34
	s_delay_alu instid0(VALU_DEP_1) | instskip(SKIP_1) | instid1(VALU_DEP_1)
	v_dual_max_f32 v32, v32, v32 :: v_dual_max_f32 v27, v27, v27
	s_mov_b32 s14, 0
	v_max_f32_e32 v32, v27, v32
	s_branch .LBB6_13755
.LBB6_13754:                            ;   in Loop: Header=BB6_13744 Depth=3
	s_mov_b32 s14, -1
                                        ; implicit-def: $vgpr32
.LBB6_13755:                            ;   in Loop: Header=BB6_13744 Depth=3
	s_delay_alu instid0(SALU_CYCLE_1)
	s_and_b32 vcc_lo, exec_lo, s14
	s_cbranch_vccz .LBB6_13765
; %bb.13756:                            ;   in Loop: Header=BB6_13744 Depth=3
	s_waitcnt vmcnt(1)
	v_and_b32_e32 v32, 0xff, v12
	s_mov_b32 s14, 0
	s_mov_b32 s35, exec_lo
                                        ; implicit-def: $sgpr34
	s_delay_alu instid0(VALU_DEP_1)
	v_cmpx_lt_i16_e32 0x7f, v32
	s_xor_b32 s35, exec_lo, s35
	s_cbranch_execnz .LBB6_14214
; %bb.13757:                            ;   in Loop: Header=BB6_13744 Depth=3
	s_or_saveexec_b32 s35, s35
	v_mov_b32_e32 v27, s34
	s_xor_b32 exec_lo, exec_lo, s35
	s_cbranch_execnz .LBB6_14217
.LBB6_13758:                            ;   in Loop: Header=BB6_13744 Depth=3
	s_or_b32 exec_lo, exec_lo, s35
	s_and_saveexec_b32 s34, s14
	s_cbranch_execz .LBB6_13760
.LBB6_13759:                            ;   in Loop: Header=BB6_13744 Depth=3
	v_and_b32_e32 v27, 7, v12
	v_bfe_u32 v34, v12, 3, 4
	v_lshlrev_b32_e32 v35, 24, v12
	s_delay_alu instid0(VALU_DEP_3) | instskip(NEXT) | instid1(VALU_DEP_3)
	v_clz_i32_u32_e32 v32, v27
	v_cmp_eq_u32_e32 vcc_lo, 0, v34
	s_delay_alu instid0(VALU_DEP_2) | instskip(NEXT) | instid1(VALU_DEP_1)
	v_min_u32_e32 v32, 32, v32
	v_subrev_nc_u32_e32 v33, 28, v32
	v_sub_nc_u32_e32 v32, 29, v32
	s_delay_alu instid0(VALU_DEP_2) | instskip(NEXT) | instid1(VALU_DEP_1)
	v_lshlrev_b32_e32 v33, v33, v12
	v_dual_cndmask_b32 v32, v34, v32 :: v_dual_and_b32 v33, 7, v33
	s_delay_alu instid0(VALU_DEP_1) | instskip(NEXT) | instid1(VALU_DEP_2)
	v_lshl_add_u32 v32, v32, 23, 0x3b800000
	v_cndmask_b32_e32 v27, v27, v33, vcc_lo
	v_and_b32_e32 v33, 0x80000000, v35
	s_delay_alu instid0(VALU_DEP_2) | instskip(NEXT) | instid1(VALU_DEP_1)
	v_lshlrev_b32_e32 v27, 20, v27
	v_or3_b32 v27, v33, v32, v27
.LBB6_13760:                            ;   in Loop: Header=BB6_13744 Depth=3
	s_or_b32 exec_lo, exec_lo, s34
	s_waitcnt vmcnt(0)
	v_and_b32_e32 v33, 0xff, v8
	s_mov_b32 s14, 0
	s_mov_b32 s35, exec_lo
                                        ; implicit-def: $sgpr34
	s_delay_alu instid0(VALU_DEP_1)
	v_cmpx_lt_i16_e32 0x7f, v33
	s_xor_b32 s35, exec_lo, s35
	s_cbranch_execnz .LBB6_14218
; %bb.13761:                            ;   in Loop: Header=BB6_13744 Depth=3
	s_or_saveexec_b32 s35, s35
	v_mov_b32_e32 v32, s34
	s_xor_b32 exec_lo, exec_lo, s35
	s_cbranch_execnz .LBB6_14221
.LBB6_13762:                            ;   in Loop: Header=BB6_13744 Depth=3
	s_or_b32 exec_lo, exec_lo, s35
	s_and_saveexec_b32 s34, s14
	s_cbranch_execz .LBB6_13764
.LBB6_13763:                            ;   in Loop: Header=BB6_13744 Depth=3
	v_bfe_u32 v35, v8, 3, 4
	v_lshlrev_b32_e32 v36, 24, v8
	s_delay_alu instid0(VALU_DEP_2) | instskip(SKIP_1) | instid1(VALU_DEP_1)
	v_cmp_eq_u32_e32 vcc_lo, 0, v35
	v_and_b32_e32 v32, 7, v8
	v_clz_i32_u32_e32 v33, v32
	s_delay_alu instid0(VALU_DEP_1) | instskip(NEXT) | instid1(VALU_DEP_1)
	v_min_u32_e32 v33, 32, v33
	v_subrev_nc_u32_e32 v34, 28, v33
	v_sub_nc_u32_e32 v33, 29, v33
	s_delay_alu instid0(VALU_DEP_1) | instskip(NEXT) | instid1(VALU_DEP_1)
	v_dual_cndmask_b32 v33, v35, v33 :: v_dual_lshlrev_b32 v34, v34, v8
	v_and_b32_e32 v34, 7, v34
	s_delay_alu instid0(VALU_DEP_2) | instskip(NEXT) | instid1(VALU_DEP_2)
	v_lshl_add_u32 v33, v33, 23, 0x3b800000
	v_cndmask_b32_e32 v32, v32, v34, vcc_lo
	v_and_b32_e32 v34, 0x80000000, v36
	s_delay_alu instid0(VALU_DEP_2) | instskip(NEXT) | instid1(VALU_DEP_1)
	v_lshlrev_b32_e32 v32, 20, v32
	v_or3_b32 v32, v34, v33, v32
.LBB6_13764:                            ;   in Loop: Header=BB6_13744 Depth=3
	s_or_b32 exec_lo, exec_lo, s34
	s_delay_alu instid0(VALU_DEP_1) | instskip(NEXT) | instid1(VALU_DEP_1)
	v_dual_max_f32 v32, v32, v32 :: v_dual_max_f32 v27, v27, v27
	v_min_f32_e32 v32, v27, v32
.LBB6_13765:                            ;   in Loop: Header=BB6_13744 Depth=3
	s_delay_alu instid0(VALU_DEP_1) | instskip(NEXT) | instid1(VALU_DEP_1)
	v_and_b32_e32 v27, 0x7f800000, v32
	v_cmp_ne_u32_e32 vcc_lo, 0x7f800000, v27
	v_mov_b32_e32 v27, 0x80
	s_and_saveexec_b32 s34, vcc_lo
	s_cbranch_execz .LBB6_13773
; %bb.13766:                            ;   in Loop: Header=BB6_13744 Depth=3
	v_mov_b32_e32 v27, 0
	s_mov_b32 s35, exec_lo
	v_cmpx_ne_u32_e32 0, v32
	s_cbranch_execz .LBB6_13772
; %bb.13767:                            ;   in Loop: Header=BB6_13744 Depth=3
	v_bfe_u32 v27, v32, 23, 8
	s_delay_alu instid0(VALU_DEP_1) | instskip(SKIP_1) | instid1(VALU_DEP_2)
	v_sub_nc_u32_e32 v34, 0x78, v27
	v_cmp_gt_u32_e32 vcc_lo, 0x79, v27
	v_dual_cndmask_b32 v34, 0, v34 :: v_dual_and_b32 v33, 0x7fffff, v32
	s_delay_alu instid0(VALU_DEP_1) | instskip(SKIP_2) | instid1(VALU_DEP_4)
	v_or_b32_e32 v35, 0x800000, v33
	v_cmp_eq_u32_e32 vcc_lo, 0, v27
	v_add_nc_u32_e32 v27, 0xffffff89, v27
	v_cndmask_b32_e64 v34, v34, 0x77, vcc_lo
	s_delay_alu instid0(VALU_DEP_2) | instskip(SKIP_1) | instid1(VALU_DEP_3)
	v_cndmask_b32_e64 v27, v27, 0xffffff8a, vcc_lo
	v_cndmask_b32_e32 v33, v35, v33, vcc_lo
	v_lshl_add_u32 v35, 0x100000, v34, -1
	v_lshlrev_b32_e64 v38, v34, 0x80000
	s_delay_alu instid0(VALU_DEP_3) | instskip(SKIP_1) | instid1(VALU_DEP_4)
	v_lshrrev_b32_e32 v36, v34, v33
	v_add_nc_u32_e32 v34, v34, v27
	v_and_b32_e32 v33, v35, v33
	s_delay_alu instid0(VALU_DEP_3) | instskip(NEXT) | instid1(VALU_DEP_2)
	v_bfe_u32 v37, v36, 20, 1
	v_cmp_eq_u32_e64 s14, v33, v38
	s_delay_alu instid0(VALU_DEP_2) | instskip(NEXT) | instid1(VALU_DEP_1)
	v_add_nc_u32_e32 v35, -1, v37
	v_cndmask_b32_e64 v33, 0, v35, s14
	v_lshrrev_b32_e32 v35, 23, v36
	s_mov_b32 s14, exec_lo
	s_delay_alu instid0(VALU_DEP_2) | instskip(NEXT) | instid1(VALU_DEP_2)
	v_add_nc_u32_e32 v33, v33, v36
	v_xor_b32_e32 v35, 1, v35
	s_delay_alu instid0(VALU_DEP_2) | instskip(NEXT) | instid1(VALU_DEP_1)
	v_and_b32_e32 v27, 0xfffff, v33
	v_add_nc_u32_e32 v33, v27, v36
                                        ; implicit-def: $vgpr27
	s_delay_alu instid0(VALU_DEP_3)
	v_cmpx_ne_u32_e64 v34, v35
	s_xor_b32 s14, exec_lo, s14
; %bb.13768:                            ;   in Loop: Header=BB6_13744 Depth=3
	s_delay_alu instid0(VALU_DEP_2) | instskip(SKIP_2) | instid1(VALU_DEP_2)
	v_cmp_lt_u32_e32 vcc_lo, 0xffffff, v33
	v_sub_nc_u32_e32 v27, v34, v35
	v_cndmask_b32_e64 v34, 0, 1, vcc_lo
	v_add_co_ci_u32_e32 v27, vcc_lo, 0, v27, vcc_lo
	s_delay_alu instid0(VALU_DEP_2)
	v_lshrrev_b32_e32 v33, v34, v33
; %bb.13769:                            ;   in Loop: Header=BB6_13744 Depth=3
	s_and_not1_saveexec_b32 s14, s14
; %bb.13770:                            ;   in Loop: Header=BB6_13744 Depth=3
	s_delay_alu instid0(VALU_DEP_1)
	v_bfe_u32 v27, v33, 23, 1
; %bb.13771:                            ;   in Loop: Header=BB6_13744 Depth=3
	s_or_b32 exec_lo, exec_lo, s14
	v_lshrrev_b32_e32 v33, 20, v33
	s_delay_alu instid0(VALU_DEP_2) | instskip(SKIP_2) | instid1(VALU_DEP_2)
	v_cmp_gt_i32_e32 vcc_lo, 16, v27
	v_lshrrev_b32_e32 v32, 24, v32
	v_min_i32_e32 v34, 15, v27
	v_dual_cndmask_b32 v33, 7, v33 :: v_dual_and_b32 v32, 0x80, v32
	s_delay_alu instid0(VALU_DEP_1) | instskip(SKIP_1) | instid1(VALU_DEP_2)
	v_or_b32_e32 v27, v27, v33
	v_and_b32_e32 v35, 7, v33
	v_cmp_ne_u32_e32 vcc_lo, 0, v27
	v_lshlrev_b32_e32 v34, 3, v34
	s_delay_alu instid0(VALU_DEP_1) | instskip(NEXT) | instid1(VALU_DEP_1)
	v_or3_b32 v32, v34, v32, v35
	v_cndmask_b32_e32 v27, 0, v32, vcc_lo
.LBB6_13772:                            ;   in Loop: Header=BB6_13744 Depth=3
	s_or_b32 exec_lo, exec_lo, s35
.LBB6_13773:                            ;   in Loop: Header=BB6_13744 Depth=3
	s_delay_alu instid0(SALU_CYCLE_1)
	s_or_b32 exec_lo, exec_lo, s34
	s_waitcnt vmcnt(1)
	v_lshrrev_b16 v33, 8, v12
	s_waitcnt vmcnt(0)
	v_lshrrev_b16 v32, 8, v8
	s_and_b32 vcc_lo, exec_lo, s31
	s_cbranch_vccz .LBB6_13783
; %bb.13774:                            ;   in Loop: Header=BB6_13744 Depth=3
	s_mov_b32 s14, 0
	s_mov_b32 s35, exec_lo
                                        ; implicit-def: $sgpr34
	v_cmpx_lt_i16_e32 0x7f, v33
	s_xor_b32 s35, exec_lo, s35
	s_cbranch_execnz .LBB6_14222
; %bb.13775:                            ;   in Loop: Header=BB6_13744 Depth=3
	s_or_saveexec_b32 s35, s35
	v_mov_b32_e32 v34, s34
	s_xor_b32 exec_lo, exec_lo, s35
	s_cbranch_execnz .LBB6_14225
.LBB6_13776:                            ;   in Loop: Header=BB6_13744 Depth=3
	s_or_b32 exec_lo, exec_lo, s35
	s_and_saveexec_b32 s34, s14
	s_cbranch_execz .LBB6_13778
.LBB6_13777:                            ;   in Loop: Header=BB6_13744 Depth=3
	v_and_b32_e32 v34, 0xffff, v33
	s_delay_alu instid0(VALU_DEP_1) | instskip(NEXT) | instid1(VALU_DEP_1)
	v_and_b32_e32 v35, 7, v34
	v_clz_i32_u32_e32 v36, v35
	s_delay_alu instid0(VALU_DEP_1) | instskip(NEXT) | instid1(VALU_DEP_1)
	v_min_u32_e32 v36, 32, v36
	v_subrev_nc_u32_e32 v37, 28, v36
	v_sub_nc_u32_e32 v36, 29, v36
	s_delay_alu instid0(VALU_DEP_2) | instskip(SKIP_1) | instid1(VALU_DEP_2)
	v_lshlrev_b32_e32 v37, v37, v34
	v_bfe_u32 v34, v34, 3, 4
	v_and_b32_e32 v37, 7, v37
	s_delay_alu instid0(VALU_DEP_2) | instskip(SKIP_1) | instid1(VALU_DEP_3)
	v_cmp_eq_u32_e32 vcc_lo, 0, v34
	v_cndmask_b32_e32 v34, v34, v36, vcc_lo
	v_dual_cndmask_b32 v35, v35, v37 :: v_dual_lshlrev_b32 v38, 16, v12
	s_delay_alu instid0(VALU_DEP_2) | instskip(NEXT) | instid1(VALU_DEP_2)
	v_lshl_add_u32 v34, v34, 23, 0x3b800000
	v_and_b32_e32 v36, 0x80000000, v38
	s_delay_alu instid0(VALU_DEP_3) | instskip(NEXT) | instid1(VALU_DEP_1)
	v_lshlrev_b32_e32 v35, 20, v35
	v_or3_b32 v34, v36, v34, v35
.LBB6_13778:                            ;   in Loop: Header=BB6_13744 Depth=3
	s_or_b32 exec_lo, exec_lo, s34
	s_mov_b32 s14, 0
	s_mov_b32 s35, exec_lo
                                        ; implicit-def: $sgpr34
	v_cmpx_lt_i16_e32 0x7f, v32
	s_xor_b32 s35, exec_lo, s35
	s_cbranch_execnz .LBB6_14226
; %bb.13779:                            ;   in Loop: Header=BB6_13744 Depth=3
	s_or_saveexec_b32 s35, s35
	v_mov_b32_e32 v35, s34
	s_xor_b32 exec_lo, exec_lo, s35
	s_cbranch_execnz .LBB6_14229
.LBB6_13780:                            ;   in Loop: Header=BB6_13744 Depth=3
	s_or_b32 exec_lo, exec_lo, s35
	s_and_saveexec_b32 s34, s14
	s_cbranch_execz .LBB6_13782
.LBB6_13781:                            ;   in Loop: Header=BB6_13744 Depth=3
	v_and_b32_e32 v35, 0xffff, v32
	v_lshlrev_b32_e32 v39, 16, v8
	s_delay_alu instid0(VALU_DEP_2) | instskip(NEXT) | instid1(VALU_DEP_1)
	v_and_b32_e32 v36, 7, v35
	v_clz_i32_u32_e32 v37, v36
	s_delay_alu instid0(VALU_DEP_1) | instskip(NEXT) | instid1(VALU_DEP_1)
	v_min_u32_e32 v37, 32, v37
	v_subrev_nc_u32_e32 v38, 28, v37
	v_sub_nc_u32_e32 v37, 29, v37
	s_delay_alu instid0(VALU_DEP_2) | instskip(SKIP_1) | instid1(VALU_DEP_2)
	v_lshlrev_b32_e32 v38, v38, v35
	v_bfe_u32 v35, v35, 3, 4
	v_and_b32_e32 v38, 7, v38
	s_delay_alu instid0(VALU_DEP_2) | instskip(NEXT) | instid1(VALU_DEP_2)
	v_cmp_eq_u32_e32 vcc_lo, 0, v35
	v_dual_cndmask_b32 v35, v35, v37 :: v_dual_cndmask_b32 v36, v36, v38
	v_and_b32_e32 v37, 0x80000000, v39
	s_delay_alu instid0(VALU_DEP_2) | instskip(NEXT) | instid1(VALU_DEP_3)
	v_lshl_add_u32 v35, v35, 23, 0x3b800000
	v_lshlrev_b32_e32 v36, 20, v36
	s_delay_alu instid0(VALU_DEP_1)
	v_or3_b32 v35, v37, v35, v36
.LBB6_13782:                            ;   in Loop: Header=BB6_13744 Depth=3
	s_or_b32 exec_lo, exec_lo, s34
	s_delay_alu instid0(VALU_DEP_1) | instskip(SKIP_1) | instid1(VALU_DEP_1)
	v_dual_max_f32 v35, v35, v35 :: v_dual_max_f32 v34, v34, v34
	s_mov_b32 s14, 0
	v_max_f32_e32 v34, v34, v35
	s_branch .LBB6_13784
.LBB6_13783:                            ;   in Loop: Header=BB6_13744 Depth=3
	s_mov_b32 s14, -1
                                        ; implicit-def: $vgpr34
.LBB6_13784:                            ;   in Loop: Header=BB6_13744 Depth=3
	s_delay_alu instid0(SALU_CYCLE_1)
	s_and_b32 vcc_lo, exec_lo, s14
	s_cbranch_vccz .LBB6_13794
; %bb.13785:                            ;   in Loop: Header=BB6_13744 Depth=3
	s_mov_b32 s14, 0
	s_mov_b32 s35, exec_lo
                                        ; implicit-def: $sgpr34
	v_cmpx_lt_i16_e32 0x7f, v33
	s_xor_b32 s35, exec_lo, s35
	s_cbranch_execnz .LBB6_14230
; %bb.13786:                            ;   in Loop: Header=BB6_13744 Depth=3
	s_or_saveexec_b32 s35, s35
	v_mov_b32_e32 v34, s34
	s_xor_b32 exec_lo, exec_lo, s35
	s_cbranch_execnz .LBB6_14233
.LBB6_13787:                            ;   in Loop: Header=BB6_13744 Depth=3
	s_or_b32 exec_lo, exec_lo, s35
	s_and_saveexec_b32 s34, s14
	s_cbranch_execz .LBB6_13789
.LBB6_13788:                            ;   in Loop: Header=BB6_13744 Depth=3
	v_and_b32_e32 v33, 0xffff, v33
	v_lshlrev_b32_e32 v37, 16, v12
	s_delay_alu instid0(VALU_DEP_2) | instskip(NEXT) | instid1(VALU_DEP_1)
	v_and_b32_e32 v34, 7, v33
	v_clz_i32_u32_e32 v35, v34
	s_delay_alu instid0(VALU_DEP_1) | instskip(NEXT) | instid1(VALU_DEP_1)
	v_min_u32_e32 v35, 32, v35
	v_subrev_nc_u32_e32 v36, 28, v35
	v_sub_nc_u32_e32 v35, 29, v35
	s_delay_alu instid0(VALU_DEP_2) | instskip(SKIP_1) | instid1(VALU_DEP_2)
	v_lshlrev_b32_e32 v36, v36, v33
	v_bfe_u32 v33, v33, 3, 4
	v_and_b32_e32 v36, 7, v36
	s_delay_alu instid0(VALU_DEP_2) | instskip(NEXT) | instid1(VALU_DEP_2)
	v_cmp_eq_u32_e32 vcc_lo, 0, v33
	v_dual_cndmask_b32 v33, v33, v35 :: v_dual_cndmask_b32 v34, v34, v36
	v_and_b32_e32 v35, 0x80000000, v37
	s_delay_alu instid0(VALU_DEP_2) | instskip(NEXT) | instid1(VALU_DEP_3)
	v_lshl_add_u32 v33, v33, 23, 0x3b800000
	v_lshlrev_b32_e32 v34, 20, v34
	s_delay_alu instid0(VALU_DEP_1)
	v_or3_b32 v34, v35, v33, v34
.LBB6_13789:                            ;   in Loop: Header=BB6_13744 Depth=3
	s_or_b32 exec_lo, exec_lo, s34
	s_mov_b32 s14, 0
	s_mov_b32 s35, exec_lo
                                        ; implicit-def: $sgpr34
	v_cmpx_lt_i16_e32 0x7f, v32
	s_xor_b32 s35, exec_lo, s35
	s_cbranch_execnz .LBB6_14234
; %bb.13790:                            ;   in Loop: Header=BB6_13744 Depth=3
	s_or_saveexec_b32 s35, s35
	v_mov_b32_e32 v33, s34
	s_xor_b32 exec_lo, exec_lo, s35
	s_cbranch_execnz .LBB6_14237
.LBB6_13791:                            ;   in Loop: Header=BB6_13744 Depth=3
	s_or_b32 exec_lo, exec_lo, s35
	s_and_saveexec_b32 s34, s14
	s_cbranch_execz .LBB6_13793
.LBB6_13792:                            ;   in Loop: Header=BB6_13744 Depth=3
	v_and_b32_e32 v32, 0xffff, v32
	v_lshlrev_b32_e32 v37, 16, v8
	s_delay_alu instid0(VALU_DEP_2) | instskip(NEXT) | instid1(VALU_DEP_1)
	v_and_b32_e32 v33, 7, v32
	v_clz_i32_u32_e32 v35, v33
	s_delay_alu instid0(VALU_DEP_1) | instskip(NEXT) | instid1(VALU_DEP_1)
	v_min_u32_e32 v35, 32, v35
	v_subrev_nc_u32_e32 v36, 28, v35
	v_sub_nc_u32_e32 v35, 29, v35
	s_delay_alu instid0(VALU_DEP_2) | instskip(SKIP_1) | instid1(VALU_DEP_2)
	v_lshlrev_b32_e32 v36, v36, v32
	v_bfe_u32 v32, v32, 3, 4
	v_and_b32_e32 v36, 7, v36
	s_delay_alu instid0(VALU_DEP_2) | instskip(NEXT) | instid1(VALU_DEP_2)
	v_cmp_eq_u32_e32 vcc_lo, 0, v32
	v_dual_cndmask_b32 v32, v32, v35 :: v_dual_cndmask_b32 v33, v33, v36
	v_and_b32_e32 v35, 0x80000000, v37
	s_delay_alu instid0(VALU_DEP_2) | instskip(NEXT) | instid1(VALU_DEP_3)
	v_lshl_add_u32 v32, v32, 23, 0x3b800000
	v_lshlrev_b32_e32 v33, 20, v33
	s_delay_alu instid0(VALU_DEP_1)
	v_or3_b32 v33, v35, v32, v33
.LBB6_13793:                            ;   in Loop: Header=BB6_13744 Depth=3
	s_or_b32 exec_lo, exec_lo, s34
	s_delay_alu instid0(VALU_DEP_1) | instskip(NEXT) | instid1(VALU_DEP_1)
	v_dual_max_f32 v32, v33, v33 :: v_dual_max_f32 v33, v34, v34
	v_min_f32_e32 v34, v33, v32
.LBB6_13794:                            ;   in Loop: Header=BB6_13744 Depth=3
	s_delay_alu instid0(VALU_DEP_1) | instskip(NEXT) | instid1(VALU_DEP_1)
	v_and_b32_e32 v32, 0x7f800000, v34
	v_cmp_ne_u32_e32 vcc_lo, 0x7f800000, v32
	v_mov_b32_e32 v32, 0x80
	s_and_saveexec_b32 s34, vcc_lo
	s_cbranch_execz .LBB6_13802
; %bb.13795:                            ;   in Loop: Header=BB6_13744 Depth=3
	v_mov_b32_e32 v32, 0
	s_mov_b32 s35, exec_lo
	v_cmpx_ne_u32_e32 0, v34
	s_cbranch_execz .LBB6_13801
; %bb.13796:                            ;   in Loop: Header=BB6_13744 Depth=3
	v_bfe_u32 v32, v34, 23, 8
	v_and_b32_e32 v33, 0x7fffff, v34
	s_delay_alu instid0(VALU_DEP_2) | instskip(SKIP_1) | instid1(VALU_DEP_3)
	v_sub_nc_u32_e32 v35, 0x78, v32
	v_cmp_gt_u32_e32 vcc_lo, 0x79, v32
	v_or_b32_e32 v36, 0x800000, v33
	s_delay_alu instid0(VALU_DEP_3) | instskip(SKIP_2) | instid1(VALU_DEP_3)
	v_cndmask_b32_e32 v35, 0, v35, vcc_lo
	v_cmp_eq_u32_e32 vcc_lo, 0, v32
	v_add_nc_u32_e32 v32, 0xffffff89, v32
	v_cndmask_b32_e64 v35, v35, 0x77, vcc_lo
	v_cndmask_b32_e32 v33, v36, v33, vcc_lo
	s_delay_alu instid0(VALU_DEP_3) | instskip(NEXT) | instid1(VALU_DEP_3)
	v_cndmask_b32_e64 v32, v32, 0xffffff8a, vcc_lo
	v_lshl_add_u32 v36, 0x100000, v35, -1
	s_delay_alu instid0(VALU_DEP_3) | instskip(SKIP_1) | instid1(VALU_DEP_4)
	v_lshrrev_b32_e32 v37, v35, v33
	v_lshlrev_b32_e64 v39, v35, 0x80000
	v_add_nc_u32_e32 v35, v35, v32
	s_delay_alu instid0(VALU_DEP_4) | instskip(NEXT) | instid1(VALU_DEP_4)
	v_and_b32_e32 v33, v36, v33
	v_bfe_u32 v38, v37, 20, 1
	s_delay_alu instid0(VALU_DEP_2) | instskip(NEXT) | instid1(VALU_DEP_2)
	v_cmp_eq_u32_e64 s14, v33, v39
	v_add_nc_u32_e32 v36, -1, v38
	s_delay_alu instid0(VALU_DEP_1) | instskip(SKIP_2) | instid1(VALU_DEP_2)
	v_cndmask_b32_e64 v33, 0, v36, s14
	v_lshrrev_b32_e32 v36, 23, v37
	s_mov_b32 s14, exec_lo
	v_add_nc_u32_e32 v33, v33, v37
	s_delay_alu instid0(VALU_DEP_2) | instskip(NEXT) | instid1(VALU_DEP_2)
	v_xor_b32_e32 v36, 1, v36
	v_and_b32_e32 v32, 0xfffff, v33
	s_delay_alu instid0(VALU_DEP_1) | instskip(NEXT) | instid1(VALU_DEP_3)
	v_add_nc_u32_e32 v33, v32, v37
                                        ; implicit-def: $vgpr32
	v_cmpx_ne_u32_e64 v35, v36
	s_xor_b32 s14, exec_lo, s14
; %bb.13797:                            ;   in Loop: Header=BB6_13744 Depth=3
	s_delay_alu instid0(VALU_DEP_2) | instskip(SKIP_2) | instid1(VALU_DEP_2)
	v_cmp_lt_u32_e32 vcc_lo, 0xffffff, v33
	v_sub_nc_u32_e32 v32, v35, v36
	v_cndmask_b32_e64 v35, 0, 1, vcc_lo
	v_add_co_ci_u32_e32 v32, vcc_lo, 0, v32, vcc_lo
	s_delay_alu instid0(VALU_DEP_2)
	v_lshrrev_b32_e32 v33, v35, v33
; %bb.13798:                            ;   in Loop: Header=BB6_13744 Depth=3
	s_and_not1_saveexec_b32 s14, s14
; %bb.13799:                            ;   in Loop: Header=BB6_13744 Depth=3
	s_delay_alu instid0(VALU_DEP_1)
	v_bfe_u32 v32, v33, 23, 1
; %bb.13800:                            ;   in Loop: Header=BB6_13744 Depth=3
	s_or_b32 exec_lo, exec_lo, s14
	v_lshrrev_b32_e32 v33, 20, v33
	s_delay_alu instid0(VALU_DEP_2) | instskip(SKIP_2) | instid1(VALU_DEP_2)
	v_cmp_gt_i32_e32 vcc_lo, 16, v32
	v_lshrrev_b32_e32 v34, 24, v34
	v_min_i32_e32 v35, 15, v32
	v_dual_cndmask_b32 v33, 7, v33 :: v_dual_and_b32 v34, 0x80, v34
	s_delay_alu instid0(VALU_DEP_1) | instskip(SKIP_1) | instid1(VALU_DEP_2)
	v_or_b32_e32 v32, v32, v33
	v_and_b32_e32 v36, 7, v33
	v_cmp_ne_u32_e32 vcc_lo, 0, v32
	v_lshlrev_b32_e32 v35, 3, v35
	s_delay_alu instid0(VALU_DEP_1) | instskip(NEXT) | instid1(VALU_DEP_1)
	v_or3_b32 v33, v35, v34, v36
	v_cndmask_b32_e32 v32, 0, v33, vcc_lo
.LBB6_13801:                            ;   in Loop: Header=BB6_13744 Depth=3
	s_or_b32 exec_lo, exec_lo, s35
.LBB6_13802:                            ;   in Loop: Header=BB6_13744 Depth=3
	s_delay_alu instid0(SALU_CYCLE_1)
	s_or_b32 exec_lo, exec_lo, s34
	v_lshrrev_b32_e32 v34, 16, v12
	v_lshrrev_b32_e32 v33, 16, v8
	s_and_b32 vcc_lo, exec_lo, s31
	s_cbranch_vccz .LBB6_13812
; %bb.13803:                            ;   in Loop: Header=BB6_13744 Depth=3
	s_delay_alu instid0(VALU_DEP_2) | instskip(SKIP_2) | instid1(VALU_DEP_1)
	v_and_b32_e32 v36, 0xff, v34
	s_mov_b32 s14, 0
	s_mov_b32 s35, exec_lo
                                        ; implicit-def: $sgpr34
	v_cmpx_lt_i16_e32 0x7f, v36
	s_xor_b32 s35, exec_lo, s35
	s_cbranch_execnz .LBB6_14238
; %bb.13804:                            ;   in Loop: Header=BB6_13744 Depth=3
	s_or_saveexec_b32 s35, s35
	v_mov_b32_e32 v35, s34
	s_xor_b32 exec_lo, exec_lo, s35
	s_cbranch_execnz .LBB6_14241
.LBB6_13805:                            ;   in Loop: Header=BB6_13744 Depth=3
	s_or_b32 exec_lo, exec_lo, s35
	s_and_saveexec_b32 s34, s14
	s_cbranch_execz .LBB6_13807
.LBB6_13806:                            ;   in Loop: Header=BB6_13744 Depth=3
	v_bfe_u32 v35, v12, 16, 3
	v_bfe_u32 v38, v12, 19, 4
	v_lshlrev_b32_e32 v39, 24, v34
	s_delay_alu instid0(VALU_DEP_3) | instskip(NEXT) | instid1(VALU_DEP_3)
	v_clz_i32_u32_e32 v36, v35
	v_cmp_eq_u32_e32 vcc_lo, 0, v38
	s_delay_alu instid0(VALU_DEP_2) | instskip(NEXT) | instid1(VALU_DEP_1)
	v_min_u32_e32 v36, 32, v36
	v_subrev_nc_u32_e32 v37, 28, v36
	v_sub_nc_u32_e32 v36, 29, v36
	s_delay_alu instid0(VALU_DEP_1) | instskip(NEXT) | instid1(VALU_DEP_1)
	v_dual_cndmask_b32 v36, v38, v36 :: v_dual_lshlrev_b32 v37, v37, v34
	v_and_b32_e32 v37, 7, v37
	s_delay_alu instid0(VALU_DEP_2) | instskip(NEXT) | instid1(VALU_DEP_2)
	v_lshl_add_u32 v36, v36, 23, 0x3b800000
	v_cndmask_b32_e32 v35, v35, v37, vcc_lo
	v_and_b32_e32 v37, 0x80000000, v39
	s_delay_alu instid0(VALU_DEP_2) | instskip(NEXT) | instid1(VALU_DEP_1)
	v_lshlrev_b32_e32 v35, 20, v35
	v_or3_b32 v35, v37, v36, v35
.LBB6_13807:                            ;   in Loop: Header=BB6_13744 Depth=3
	s_or_b32 exec_lo, exec_lo, s34
	v_and_b32_e32 v37, 0xff, v33
	s_mov_b32 s14, 0
	s_mov_b32 s35, exec_lo
                                        ; implicit-def: $sgpr34
	s_delay_alu instid0(VALU_DEP_1)
	v_cmpx_lt_i16_e32 0x7f, v37
	s_xor_b32 s35, exec_lo, s35
	s_cbranch_execnz .LBB6_14242
; %bb.13808:                            ;   in Loop: Header=BB6_13744 Depth=3
	s_or_saveexec_b32 s35, s35
	v_mov_b32_e32 v36, s34
	s_xor_b32 exec_lo, exec_lo, s35
	s_cbranch_execnz .LBB6_14245
.LBB6_13809:                            ;   in Loop: Header=BB6_13744 Depth=3
	s_or_b32 exec_lo, exec_lo, s35
	s_and_saveexec_b32 s34, s14
	s_cbranch_execz .LBB6_13811
.LBB6_13810:                            ;   in Loop: Header=BB6_13744 Depth=3
	v_bfe_u32 v36, v8, 16, 3
	v_bfe_u32 v39, v8, 19, 4
	v_lshlrev_b32_e32 v48, 24, v33
	s_delay_alu instid0(VALU_DEP_3) | instskip(NEXT) | instid1(VALU_DEP_3)
	v_clz_i32_u32_e32 v37, v36
	v_cmp_eq_u32_e32 vcc_lo, 0, v39
	s_delay_alu instid0(VALU_DEP_2) | instskip(NEXT) | instid1(VALU_DEP_1)
	v_min_u32_e32 v37, 32, v37
	v_subrev_nc_u32_e32 v38, 28, v37
	v_sub_nc_u32_e32 v37, 29, v37
	s_delay_alu instid0(VALU_DEP_2) | instskip(NEXT) | instid1(VALU_DEP_1)
	v_lshlrev_b32_e32 v38, v38, v33
	v_dual_cndmask_b32 v37, v39, v37 :: v_dual_and_b32 v38, 7, v38
	s_delay_alu instid0(VALU_DEP_1) | instskip(NEXT) | instid1(VALU_DEP_2)
	v_lshl_add_u32 v37, v37, 23, 0x3b800000
	v_cndmask_b32_e32 v36, v36, v38, vcc_lo
	v_and_b32_e32 v38, 0x80000000, v48
	s_delay_alu instid0(VALU_DEP_2) | instskip(NEXT) | instid1(VALU_DEP_1)
	v_lshlrev_b32_e32 v36, 20, v36
	v_or3_b32 v36, v38, v37, v36
.LBB6_13811:                            ;   in Loop: Header=BB6_13744 Depth=3
	s_or_b32 exec_lo, exec_lo, s34
	s_delay_alu instid0(VALU_DEP_1) | instskip(SKIP_1) | instid1(VALU_DEP_1)
	v_dual_max_f32 v36, v36, v36 :: v_dual_max_f32 v35, v35, v35
	s_mov_b32 s14, 0
	v_max_f32_e32 v35, v35, v36
	s_branch .LBB6_13813
.LBB6_13812:                            ;   in Loop: Header=BB6_13744 Depth=3
	s_mov_b32 s14, -1
                                        ; implicit-def: $vgpr35
.LBB6_13813:                            ;   in Loop: Header=BB6_13744 Depth=3
	s_delay_alu instid0(SALU_CYCLE_1)
	s_and_b32 vcc_lo, exec_lo, s14
	s_cbranch_vccz .LBB6_13823
; %bb.13814:                            ;   in Loop: Header=BB6_13744 Depth=3
	v_and_b32_e32 v36, 0xff, v34
	s_mov_b32 s14, 0
	s_mov_b32 s35, exec_lo
                                        ; implicit-def: $sgpr34
	s_delay_alu instid0(VALU_DEP_1)
	v_cmpx_lt_i16_e32 0x7f, v36
	s_xor_b32 s35, exec_lo, s35
	s_cbranch_execnz .LBB6_14246
; %bb.13815:                            ;   in Loop: Header=BB6_13744 Depth=3
	s_or_saveexec_b32 s35, s35
	v_mov_b32_e32 v35, s34
	s_xor_b32 exec_lo, exec_lo, s35
	s_cbranch_execnz .LBB6_14249
.LBB6_13816:                            ;   in Loop: Header=BB6_13744 Depth=3
	s_or_b32 exec_lo, exec_lo, s35
	s_and_saveexec_b32 s34, s14
	s_cbranch_execz .LBB6_13818
.LBB6_13817:                            ;   in Loop: Header=BB6_13744 Depth=3
	v_bfe_u32 v35, v12, 16, 3
	v_bfe_u32 v38, v12, 19, 4
	s_delay_alu instid0(VALU_DEP_2) | instskip(NEXT) | instid1(VALU_DEP_2)
	v_clz_i32_u32_e32 v36, v35
	v_cmp_eq_u32_e32 vcc_lo, 0, v38
	s_delay_alu instid0(VALU_DEP_2) | instskip(NEXT) | instid1(VALU_DEP_1)
	v_min_u32_e32 v36, 32, v36
	v_subrev_nc_u32_e32 v37, 28, v36
	v_sub_nc_u32_e32 v36, 29, v36
	s_delay_alu instid0(VALU_DEP_1) | instskip(NEXT) | instid1(VALU_DEP_1)
	v_dual_cndmask_b32 v36, v38, v36 :: v_dual_lshlrev_b32 v37, v37, v34
	v_and_b32_e32 v37, 7, v37
	v_lshlrev_b32_e32 v34, 24, v34
	s_delay_alu instid0(VALU_DEP_3) | instskip(NEXT) | instid1(VALU_DEP_2)
	v_lshl_add_u32 v36, v36, 23, 0x3b800000
	v_dual_cndmask_b32 v35, v35, v37 :: v_dual_and_b32 v34, 0x80000000, v34
	s_delay_alu instid0(VALU_DEP_1) | instskip(NEXT) | instid1(VALU_DEP_1)
	v_lshlrev_b32_e32 v35, 20, v35
	v_or3_b32 v35, v34, v36, v35
.LBB6_13818:                            ;   in Loop: Header=BB6_13744 Depth=3
	s_or_b32 exec_lo, exec_lo, s34
	v_and_b32_e32 v36, 0xff, v33
	s_mov_b32 s14, 0
	s_mov_b32 s35, exec_lo
                                        ; implicit-def: $sgpr34
	s_delay_alu instid0(VALU_DEP_1)
	v_cmpx_lt_i16_e32 0x7f, v36
	s_xor_b32 s35, exec_lo, s35
	s_cbranch_execnz .LBB6_14250
; %bb.13819:                            ;   in Loop: Header=BB6_13744 Depth=3
	s_or_saveexec_b32 s35, s35
	v_mov_b32_e32 v34, s34
	s_xor_b32 exec_lo, exec_lo, s35
	s_cbranch_execnz .LBB6_14253
.LBB6_13820:                            ;   in Loop: Header=BB6_13744 Depth=3
	s_or_b32 exec_lo, exec_lo, s35
	s_and_saveexec_b32 s34, s14
	s_cbranch_execz .LBB6_13822
.LBB6_13821:                            ;   in Loop: Header=BB6_13744 Depth=3
	v_bfe_u32 v34, v8, 16, 3
	v_bfe_u32 v38, v8, 19, 4
	s_delay_alu instid0(VALU_DEP_2) | instskip(NEXT) | instid1(VALU_DEP_2)
	v_clz_i32_u32_e32 v36, v34
	v_cmp_eq_u32_e32 vcc_lo, 0, v38
	s_delay_alu instid0(VALU_DEP_2) | instskip(NEXT) | instid1(VALU_DEP_1)
	v_min_u32_e32 v36, 32, v36
	v_subrev_nc_u32_e32 v37, 28, v36
	v_sub_nc_u32_e32 v36, 29, v36
	s_delay_alu instid0(VALU_DEP_1) | instskip(SKIP_1) | instid1(VALU_DEP_2)
	v_dual_cndmask_b32 v36, v38, v36 :: v_dual_lshlrev_b32 v37, v37, v33
	v_lshlrev_b32_e32 v33, 24, v33
	v_and_b32_e32 v37, 7, v37
	s_delay_alu instid0(VALU_DEP_3) | instskip(NEXT) | instid1(VALU_DEP_3)
	v_lshl_add_u32 v36, v36, 23, 0x3b800000
	v_and_b32_e32 v33, 0x80000000, v33
	s_delay_alu instid0(VALU_DEP_3) | instskip(NEXT) | instid1(VALU_DEP_1)
	v_cndmask_b32_e32 v34, v34, v37, vcc_lo
	v_lshlrev_b32_e32 v34, 20, v34
	s_delay_alu instid0(VALU_DEP_1)
	v_or3_b32 v34, v33, v36, v34
.LBB6_13822:                            ;   in Loop: Header=BB6_13744 Depth=3
	s_or_b32 exec_lo, exec_lo, s34
	s_delay_alu instid0(VALU_DEP_1) | instskip(NEXT) | instid1(VALU_DEP_1)
	v_dual_max_f32 v33, v34, v34 :: v_dual_max_f32 v34, v35, v35
	v_min_f32_e32 v35, v34, v33
.LBB6_13823:                            ;   in Loop: Header=BB6_13744 Depth=3
	s_delay_alu instid0(VALU_DEP_1) | instskip(NEXT) | instid1(VALU_DEP_1)
	v_and_b32_e32 v33, 0x7f800000, v35
	v_cmp_ne_u32_e32 vcc_lo, 0x7f800000, v33
	v_mov_b32_e32 v33, 0x80
	s_and_saveexec_b32 s34, vcc_lo
	s_cbranch_execz .LBB6_13831
; %bb.13824:                            ;   in Loop: Header=BB6_13744 Depth=3
	v_mov_b32_e32 v33, 0
	s_mov_b32 s35, exec_lo
	v_cmpx_ne_u32_e32 0, v35
	s_cbranch_execz .LBB6_13830
; %bb.13825:                            ;   in Loop: Header=BB6_13744 Depth=3
	v_bfe_u32 v33, v35, 23, 8
	v_and_b32_e32 v34, 0x7fffff, v35
	s_delay_alu instid0(VALU_DEP_2) | instskip(SKIP_1) | instid1(VALU_DEP_3)
	v_sub_nc_u32_e32 v36, 0x78, v33
	v_cmp_gt_u32_e32 vcc_lo, 0x79, v33
	v_or_b32_e32 v37, 0x800000, v34
	s_delay_alu instid0(VALU_DEP_3) | instskip(SKIP_2) | instid1(VALU_DEP_3)
	v_cndmask_b32_e32 v36, 0, v36, vcc_lo
	v_cmp_eq_u32_e32 vcc_lo, 0, v33
	v_add_nc_u32_e32 v33, 0xffffff89, v33
	v_cndmask_b32_e64 v36, v36, 0x77, vcc_lo
	v_cndmask_b32_e32 v34, v37, v34, vcc_lo
	s_delay_alu instid0(VALU_DEP_3) | instskip(NEXT) | instid1(VALU_DEP_3)
	v_cndmask_b32_e64 v33, v33, 0xffffff8a, vcc_lo
	v_lshl_add_u32 v37, 0x100000, v36, -1
	s_delay_alu instid0(VALU_DEP_3) | instskip(SKIP_1) | instid1(VALU_DEP_4)
	v_lshrrev_b32_e32 v38, v36, v34
	v_lshlrev_b32_e64 v48, v36, 0x80000
	v_add_nc_u32_e32 v36, v36, v33
	s_delay_alu instid0(VALU_DEP_4) | instskip(NEXT) | instid1(VALU_DEP_4)
	v_and_b32_e32 v34, v37, v34
	v_bfe_u32 v39, v38, 20, 1
	s_delay_alu instid0(VALU_DEP_2) | instskip(NEXT) | instid1(VALU_DEP_2)
	v_cmp_eq_u32_e64 s14, v34, v48
	v_add_nc_u32_e32 v37, -1, v39
	s_delay_alu instid0(VALU_DEP_1) | instskip(SKIP_2) | instid1(VALU_DEP_2)
	v_cndmask_b32_e64 v34, 0, v37, s14
	v_lshrrev_b32_e32 v37, 23, v38
	s_mov_b32 s14, exec_lo
	v_add_nc_u32_e32 v34, v34, v38
	s_delay_alu instid0(VALU_DEP_2) | instskip(NEXT) | instid1(VALU_DEP_2)
	v_xor_b32_e32 v37, 1, v37
	v_and_b32_e32 v33, 0xfffff, v34
	s_delay_alu instid0(VALU_DEP_1) | instskip(NEXT) | instid1(VALU_DEP_3)
	v_add_nc_u32_e32 v34, v33, v38
                                        ; implicit-def: $vgpr33
	v_cmpx_ne_u32_e64 v36, v37
	s_xor_b32 s14, exec_lo, s14
; %bb.13826:                            ;   in Loop: Header=BB6_13744 Depth=3
	s_delay_alu instid0(VALU_DEP_2) | instskip(SKIP_2) | instid1(VALU_DEP_2)
	v_cmp_lt_u32_e32 vcc_lo, 0xffffff, v34
	v_sub_nc_u32_e32 v33, v36, v37
	v_cndmask_b32_e64 v36, 0, 1, vcc_lo
	v_add_co_ci_u32_e32 v33, vcc_lo, 0, v33, vcc_lo
	s_delay_alu instid0(VALU_DEP_2)
	v_lshrrev_b32_e32 v34, v36, v34
; %bb.13827:                            ;   in Loop: Header=BB6_13744 Depth=3
	s_and_not1_saveexec_b32 s14, s14
; %bb.13828:                            ;   in Loop: Header=BB6_13744 Depth=3
	s_delay_alu instid0(VALU_DEP_1)
	v_bfe_u32 v33, v34, 23, 1
; %bb.13829:                            ;   in Loop: Header=BB6_13744 Depth=3
	s_or_b32 exec_lo, exec_lo, s14
	v_lshrrev_b32_e32 v34, 20, v34
	s_delay_alu instid0(VALU_DEP_2) | instskip(SKIP_2) | instid1(VALU_DEP_2)
	v_cmp_gt_i32_e32 vcc_lo, 16, v33
	v_lshrrev_b32_e32 v35, 24, v35
	v_min_i32_e32 v36, 15, v33
	v_dual_cndmask_b32 v34, 7, v34 :: v_dual_and_b32 v35, 0x80, v35
	s_delay_alu instid0(VALU_DEP_1) | instskip(SKIP_1) | instid1(VALU_DEP_2)
	v_or_b32_e32 v33, v33, v34
	v_and_b32_e32 v37, 7, v34
	v_cmp_ne_u32_e32 vcc_lo, 0, v33
	v_lshlrev_b32_e32 v36, 3, v36
	s_delay_alu instid0(VALU_DEP_1) | instskip(NEXT) | instid1(VALU_DEP_1)
	v_or3_b32 v34, v36, v35, v37
	v_cndmask_b32_e32 v33, 0, v34, vcc_lo
.LBB6_13830:                            ;   in Loop: Header=BB6_13744 Depth=3
	s_or_b32 exec_lo, exec_lo, s35
.LBB6_13831:                            ;   in Loop: Header=BB6_13744 Depth=3
	s_delay_alu instid0(SALU_CYCLE_1)
	s_or_b32 exec_lo, exec_lo, s34
	v_lshrrev_b32_e32 v35, 24, v12
	v_lshrrev_b32_e32 v34, 24, v8
	s_and_b32 vcc_lo, exec_lo, s31
	s_cbranch_vccz .LBB6_13841
; %bb.13832:                            ;   in Loop: Header=BB6_13744 Depth=3
	s_mov_b32 s14, 0
	s_mov_b32 s35, exec_lo
                                        ; implicit-def: $sgpr34
	v_cmpx_lt_i16_e32 0x7f, v35
	s_xor_b32 s35, exec_lo, s35
	s_cbranch_execnz .LBB6_14254
; %bb.13833:                            ;   in Loop: Header=BB6_13744 Depth=3
	s_or_saveexec_b32 s35, s35
	v_mov_b32_e32 v36, s34
	s_xor_b32 exec_lo, exec_lo, s35
	s_cbranch_execnz .LBB6_14257
.LBB6_13834:                            ;   in Loop: Header=BB6_13744 Depth=3
	s_or_b32 exec_lo, exec_lo, s35
	s_and_saveexec_b32 s34, s14
	s_cbranch_execz .LBB6_13836
.LBB6_13835:                            ;   in Loop: Header=BB6_13744 Depth=3
	v_bfe_u32 v36, v12, 24, 3
	v_bfe_u32 v39, v12, 27, 4
	s_delay_alu instid0(VALU_DEP_2) | instskip(NEXT) | instid1(VALU_DEP_2)
	v_clz_i32_u32_e32 v37, v36
	v_cmp_eq_u32_e32 vcc_lo, 0, v39
	s_delay_alu instid0(VALU_DEP_2) | instskip(NEXT) | instid1(VALU_DEP_1)
	v_min_u32_e32 v37, 32, v37
	v_subrev_nc_u32_e32 v38, 28, v37
	v_sub_nc_u32_e32 v37, 29, v37
	s_delay_alu instid0(VALU_DEP_1) | instskip(NEXT) | instid1(VALU_DEP_1)
	v_dual_cndmask_b32 v37, v39, v37 :: v_dual_lshlrev_b32 v38, v38, v35
	v_and_b32_e32 v38, 7, v38
	s_delay_alu instid0(VALU_DEP_2) | instskip(NEXT) | instid1(VALU_DEP_2)
	v_lshl_add_u32 v37, v37, 23, 0x3b800000
	v_cndmask_b32_e32 v36, v36, v38, vcc_lo
	v_and_b32_e32 v38, 0x80000000, v12
	s_delay_alu instid0(VALU_DEP_2) | instskip(NEXT) | instid1(VALU_DEP_1)
	v_lshlrev_b32_e32 v36, 20, v36
	v_or3_b32 v36, v38, v37, v36
.LBB6_13836:                            ;   in Loop: Header=BB6_13744 Depth=3
	s_or_b32 exec_lo, exec_lo, s34
	s_mov_b32 s14, 0
	s_mov_b32 s35, exec_lo
                                        ; implicit-def: $sgpr34
	v_cmpx_lt_i16_e32 0x7f, v34
	s_xor_b32 s35, exec_lo, s35
	s_cbranch_execnz .LBB6_14258
; %bb.13837:                            ;   in Loop: Header=BB6_13744 Depth=3
	s_or_saveexec_b32 s35, s35
	v_mov_b32_e32 v37, s34
	s_xor_b32 exec_lo, exec_lo, s35
	s_cbranch_execnz .LBB6_14261
.LBB6_13838:                            ;   in Loop: Header=BB6_13744 Depth=3
	s_or_b32 exec_lo, exec_lo, s35
	s_and_saveexec_b32 s34, s14
	s_cbranch_execz .LBB6_13840
.LBB6_13839:                            ;   in Loop: Header=BB6_13744 Depth=3
	v_bfe_u32 v37, v8, 24, 3
	v_bfe_u32 v48, v8, 27, 4
	s_delay_alu instid0(VALU_DEP_2) | instskip(NEXT) | instid1(VALU_DEP_2)
	v_clz_i32_u32_e32 v38, v37
	v_cmp_eq_u32_e32 vcc_lo, 0, v48
	s_delay_alu instid0(VALU_DEP_2) | instskip(NEXT) | instid1(VALU_DEP_1)
	v_min_u32_e32 v38, 32, v38
	v_subrev_nc_u32_e32 v39, 28, v38
	v_sub_nc_u32_e32 v38, 29, v38
	s_delay_alu instid0(VALU_DEP_2) | instskip(NEXT) | instid1(VALU_DEP_1)
	v_lshlrev_b32_e32 v39, v39, v34
	v_dual_cndmask_b32 v38, v48, v38 :: v_dual_and_b32 v39, 7, v39
	s_delay_alu instid0(VALU_DEP_1) | instskip(NEXT) | instid1(VALU_DEP_2)
	v_lshl_add_u32 v38, v38, 23, 0x3b800000
	v_cndmask_b32_e32 v37, v37, v39, vcc_lo
	v_and_b32_e32 v39, 0x80000000, v8
	s_delay_alu instid0(VALU_DEP_2) | instskip(NEXT) | instid1(VALU_DEP_1)
	v_lshlrev_b32_e32 v37, 20, v37
	v_or3_b32 v37, v39, v38, v37
.LBB6_13840:                            ;   in Loop: Header=BB6_13744 Depth=3
	s_or_b32 exec_lo, exec_lo, s34
	s_delay_alu instid0(VALU_DEP_1) | instskip(SKIP_1) | instid1(VALU_DEP_1)
	v_dual_max_f32 v37, v37, v37 :: v_dual_max_f32 v36, v36, v36
	s_mov_b32 s14, 0
	v_max_f32_e32 v36, v36, v37
	s_branch .LBB6_13842
.LBB6_13841:                            ;   in Loop: Header=BB6_13744 Depth=3
	s_mov_b32 s14, -1
                                        ; implicit-def: $vgpr36
.LBB6_13842:                            ;   in Loop: Header=BB6_13744 Depth=3
	s_delay_alu instid0(SALU_CYCLE_1)
	s_and_b32 vcc_lo, exec_lo, s14
	s_cbranch_vccz .LBB6_13852
; %bb.13843:                            ;   in Loop: Header=BB6_13744 Depth=3
	s_mov_b32 s14, 0
	s_mov_b32 s35, exec_lo
                                        ; implicit-def: $sgpr34
	v_cmpx_lt_i16_e32 0x7f, v35
	s_xor_b32 s35, exec_lo, s35
	s_cbranch_execnz .LBB6_14262
; %bb.13844:                            ;   in Loop: Header=BB6_13744 Depth=3
	s_or_saveexec_b32 s35, s35
	v_mov_b32_e32 v36, s34
	s_xor_b32 exec_lo, exec_lo, s35
	s_cbranch_execnz .LBB6_14265
.LBB6_13845:                            ;   in Loop: Header=BB6_13744 Depth=3
	s_or_b32 exec_lo, exec_lo, s35
	s_and_saveexec_b32 s34, s14
	s_cbranch_execz .LBB6_13847
.LBB6_13846:                            ;   in Loop: Header=BB6_13744 Depth=3
	v_bfe_u32 v36, v12, 24, 3
	s_delay_alu instid0(VALU_DEP_1) | instskip(NEXT) | instid1(VALU_DEP_1)
	v_clz_i32_u32_e32 v37, v36
	v_min_u32_e32 v37, 32, v37
	s_delay_alu instid0(VALU_DEP_1) | instskip(SKIP_1) | instid1(VALU_DEP_2)
	v_subrev_nc_u32_e32 v38, 28, v37
	v_sub_nc_u32_e32 v37, 29, v37
	v_lshlrev_b32_e32 v35, v38, v35
	v_bfe_u32 v38, v12, 27, 4
	v_and_b32_e32 v12, 0x80000000, v12
	s_delay_alu instid0(VALU_DEP_3) | instskip(NEXT) | instid1(VALU_DEP_3)
	v_and_b32_e32 v35, 7, v35
	v_cmp_eq_u32_e32 vcc_lo, 0, v38
	v_cndmask_b32_e32 v37, v38, v37, vcc_lo
	s_delay_alu instid0(VALU_DEP_3) | instskip(NEXT) | instid1(VALU_DEP_2)
	v_cndmask_b32_e32 v35, v36, v35, vcc_lo
	v_lshl_add_u32 v36, v37, 23, 0x3b800000
	s_delay_alu instid0(VALU_DEP_2) | instskip(NEXT) | instid1(VALU_DEP_1)
	v_lshlrev_b32_e32 v35, 20, v35
	v_or3_b32 v36, v12, v36, v35
.LBB6_13847:                            ;   in Loop: Header=BB6_13744 Depth=3
	s_or_b32 exec_lo, exec_lo, s34
	s_mov_b32 s14, 0
	s_mov_b32 s35, exec_lo
                                        ; implicit-def: $sgpr34
	v_cmpx_lt_i16_e32 0x7f, v34
	s_xor_b32 s35, exec_lo, s35
	s_cbranch_execnz .LBB6_14266
; %bb.13848:                            ;   in Loop: Header=BB6_13744 Depth=3
	s_or_saveexec_b32 s35, s35
	v_mov_b32_e32 v12, s34
	s_xor_b32 exec_lo, exec_lo, s35
	s_cbranch_execnz .LBB6_14269
.LBB6_13849:                            ;   in Loop: Header=BB6_13744 Depth=3
	s_or_b32 exec_lo, exec_lo, s35
	s_and_saveexec_b32 s34, s14
	s_cbranch_execz .LBB6_13851
.LBB6_13850:                            ;   in Loop: Header=BB6_13744 Depth=3
	v_bfe_u32 v12, v8, 24, 3
	s_delay_alu instid0(VALU_DEP_1) | instskip(NEXT) | instid1(VALU_DEP_1)
	v_clz_i32_u32_e32 v35, v12
	v_min_u32_e32 v35, 32, v35
	s_delay_alu instid0(VALU_DEP_1) | instskip(SKIP_1) | instid1(VALU_DEP_2)
	v_subrev_nc_u32_e32 v37, 28, v35
	v_sub_nc_u32_e32 v35, 29, v35
	v_lshlrev_b32_e32 v34, v37, v34
	v_bfe_u32 v37, v8, 27, 4
	v_and_b32_e32 v8, 0x80000000, v8
	s_delay_alu instid0(VALU_DEP_2) | instskip(NEXT) | instid1(VALU_DEP_4)
	v_cmp_eq_u32_e32 vcc_lo, 0, v37
	v_dual_cndmask_b32 v35, v37, v35 :: v_dual_and_b32 v34, 7, v34
	s_delay_alu instid0(VALU_DEP_1) | instskip(NEXT) | instid1(VALU_DEP_2)
	v_cndmask_b32_e32 v12, v12, v34, vcc_lo
	v_lshl_add_u32 v34, v35, 23, 0x3b800000
	s_delay_alu instid0(VALU_DEP_2) | instskip(NEXT) | instid1(VALU_DEP_1)
	v_lshlrev_b32_e32 v12, 20, v12
	v_or3_b32 v12, v8, v34, v12
.LBB6_13851:                            ;   in Loop: Header=BB6_13744 Depth=3
	s_or_b32 exec_lo, exec_lo, s34
	s_delay_alu instid0(VALU_DEP_1) | instskip(SKIP_1) | instid1(VALU_DEP_1)
	v_max_f32_e32 v8, v12, v12
	v_max_f32_e32 v12, v36, v36
	v_min_f32_e32 v36, v12, v8
.LBB6_13852:                            ;   in Loop: Header=BB6_13744 Depth=3
	s_delay_alu instid0(VALU_DEP_1) | instskip(NEXT) | instid1(VALU_DEP_1)
	v_and_b32_e32 v8, 0x7f800000, v36
	v_cmp_ne_u32_e32 vcc_lo, 0x7f800000, v8
	v_mov_b32_e32 v8, 0x80
	s_and_saveexec_b32 s34, vcc_lo
	s_cbranch_execz .LBB6_13860
; %bb.13853:                            ;   in Loop: Header=BB6_13744 Depth=3
	v_mov_b32_e32 v8, 0
	s_mov_b32 s35, exec_lo
	v_cmpx_ne_u32_e32 0, v36
	s_cbranch_execz .LBB6_13859
; %bb.13854:                            ;   in Loop: Header=BB6_13744 Depth=3
	v_bfe_u32 v8, v36, 23, 8
	v_and_b32_e32 v12, 0x7fffff, v36
	s_delay_alu instid0(VALU_DEP_2) | instskip(SKIP_1) | instid1(VALU_DEP_3)
	v_sub_nc_u32_e32 v34, 0x78, v8
	v_cmp_gt_u32_e32 vcc_lo, 0x79, v8
	v_or_b32_e32 v35, 0x800000, v12
	s_delay_alu instid0(VALU_DEP_3) | instskip(SKIP_2) | instid1(VALU_DEP_3)
	v_cndmask_b32_e32 v34, 0, v34, vcc_lo
	v_cmp_eq_u32_e32 vcc_lo, 0, v8
	v_add_nc_u32_e32 v8, 0xffffff89, v8
	v_cndmask_b32_e64 v34, v34, 0x77, vcc_lo
	v_cndmask_b32_e32 v12, v35, v12, vcc_lo
	s_delay_alu instid0(VALU_DEP_3) | instskip(NEXT) | instid1(VALU_DEP_3)
	v_cndmask_b32_e64 v8, v8, 0xffffff8a, vcc_lo
	v_lshl_add_u32 v35, 0x100000, v34, -1
	s_delay_alu instid0(VALU_DEP_3) | instskip(SKIP_1) | instid1(VALU_DEP_4)
	v_lshrrev_b32_e32 v37, v34, v12
	v_lshlrev_b32_e64 v39, v34, 0x80000
	v_add_nc_u32_e32 v34, v34, v8
	s_delay_alu instid0(VALU_DEP_4) | instskip(NEXT) | instid1(VALU_DEP_4)
	v_and_b32_e32 v12, v35, v12
	v_bfe_u32 v38, v37, 20, 1
	s_delay_alu instid0(VALU_DEP_2) | instskip(NEXT) | instid1(VALU_DEP_2)
	v_cmp_eq_u32_e64 s14, v12, v39
	v_add_nc_u32_e32 v35, -1, v38
	s_delay_alu instid0(VALU_DEP_1) | instskip(SKIP_2) | instid1(VALU_DEP_2)
	v_cndmask_b32_e64 v12, 0, v35, s14
	v_lshrrev_b32_e32 v35, 23, v37
	s_mov_b32 s14, exec_lo
	v_add_nc_u32_e32 v12, v12, v37
	s_delay_alu instid0(VALU_DEP_2) | instskip(NEXT) | instid1(VALU_DEP_2)
	v_xor_b32_e32 v35, 1, v35
	v_and_b32_e32 v8, 0xfffff, v12
	s_delay_alu instid0(VALU_DEP_1) | instskip(NEXT) | instid1(VALU_DEP_3)
	v_add_nc_u32_e32 v12, v8, v37
                                        ; implicit-def: $vgpr8
	v_cmpx_ne_u32_e64 v34, v35
	s_xor_b32 s14, exec_lo, s14
; %bb.13855:                            ;   in Loop: Header=BB6_13744 Depth=3
	s_delay_alu instid0(VALU_DEP_2) | instskip(SKIP_2) | instid1(VALU_DEP_2)
	v_cmp_lt_u32_e32 vcc_lo, 0xffffff, v12
	v_sub_nc_u32_e32 v8, v34, v35
	v_cndmask_b32_e64 v34, 0, 1, vcc_lo
	v_add_co_ci_u32_e32 v8, vcc_lo, 0, v8, vcc_lo
	s_delay_alu instid0(VALU_DEP_2)
	v_lshrrev_b32_e32 v12, v34, v12
; %bb.13856:                            ;   in Loop: Header=BB6_13744 Depth=3
	s_and_not1_saveexec_b32 s14, s14
; %bb.13857:                            ;   in Loop: Header=BB6_13744 Depth=3
	s_delay_alu instid0(VALU_DEP_1)
	v_bfe_u32 v8, v12, 23, 1
; %bb.13858:                            ;   in Loop: Header=BB6_13744 Depth=3
	s_or_b32 exec_lo, exec_lo, s14
	v_lshrrev_b32_e32 v12, 20, v12
	s_delay_alu instid0(VALU_DEP_2) | instskip(SKIP_2) | instid1(VALU_DEP_4)
	v_cmp_gt_i32_e32 vcc_lo, 16, v8
	v_lshrrev_b32_e32 v34, 24, v36
	v_min_i32_e32 v35, 15, v8
	v_cndmask_b32_e32 v12, 7, v12, vcc_lo
	s_delay_alu instid0(VALU_DEP_3) | instskip(NEXT) | instid1(VALU_DEP_3)
	v_and_b32_e32 v34, 0x80, v34
	v_lshlrev_b32_e32 v35, 3, v35
	s_delay_alu instid0(VALU_DEP_3) | instskip(SKIP_1) | instid1(VALU_DEP_2)
	v_and_b32_e32 v36, 7, v12
	v_or_b32_e32 v8, v8, v12
	v_or3_b32 v12, v35, v34, v36
	s_delay_alu instid0(VALU_DEP_2) | instskip(NEXT) | instid1(VALU_DEP_2)
	v_cmp_ne_u32_e32 vcc_lo, 0, v8
	v_cndmask_b32_e32 v8, 0, v12, vcc_lo
.LBB6_13859:                            ;   in Loop: Header=BB6_13744 Depth=3
	s_or_b32 exec_lo, exec_lo, s35
.LBB6_13860:                            ;   in Loop: Header=BB6_13744 Depth=3
	s_delay_alu instid0(SALU_CYCLE_1) | instskip(NEXT) | instid1(SALU_CYCLE_1)
	s_or_b32 exec_lo, exec_lo, s34
	s_and_b32 vcc_lo, exec_lo, s31
	s_cbranch_vccz .LBB6_13870
; %bb.13861:                            ;   in Loop: Header=BB6_13744 Depth=3
	v_and_b32_e32 v34, 0xff, v13
	s_mov_b32 s14, 0
	s_mov_b32 s35, exec_lo
                                        ; implicit-def: $sgpr34
	s_delay_alu instid0(VALU_DEP_1)
	v_cmpx_lt_i16_e32 0x7f, v34
	s_xor_b32 s35, exec_lo, s35
	s_cbranch_execnz .LBB6_14270
; %bb.13862:                            ;   in Loop: Header=BB6_13744 Depth=3
	s_or_saveexec_b32 s35, s35
	v_mov_b32_e32 v12, s34
	s_xor_b32 exec_lo, exec_lo, s35
	s_cbranch_execnz .LBB6_14273
.LBB6_13863:                            ;   in Loop: Header=BB6_13744 Depth=3
	s_or_b32 exec_lo, exec_lo, s35
	s_and_saveexec_b32 s34, s14
	s_cbranch_execz .LBB6_13865
.LBB6_13864:                            ;   in Loop: Header=BB6_13744 Depth=3
	v_and_b32_e32 v12, 7, v13
	v_bfe_u32 v36, v13, 3, 4
	s_delay_alu instid0(VALU_DEP_2) | instskip(NEXT) | instid1(VALU_DEP_2)
	v_clz_i32_u32_e32 v34, v12
	v_cmp_eq_u32_e32 vcc_lo, 0, v36
	s_delay_alu instid0(VALU_DEP_2) | instskip(NEXT) | instid1(VALU_DEP_1)
	v_min_u32_e32 v34, 32, v34
	v_subrev_nc_u32_e32 v35, 28, v34
	v_sub_nc_u32_e32 v34, 29, v34
	s_delay_alu instid0(VALU_DEP_1) | instskip(NEXT) | instid1(VALU_DEP_1)
	v_dual_cndmask_b32 v34, v36, v34 :: v_dual_lshlrev_b32 v35, v35, v13
	v_and_b32_e32 v35, 7, v35
	v_lshlrev_b32_e32 v37, 24, v13
	s_delay_alu instid0(VALU_DEP_3) | instskip(NEXT) | instid1(VALU_DEP_2)
	v_lshl_add_u32 v34, v34, 23, 0x3b800000
	v_dual_cndmask_b32 v12, v12, v35 :: v_dual_and_b32 v35, 0x80000000, v37
	s_delay_alu instid0(VALU_DEP_1) | instskip(NEXT) | instid1(VALU_DEP_1)
	v_lshlrev_b32_e32 v12, 20, v12
	v_or3_b32 v12, v35, v34, v12
.LBB6_13865:                            ;   in Loop: Header=BB6_13744 Depth=3
	s_or_b32 exec_lo, exec_lo, s34
	v_and_b32_e32 v35, 0xff, v9
	s_mov_b32 s14, 0
	s_mov_b32 s35, exec_lo
                                        ; implicit-def: $sgpr34
	s_delay_alu instid0(VALU_DEP_1)
	v_cmpx_lt_i16_e32 0x7f, v35
	s_xor_b32 s35, exec_lo, s35
	s_cbranch_execnz .LBB6_14274
; %bb.13866:                            ;   in Loop: Header=BB6_13744 Depth=3
	s_or_saveexec_b32 s35, s35
	v_mov_b32_e32 v34, s34
	s_xor_b32 exec_lo, exec_lo, s35
	s_cbranch_execnz .LBB6_14277
.LBB6_13867:                            ;   in Loop: Header=BB6_13744 Depth=3
	s_or_b32 exec_lo, exec_lo, s35
	s_and_saveexec_b32 s34, s14
	s_cbranch_execz .LBB6_13869
.LBB6_13868:                            ;   in Loop: Header=BB6_13744 Depth=3
	v_bfe_u32 v37, v9, 3, 4
	v_lshlrev_b32_e32 v38, 24, v9
	s_delay_alu instid0(VALU_DEP_2) | instskip(SKIP_1) | instid1(VALU_DEP_1)
	v_cmp_eq_u32_e32 vcc_lo, 0, v37
	v_and_b32_e32 v34, 7, v9
	v_clz_i32_u32_e32 v35, v34
	s_delay_alu instid0(VALU_DEP_1) | instskip(NEXT) | instid1(VALU_DEP_1)
	v_min_u32_e32 v35, 32, v35
	v_subrev_nc_u32_e32 v36, 28, v35
	v_sub_nc_u32_e32 v35, 29, v35
	s_delay_alu instid0(VALU_DEP_1) | instskip(NEXT) | instid1(VALU_DEP_1)
	v_dual_cndmask_b32 v35, v37, v35 :: v_dual_lshlrev_b32 v36, v36, v9
	v_and_b32_e32 v36, 7, v36
	s_delay_alu instid0(VALU_DEP_2) | instskip(NEXT) | instid1(VALU_DEP_2)
	v_lshl_add_u32 v35, v35, 23, 0x3b800000
	v_cndmask_b32_e32 v34, v34, v36, vcc_lo
	v_and_b32_e32 v36, 0x80000000, v38
	s_delay_alu instid0(VALU_DEP_2) | instskip(NEXT) | instid1(VALU_DEP_1)
	v_lshlrev_b32_e32 v34, 20, v34
	v_or3_b32 v34, v36, v35, v34
.LBB6_13869:                            ;   in Loop: Header=BB6_13744 Depth=3
	s_or_b32 exec_lo, exec_lo, s34
	s_delay_alu instid0(VALU_DEP_1) | instskip(SKIP_2) | instid1(VALU_DEP_1)
	v_max_f32_e32 v34, v34, v34
	v_max_f32_e32 v12, v12, v12
	s_mov_b32 s14, 0
	v_max_f32_e32 v34, v12, v34
	s_branch .LBB6_13871
.LBB6_13870:                            ;   in Loop: Header=BB6_13744 Depth=3
	s_mov_b32 s14, -1
                                        ; implicit-def: $vgpr34
.LBB6_13871:                            ;   in Loop: Header=BB6_13744 Depth=3
	s_delay_alu instid0(SALU_CYCLE_1)
	s_and_b32 vcc_lo, exec_lo, s14
	s_cbranch_vccz .LBB6_13881
; %bb.13872:                            ;   in Loop: Header=BB6_13744 Depth=3
	v_and_b32_e32 v34, 0xff, v13
	s_mov_b32 s14, 0
	s_mov_b32 s35, exec_lo
                                        ; implicit-def: $sgpr34
	s_delay_alu instid0(VALU_DEP_1)
	v_cmpx_lt_i16_e32 0x7f, v34
	s_xor_b32 s35, exec_lo, s35
	s_cbranch_execnz .LBB6_14278
; %bb.13873:                            ;   in Loop: Header=BB6_13744 Depth=3
	s_or_saveexec_b32 s35, s35
	v_mov_b32_e32 v12, s34
	s_xor_b32 exec_lo, exec_lo, s35
	s_cbranch_execnz .LBB6_14281
.LBB6_13874:                            ;   in Loop: Header=BB6_13744 Depth=3
	s_or_b32 exec_lo, exec_lo, s35
	s_and_saveexec_b32 s34, s14
	s_cbranch_execz .LBB6_13876
.LBB6_13875:                            ;   in Loop: Header=BB6_13744 Depth=3
	v_and_b32_e32 v12, 7, v13
	v_bfe_u32 v36, v13, 3, 4
	s_delay_alu instid0(VALU_DEP_2) | instskip(NEXT) | instid1(VALU_DEP_2)
	v_clz_i32_u32_e32 v34, v12
	v_cmp_eq_u32_e32 vcc_lo, 0, v36
	s_delay_alu instid0(VALU_DEP_2) | instskip(NEXT) | instid1(VALU_DEP_1)
	v_min_u32_e32 v34, 32, v34
	v_subrev_nc_u32_e32 v35, 28, v34
	v_sub_nc_u32_e32 v34, 29, v34
	s_delay_alu instid0(VALU_DEP_1) | instskip(NEXT) | instid1(VALU_DEP_1)
	v_dual_cndmask_b32 v34, v36, v34 :: v_dual_lshlrev_b32 v35, v35, v13
	v_and_b32_e32 v35, 7, v35
	v_lshlrev_b32_e32 v37, 24, v13
	s_delay_alu instid0(VALU_DEP_3) | instskip(NEXT) | instid1(VALU_DEP_2)
	v_lshl_add_u32 v34, v34, 23, 0x3b800000
	v_dual_cndmask_b32 v12, v12, v35 :: v_dual_and_b32 v35, 0x80000000, v37
	s_delay_alu instid0(VALU_DEP_1) | instskip(NEXT) | instid1(VALU_DEP_1)
	v_lshlrev_b32_e32 v12, 20, v12
	v_or3_b32 v12, v35, v34, v12
.LBB6_13876:                            ;   in Loop: Header=BB6_13744 Depth=3
	s_or_b32 exec_lo, exec_lo, s34
	v_and_b32_e32 v35, 0xff, v9
	s_mov_b32 s14, 0
	s_mov_b32 s35, exec_lo
                                        ; implicit-def: $sgpr34
	s_delay_alu instid0(VALU_DEP_1)
	v_cmpx_lt_i16_e32 0x7f, v35
	s_xor_b32 s35, exec_lo, s35
	s_cbranch_execnz .LBB6_14282
; %bb.13877:                            ;   in Loop: Header=BB6_13744 Depth=3
	s_or_saveexec_b32 s35, s35
	v_mov_b32_e32 v34, s34
	s_xor_b32 exec_lo, exec_lo, s35
	s_cbranch_execnz .LBB6_14285
.LBB6_13878:                            ;   in Loop: Header=BB6_13744 Depth=3
	s_or_b32 exec_lo, exec_lo, s35
	s_and_saveexec_b32 s34, s14
	s_cbranch_execz .LBB6_13880
.LBB6_13879:                            ;   in Loop: Header=BB6_13744 Depth=3
	v_bfe_u32 v37, v9, 3, 4
	v_lshlrev_b32_e32 v38, 24, v9
	s_delay_alu instid0(VALU_DEP_2) | instskip(SKIP_1) | instid1(VALU_DEP_1)
	v_cmp_eq_u32_e32 vcc_lo, 0, v37
	v_and_b32_e32 v34, 7, v9
	v_clz_i32_u32_e32 v35, v34
	s_delay_alu instid0(VALU_DEP_1) | instskip(NEXT) | instid1(VALU_DEP_1)
	v_min_u32_e32 v35, 32, v35
	v_subrev_nc_u32_e32 v36, 28, v35
	v_sub_nc_u32_e32 v35, 29, v35
	s_delay_alu instid0(VALU_DEP_1) | instskip(NEXT) | instid1(VALU_DEP_1)
	v_dual_cndmask_b32 v35, v37, v35 :: v_dual_lshlrev_b32 v36, v36, v9
	v_and_b32_e32 v36, 7, v36
	s_delay_alu instid0(VALU_DEP_2) | instskip(NEXT) | instid1(VALU_DEP_2)
	v_lshl_add_u32 v35, v35, 23, 0x3b800000
	v_cndmask_b32_e32 v34, v34, v36, vcc_lo
	v_and_b32_e32 v36, 0x80000000, v38
	s_delay_alu instid0(VALU_DEP_2) | instskip(NEXT) | instid1(VALU_DEP_1)
	v_lshlrev_b32_e32 v34, 20, v34
	v_or3_b32 v34, v36, v35, v34
.LBB6_13880:                            ;   in Loop: Header=BB6_13744 Depth=3
	s_or_b32 exec_lo, exec_lo, s34
	s_delay_alu instid0(VALU_DEP_1) | instskip(SKIP_1) | instid1(VALU_DEP_1)
	v_max_f32_e32 v34, v34, v34
	v_max_f32_e32 v12, v12, v12
	v_min_f32_e32 v34, v12, v34
.LBB6_13881:                            ;   in Loop: Header=BB6_13744 Depth=3
	s_delay_alu instid0(VALU_DEP_1) | instskip(NEXT) | instid1(VALU_DEP_1)
	v_and_b32_e32 v12, 0x7f800000, v34
	v_cmp_ne_u32_e32 vcc_lo, 0x7f800000, v12
	v_mov_b32_e32 v12, 0x80
	s_and_saveexec_b32 s34, vcc_lo
	s_cbranch_execz .LBB6_13889
; %bb.13882:                            ;   in Loop: Header=BB6_13744 Depth=3
	v_mov_b32_e32 v12, 0
	s_mov_b32 s35, exec_lo
	v_cmpx_ne_u32_e32 0, v34
	s_cbranch_execz .LBB6_13888
; %bb.13883:                            ;   in Loop: Header=BB6_13744 Depth=3
	v_bfe_u32 v12, v34, 23, 8
	s_delay_alu instid0(VALU_DEP_1) | instskip(SKIP_1) | instid1(VALU_DEP_2)
	v_sub_nc_u32_e32 v36, 0x78, v12
	v_cmp_gt_u32_e32 vcc_lo, 0x79, v12
	v_dual_cndmask_b32 v36, 0, v36 :: v_dual_and_b32 v35, 0x7fffff, v34
	s_delay_alu instid0(VALU_DEP_1) | instskip(SKIP_2) | instid1(VALU_DEP_4)
	v_or_b32_e32 v37, 0x800000, v35
	v_cmp_eq_u32_e32 vcc_lo, 0, v12
	v_add_nc_u32_e32 v12, 0xffffff89, v12
	v_cndmask_b32_e64 v36, v36, 0x77, vcc_lo
	s_delay_alu instid0(VALU_DEP_4) | instskip(NEXT) | instid1(VALU_DEP_3)
	v_cndmask_b32_e32 v35, v37, v35, vcc_lo
	v_cndmask_b32_e64 v12, v12, 0xffffff8a, vcc_lo
	s_delay_alu instid0(VALU_DEP_3) | instskip(NEXT) | instid1(VALU_DEP_3)
	v_lshl_add_u32 v37, 0x100000, v36, -1
	v_lshrrev_b32_e32 v38, v36, v35
	v_lshlrev_b32_e64 v48, v36, 0x80000
	s_delay_alu instid0(VALU_DEP_4) | instskip(NEXT) | instid1(VALU_DEP_4)
	v_add_nc_u32_e32 v36, v36, v12
	v_and_b32_e32 v35, v37, v35
	s_delay_alu instid0(VALU_DEP_4) | instskip(NEXT) | instid1(VALU_DEP_2)
	v_bfe_u32 v39, v38, 20, 1
	v_cmp_eq_u32_e64 s14, v35, v48
	s_delay_alu instid0(VALU_DEP_2) | instskip(NEXT) | instid1(VALU_DEP_1)
	v_add_nc_u32_e32 v37, -1, v39
	v_cndmask_b32_e64 v35, 0, v37, s14
	v_lshrrev_b32_e32 v37, 23, v38
	s_mov_b32 s14, exec_lo
	s_delay_alu instid0(VALU_DEP_2) | instskip(NEXT) | instid1(VALU_DEP_2)
	v_add_nc_u32_e32 v35, v35, v38
	v_xor_b32_e32 v37, 1, v37
	s_delay_alu instid0(VALU_DEP_2) | instskip(NEXT) | instid1(VALU_DEP_1)
	v_and_b32_e32 v12, 0xfffff, v35
	v_add_nc_u32_e32 v35, v12, v38
                                        ; implicit-def: $vgpr12
	s_delay_alu instid0(VALU_DEP_3)
	v_cmpx_ne_u32_e64 v36, v37
	s_xor_b32 s14, exec_lo, s14
; %bb.13884:                            ;   in Loop: Header=BB6_13744 Depth=3
	s_delay_alu instid0(VALU_DEP_2) | instskip(SKIP_2) | instid1(VALU_DEP_2)
	v_cmp_lt_u32_e32 vcc_lo, 0xffffff, v35
	v_sub_nc_u32_e32 v12, v36, v37
	v_cndmask_b32_e64 v36, 0, 1, vcc_lo
	v_add_co_ci_u32_e32 v12, vcc_lo, 0, v12, vcc_lo
	s_delay_alu instid0(VALU_DEP_2)
	v_lshrrev_b32_e32 v35, v36, v35
; %bb.13885:                            ;   in Loop: Header=BB6_13744 Depth=3
	s_and_not1_saveexec_b32 s14, s14
; %bb.13886:                            ;   in Loop: Header=BB6_13744 Depth=3
	s_delay_alu instid0(VALU_DEP_1)
	v_bfe_u32 v12, v35, 23, 1
; %bb.13887:                            ;   in Loop: Header=BB6_13744 Depth=3
	s_or_b32 exec_lo, exec_lo, s14
	v_lshrrev_b32_e32 v35, 20, v35
	s_delay_alu instid0(VALU_DEP_2) | instskip(SKIP_2) | instid1(VALU_DEP_2)
	v_cmp_gt_i32_e32 vcc_lo, 16, v12
	v_lshrrev_b32_e32 v34, 24, v34
	v_min_i32_e32 v36, 15, v12
	v_dual_cndmask_b32 v35, 7, v35 :: v_dual_and_b32 v34, 0x80, v34
	s_delay_alu instid0(VALU_DEP_2) | instskip(NEXT) | instid1(VALU_DEP_2)
	v_lshlrev_b32_e32 v36, 3, v36
	v_or_b32_e32 v12, v12, v35
	s_delay_alu instid0(VALU_DEP_1) | instskip(SKIP_1) | instid1(VALU_DEP_1)
	v_cmp_ne_u32_e32 vcc_lo, 0, v12
	v_and_b32_e32 v37, 7, v35
	v_or3_b32 v34, v36, v34, v37
	s_delay_alu instid0(VALU_DEP_1)
	v_cndmask_b32_e32 v12, 0, v34, vcc_lo
.LBB6_13888:                            ;   in Loop: Header=BB6_13744 Depth=3
	s_or_b32 exec_lo, exec_lo, s35
.LBB6_13889:                            ;   in Loop: Header=BB6_13744 Depth=3
	s_delay_alu instid0(SALU_CYCLE_1)
	s_or_b32 exec_lo, exec_lo, s34
	v_lshrrev_b16 v35, 8, v13
	v_lshrrev_b16 v34, 8, v9
	s_and_b32 vcc_lo, exec_lo, s31
	s_cbranch_vccz .LBB6_13899
; %bb.13890:                            ;   in Loop: Header=BB6_13744 Depth=3
	s_mov_b32 s14, 0
	s_mov_b32 s35, exec_lo
                                        ; implicit-def: $sgpr34
	v_cmpx_lt_i16_e32 0x7f, v35
	s_xor_b32 s35, exec_lo, s35
	s_cbranch_execnz .LBB6_14286
; %bb.13891:                            ;   in Loop: Header=BB6_13744 Depth=3
	s_or_saveexec_b32 s35, s35
	v_mov_b32_e32 v36, s34
	s_xor_b32 exec_lo, exec_lo, s35
	s_cbranch_execnz .LBB6_14289
.LBB6_13892:                            ;   in Loop: Header=BB6_13744 Depth=3
	s_or_b32 exec_lo, exec_lo, s35
	s_and_saveexec_b32 s34, s14
	s_cbranch_execz .LBB6_13894
.LBB6_13893:                            ;   in Loop: Header=BB6_13744 Depth=3
	v_and_b32_e32 v36, 0xffff, v35
	s_delay_alu instid0(VALU_DEP_1) | instskip(NEXT) | instid1(VALU_DEP_1)
	v_and_b32_e32 v37, 7, v36
	v_clz_i32_u32_e32 v38, v37
	s_delay_alu instid0(VALU_DEP_1) | instskip(NEXT) | instid1(VALU_DEP_1)
	v_min_u32_e32 v38, 32, v38
	v_subrev_nc_u32_e32 v39, 28, v38
	v_sub_nc_u32_e32 v38, 29, v38
	s_delay_alu instid0(VALU_DEP_2) | instskip(SKIP_1) | instid1(VALU_DEP_2)
	v_lshlrev_b32_e32 v39, v39, v36
	v_bfe_u32 v36, v36, 3, 4
	v_and_b32_e32 v39, 7, v39
	s_delay_alu instid0(VALU_DEP_2) | instskip(SKIP_1) | instid1(VALU_DEP_3)
	v_cmp_eq_u32_e32 vcc_lo, 0, v36
	v_cndmask_b32_e32 v36, v36, v38, vcc_lo
	v_dual_cndmask_b32 v37, v37, v39 :: v_dual_lshlrev_b32 v48, 16, v13
	s_delay_alu instid0(VALU_DEP_2) | instskip(NEXT) | instid1(VALU_DEP_2)
	v_lshl_add_u32 v36, v36, 23, 0x3b800000
	v_and_b32_e32 v38, 0x80000000, v48
	s_delay_alu instid0(VALU_DEP_3) | instskip(NEXT) | instid1(VALU_DEP_1)
	v_lshlrev_b32_e32 v37, 20, v37
	v_or3_b32 v36, v38, v36, v37
.LBB6_13894:                            ;   in Loop: Header=BB6_13744 Depth=3
	s_or_b32 exec_lo, exec_lo, s34
	s_mov_b32 s14, 0
	s_mov_b32 s35, exec_lo
                                        ; implicit-def: $sgpr34
	v_cmpx_lt_i16_e32 0x7f, v34
	s_xor_b32 s35, exec_lo, s35
	s_cbranch_execnz .LBB6_14290
; %bb.13895:                            ;   in Loop: Header=BB6_13744 Depth=3
	s_or_saveexec_b32 s35, s35
	v_mov_b32_e32 v37, s34
	s_xor_b32 exec_lo, exec_lo, s35
	s_cbranch_execnz .LBB6_14293
.LBB6_13896:                            ;   in Loop: Header=BB6_13744 Depth=3
	s_or_b32 exec_lo, exec_lo, s35
	s_and_saveexec_b32 s34, s14
	s_cbranch_execz .LBB6_13898
.LBB6_13897:                            ;   in Loop: Header=BB6_13744 Depth=3
	v_and_b32_e32 v37, 0xffff, v34
	v_lshlrev_b32_e32 v49, 16, v9
	s_delay_alu instid0(VALU_DEP_2) | instskip(NEXT) | instid1(VALU_DEP_1)
	v_and_b32_e32 v38, 7, v37
	v_clz_i32_u32_e32 v39, v38
	s_delay_alu instid0(VALU_DEP_1) | instskip(NEXT) | instid1(VALU_DEP_1)
	v_min_u32_e32 v39, 32, v39
	v_subrev_nc_u32_e32 v48, 28, v39
	v_sub_nc_u32_e32 v39, 29, v39
	s_delay_alu instid0(VALU_DEP_2) | instskip(SKIP_1) | instid1(VALU_DEP_2)
	v_lshlrev_b32_e32 v48, v48, v37
	v_bfe_u32 v37, v37, 3, 4
	v_and_b32_e32 v48, 7, v48
	s_delay_alu instid0(VALU_DEP_2) | instskip(NEXT) | instid1(VALU_DEP_2)
	v_cmp_eq_u32_e32 vcc_lo, 0, v37
	v_dual_cndmask_b32 v37, v37, v39 :: v_dual_cndmask_b32 v38, v38, v48
	v_and_b32_e32 v39, 0x80000000, v49
	s_delay_alu instid0(VALU_DEP_2) | instskip(NEXT) | instid1(VALU_DEP_3)
	v_lshl_add_u32 v37, v37, 23, 0x3b800000
	v_lshlrev_b32_e32 v38, 20, v38
	s_delay_alu instid0(VALU_DEP_1)
	v_or3_b32 v37, v39, v37, v38
.LBB6_13898:                            ;   in Loop: Header=BB6_13744 Depth=3
	s_or_b32 exec_lo, exec_lo, s34
	s_delay_alu instid0(VALU_DEP_1) | instskip(SKIP_1) | instid1(VALU_DEP_1)
	v_dual_max_f32 v37, v37, v37 :: v_dual_max_f32 v36, v36, v36
	s_mov_b32 s14, 0
	v_max_f32_e32 v36, v36, v37
	s_branch .LBB6_13900
.LBB6_13899:                            ;   in Loop: Header=BB6_13744 Depth=3
	s_mov_b32 s14, -1
                                        ; implicit-def: $vgpr36
.LBB6_13900:                            ;   in Loop: Header=BB6_13744 Depth=3
	s_delay_alu instid0(SALU_CYCLE_1)
	s_and_b32 vcc_lo, exec_lo, s14
	s_cbranch_vccz .LBB6_13910
; %bb.13901:                            ;   in Loop: Header=BB6_13744 Depth=3
	s_mov_b32 s14, 0
	s_mov_b32 s35, exec_lo
                                        ; implicit-def: $sgpr34
	v_cmpx_lt_i16_e32 0x7f, v35
	s_xor_b32 s35, exec_lo, s35
	s_cbranch_execnz .LBB6_14294
; %bb.13902:                            ;   in Loop: Header=BB6_13744 Depth=3
	s_or_saveexec_b32 s35, s35
	v_mov_b32_e32 v36, s34
	s_xor_b32 exec_lo, exec_lo, s35
	s_cbranch_execnz .LBB6_14297
.LBB6_13903:                            ;   in Loop: Header=BB6_13744 Depth=3
	s_or_b32 exec_lo, exec_lo, s35
	s_and_saveexec_b32 s34, s14
	s_cbranch_execz .LBB6_13905
.LBB6_13904:                            ;   in Loop: Header=BB6_13744 Depth=3
	v_and_b32_e32 v35, 0xffff, v35
	v_lshlrev_b32_e32 v39, 16, v13
	s_delay_alu instid0(VALU_DEP_2) | instskip(NEXT) | instid1(VALU_DEP_1)
	v_and_b32_e32 v36, 7, v35
	v_clz_i32_u32_e32 v37, v36
	s_delay_alu instid0(VALU_DEP_1) | instskip(NEXT) | instid1(VALU_DEP_1)
	v_min_u32_e32 v37, 32, v37
	v_subrev_nc_u32_e32 v38, 28, v37
	v_sub_nc_u32_e32 v37, 29, v37
	s_delay_alu instid0(VALU_DEP_2) | instskip(SKIP_1) | instid1(VALU_DEP_2)
	v_lshlrev_b32_e32 v38, v38, v35
	v_bfe_u32 v35, v35, 3, 4
	v_and_b32_e32 v38, 7, v38
	s_delay_alu instid0(VALU_DEP_2) | instskip(NEXT) | instid1(VALU_DEP_2)
	v_cmp_eq_u32_e32 vcc_lo, 0, v35
	v_dual_cndmask_b32 v35, v35, v37 :: v_dual_cndmask_b32 v36, v36, v38
	v_and_b32_e32 v37, 0x80000000, v39
	s_delay_alu instid0(VALU_DEP_2) | instskip(NEXT) | instid1(VALU_DEP_3)
	v_lshl_add_u32 v35, v35, 23, 0x3b800000
	v_lshlrev_b32_e32 v36, 20, v36
	s_delay_alu instid0(VALU_DEP_1)
	v_or3_b32 v36, v37, v35, v36
.LBB6_13905:                            ;   in Loop: Header=BB6_13744 Depth=3
	s_or_b32 exec_lo, exec_lo, s34
	s_mov_b32 s14, 0
	s_mov_b32 s35, exec_lo
                                        ; implicit-def: $sgpr34
	v_cmpx_lt_i16_e32 0x7f, v34
	s_xor_b32 s35, exec_lo, s35
	s_cbranch_execnz .LBB6_14298
; %bb.13906:                            ;   in Loop: Header=BB6_13744 Depth=3
	s_or_saveexec_b32 s35, s35
	v_mov_b32_e32 v35, s34
	s_xor_b32 exec_lo, exec_lo, s35
	s_cbranch_execnz .LBB6_14301
.LBB6_13907:                            ;   in Loop: Header=BB6_13744 Depth=3
	s_or_b32 exec_lo, exec_lo, s35
	s_and_saveexec_b32 s34, s14
	s_cbranch_execz .LBB6_13909
.LBB6_13908:                            ;   in Loop: Header=BB6_13744 Depth=3
	v_and_b32_e32 v34, 0xffff, v34
	v_lshlrev_b32_e32 v39, 16, v9
	s_delay_alu instid0(VALU_DEP_2) | instskip(NEXT) | instid1(VALU_DEP_1)
	v_and_b32_e32 v35, 7, v34
	v_clz_i32_u32_e32 v37, v35
	s_delay_alu instid0(VALU_DEP_1) | instskip(NEXT) | instid1(VALU_DEP_1)
	v_min_u32_e32 v37, 32, v37
	v_subrev_nc_u32_e32 v38, 28, v37
	v_sub_nc_u32_e32 v37, 29, v37
	s_delay_alu instid0(VALU_DEP_2) | instskip(SKIP_1) | instid1(VALU_DEP_2)
	v_lshlrev_b32_e32 v38, v38, v34
	v_bfe_u32 v34, v34, 3, 4
	v_and_b32_e32 v38, 7, v38
	s_delay_alu instid0(VALU_DEP_2) | instskip(NEXT) | instid1(VALU_DEP_2)
	v_cmp_eq_u32_e32 vcc_lo, 0, v34
	v_dual_cndmask_b32 v34, v34, v37 :: v_dual_cndmask_b32 v35, v35, v38
	v_and_b32_e32 v37, 0x80000000, v39
	s_delay_alu instid0(VALU_DEP_2) | instskip(NEXT) | instid1(VALU_DEP_3)
	v_lshl_add_u32 v34, v34, 23, 0x3b800000
	v_lshlrev_b32_e32 v35, 20, v35
	s_delay_alu instid0(VALU_DEP_1)
	v_or3_b32 v35, v37, v34, v35
.LBB6_13909:                            ;   in Loop: Header=BB6_13744 Depth=3
	s_or_b32 exec_lo, exec_lo, s34
	s_delay_alu instid0(VALU_DEP_1) | instskip(NEXT) | instid1(VALU_DEP_1)
	v_dual_max_f32 v34, v35, v35 :: v_dual_max_f32 v35, v36, v36
	v_min_f32_e32 v36, v35, v34
.LBB6_13910:                            ;   in Loop: Header=BB6_13744 Depth=3
	s_delay_alu instid0(VALU_DEP_1) | instskip(NEXT) | instid1(VALU_DEP_1)
	v_and_b32_e32 v34, 0x7f800000, v36
	v_cmp_ne_u32_e32 vcc_lo, 0x7f800000, v34
	v_mov_b32_e32 v34, 0x80
	s_and_saveexec_b32 s34, vcc_lo
	s_cbranch_execz .LBB6_13918
; %bb.13911:                            ;   in Loop: Header=BB6_13744 Depth=3
	v_mov_b32_e32 v34, 0
	s_mov_b32 s35, exec_lo
	v_cmpx_ne_u32_e32 0, v36
	s_cbranch_execz .LBB6_13917
; %bb.13912:                            ;   in Loop: Header=BB6_13744 Depth=3
	v_bfe_u32 v34, v36, 23, 8
	v_and_b32_e32 v35, 0x7fffff, v36
	s_delay_alu instid0(VALU_DEP_2) | instskip(SKIP_1) | instid1(VALU_DEP_3)
	v_sub_nc_u32_e32 v37, 0x78, v34
	v_cmp_gt_u32_e32 vcc_lo, 0x79, v34
	v_or_b32_e32 v38, 0x800000, v35
	s_delay_alu instid0(VALU_DEP_3) | instskip(SKIP_2) | instid1(VALU_DEP_3)
	v_cndmask_b32_e32 v37, 0, v37, vcc_lo
	v_cmp_eq_u32_e32 vcc_lo, 0, v34
	v_add_nc_u32_e32 v34, 0xffffff89, v34
	v_cndmask_b32_e64 v37, v37, 0x77, vcc_lo
	v_cndmask_b32_e32 v35, v38, v35, vcc_lo
	s_delay_alu instid0(VALU_DEP_3) | instskip(NEXT) | instid1(VALU_DEP_3)
	v_cndmask_b32_e64 v34, v34, 0xffffff8a, vcc_lo
	v_lshl_add_u32 v38, 0x100000, v37, -1
	s_delay_alu instid0(VALU_DEP_3) | instskip(SKIP_1) | instid1(VALU_DEP_4)
	v_lshrrev_b32_e32 v39, v37, v35
	v_lshlrev_b32_e64 v49, v37, 0x80000
	v_add_nc_u32_e32 v37, v37, v34
	s_delay_alu instid0(VALU_DEP_4) | instskip(NEXT) | instid1(VALU_DEP_4)
	v_and_b32_e32 v35, v38, v35
	v_bfe_u32 v48, v39, 20, 1
	s_delay_alu instid0(VALU_DEP_2) | instskip(NEXT) | instid1(VALU_DEP_2)
	v_cmp_eq_u32_e64 s14, v35, v49
	v_add_nc_u32_e32 v38, -1, v48
	s_delay_alu instid0(VALU_DEP_1) | instskip(SKIP_2) | instid1(VALU_DEP_2)
	v_cndmask_b32_e64 v35, 0, v38, s14
	v_lshrrev_b32_e32 v38, 23, v39
	s_mov_b32 s14, exec_lo
	v_add_nc_u32_e32 v35, v35, v39
	s_delay_alu instid0(VALU_DEP_2) | instskip(NEXT) | instid1(VALU_DEP_2)
	v_xor_b32_e32 v38, 1, v38
	v_and_b32_e32 v34, 0xfffff, v35
	s_delay_alu instid0(VALU_DEP_1) | instskip(NEXT) | instid1(VALU_DEP_3)
	v_add_nc_u32_e32 v35, v34, v39
                                        ; implicit-def: $vgpr34
	v_cmpx_ne_u32_e64 v37, v38
	s_xor_b32 s14, exec_lo, s14
; %bb.13913:                            ;   in Loop: Header=BB6_13744 Depth=3
	s_delay_alu instid0(VALU_DEP_2) | instskip(SKIP_2) | instid1(VALU_DEP_2)
	v_cmp_lt_u32_e32 vcc_lo, 0xffffff, v35
	v_sub_nc_u32_e32 v34, v37, v38
	v_cndmask_b32_e64 v37, 0, 1, vcc_lo
	v_add_co_ci_u32_e32 v34, vcc_lo, 0, v34, vcc_lo
	s_delay_alu instid0(VALU_DEP_2)
	v_lshrrev_b32_e32 v35, v37, v35
; %bb.13914:                            ;   in Loop: Header=BB6_13744 Depth=3
	s_and_not1_saveexec_b32 s14, s14
; %bb.13915:                            ;   in Loop: Header=BB6_13744 Depth=3
	s_delay_alu instid0(VALU_DEP_1)
	v_bfe_u32 v34, v35, 23, 1
; %bb.13916:                            ;   in Loop: Header=BB6_13744 Depth=3
	s_or_b32 exec_lo, exec_lo, s14
	v_lshrrev_b32_e32 v35, 20, v35
	s_delay_alu instid0(VALU_DEP_2) | instskip(SKIP_2) | instid1(VALU_DEP_2)
	v_cmp_gt_i32_e32 vcc_lo, 16, v34
	v_lshrrev_b32_e32 v36, 24, v36
	v_min_i32_e32 v37, 15, v34
	v_dual_cndmask_b32 v35, 7, v35 :: v_dual_and_b32 v36, 0x80, v36
	s_delay_alu instid0(VALU_DEP_1) | instskip(SKIP_1) | instid1(VALU_DEP_2)
	v_or_b32_e32 v34, v34, v35
	v_and_b32_e32 v38, 7, v35
	v_cmp_ne_u32_e32 vcc_lo, 0, v34
	v_lshlrev_b32_e32 v37, 3, v37
	s_delay_alu instid0(VALU_DEP_1) | instskip(NEXT) | instid1(VALU_DEP_1)
	v_or3_b32 v35, v37, v36, v38
	v_cndmask_b32_e32 v34, 0, v35, vcc_lo
.LBB6_13917:                            ;   in Loop: Header=BB6_13744 Depth=3
	s_or_b32 exec_lo, exec_lo, s35
.LBB6_13918:                            ;   in Loop: Header=BB6_13744 Depth=3
	s_delay_alu instid0(SALU_CYCLE_1)
	s_or_b32 exec_lo, exec_lo, s34
	v_lshrrev_b32_e32 v36, 16, v13
	v_lshrrev_b32_e32 v35, 16, v9
	s_and_b32 vcc_lo, exec_lo, s31
	s_cbranch_vccz .LBB6_13928
; %bb.13919:                            ;   in Loop: Header=BB6_13744 Depth=3
	s_delay_alu instid0(VALU_DEP_2) | instskip(SKIP_2) | instid1(VALU_DEP_1)
	v_and_b32_e32 v38, 0xff, v36
	s_mov_b32 s14, 0
	s_mov_b32 s35, exec_lo
                                        ; implicit-def: $sgpr34
	v_cmpx_lt_i16_e32 0x7f, v38
	s_xor_b32 s35, exec_lo, s35
	s_cbranch_execnz .LBB6_14302
; %bb.13920:                            ;   in Loop: Header=BB6_13744 Depth=3
	s_or_saveexec_b32 s35, s35
	v_mov_b32_e32 v37, s34
	s_xor_b32 exec_lo, exec_lo, s35
	s_cbranch_execnz .LBB6_14305
.LBB6_13921:                            ;   in Loop: Header=BB6_13744 Depth=3
	s_or_b32 exec_lo, exec_lo, s35
	s_and_saveexec_b32 s34, s14
	s_cbranch_execz .LBB6_13923
.LBB6_13922:                            ;   in Loop: Header=BB6_13744 Depth=3
	v_bfe_u32 v37, v13, 16, 3
	v_bfe_u32 v48, v13, 19, 4
	v_lshlrev_b32_e32 v49, 24, v36
	s_delay_alu instid0(VALU_DEP_3) | instskip(NEXT) | instid1(VALU_DEP_3)
	v_clz_i32_u32_e32 v38, v37
	v_cmp_eq_u32_e32 vcc_lo, 0, v48
	s_delay_alu instid0(VALU_DEP_2) | instskip(NEXT) | instid1(VALU_DEP_1)
	v_min_u32_e32 v38, 32, v38
	v_subrev_nc_u32_e32 v39, 28, v38
	v_sub_nc_u32_e32 v38, 29, v38
	s_delay_alu instid0(VALU_DEP_1) | instskip(NEXT) | instid1(VALU_DEP_1)
	v_dual_cndmask_b32 v38, v48, v38 :: v_dual_lshlrev_b32 v39, v39, v36
	v_and_b32_e32 v39, 7, v39
	s_delay_alu instid0(VALU_DEP_2) | instskip(NEXT) | instid1(VALU_DEP_2)
	v_lshl_add_u32 v38, v38, 23, 0x3b800000
	v_cndmask_b32_e32 v37, v37, v39, vcc_lo
	v_and_b32_e32 v39, 0x80000000, v49
	s_delay_alu instid0(VALU_DEP_2) | instskip(NEXT) | instid1(VALU_DEP_1)
	v_lshlrev_b32_e32 v37, 20, v37
	v_or3_b32 v37, v39, v38, v37
.LBB6_13923:                            ;   in Loop: Header=BB6_13744 Depth=3
	s_or_b32 exec_lo, exec_lo, s34
	v_and_b32_e32 v39, 0xff, v35
	s_mov_b32 s14, 0
	s_mov_b32 s35, exec_lo
                                        ; implicit-def: $sgpr34
	s_delay_alu instid0(VALU_DEP_1)
	v_cmpx_lt_i16_e32 0x7f, v39
	s_xor_b32 s35, exec_lo, s35
	s_cbranch_execnz .LBB6_14306
; %bb.13924:                            ;   in Loop: Header=BB6_13744 Depth=3
	s_or_saveexec_b32 s35, s35
	v_mov_b32_e32 v38, s34
	s_xor_b32 exec_lo, exec_lo, s35
	s_cbranch_execnz .LBB6_14309
.LBB6_13925:                            ;   in Loop: Header=BB6_13744 Depth=3
	s_or_b32 exec_lo, exec_lo, s35
	s_and_saveexec_b32 s34, s14
	s_cbranch_execz .LBB6_13927
.LBB6_13926:                            ;   in Loop: Header=BB6_13744 Depth=3
	v_bfe_u32 v38, v9, 16, 3
	v_bfe_u32 v49, v9, 19, 4
	v_lshlrev_b32_e32 v50, 24, v35
	s_delay_alu instid0(VALU_DEP_3) | instskip(NEXT) | instid1(VALU_DEP_3)
	v_clz_i32_u32_e32 v39, v38
	v_cmp_eq_u32_e32 vcc_lo, 0, v49
	s_delay_alu instid0(VALU_DEP_2) | instskip(NEXT) | instid1(VALU_DEP_1)
	v_min_u32_e32 v39, 32, v39
	v_subrev_nc_u32_e32 v48, 28, v39
	v_sub_nc_u32_e32 v39, 29, v39
	s_delay_alu instid0(VALU_DEP_2) | instskip(NEXT) | instid1(VALU_DEP_1)
	v_lshlrev_b32_e32 v48, v48, v35
	v_dual_cndmask_b32 v39, v49, v39 :: v_dual_and_b32 v48, 7, v48
	s_delay_alu instid0(VALU_DEP_1) | instskip(NEXT) | instid1(VALU_DEP_2)
	v_lshl_add_u32 v39, v39, 23, 0x3b800000
	v_cndmask_b32_e32 v38, v38, v48, vcc_lo
	v_and_b32_e32 v48, 0x80000000, v50
	s_delay_alu instid0(VALU_DEP_2) | instskip(NEXT) | instid1(VALU_DEP_1)
	v_lshlrev_b32_e32 v38, 20, v38
	v_or3_b32 v38, v48, v39, v38
.LBB6_13927:                            ;   in Loop: Header=BB6_13744 Depth=3
	s_or_b32 exec_lo, exec_lo, s34
	s_delay_alu instid0(VALU_DEP_1) | instskip(SKIP_1) | instid1(VALU_DEP_1)
	v_dual_max_f32 v38, v38, v38 :: v_dual_max_f32 v37, v37, v37
	s_mov_b32 s14, 0
	v_max_f32_e32 v37, v37, v38
	s_branch .LBB6_13929
.LBB6_13928:                            ;   in Loop: Header=BB6_13744 Depth=3
	s_mov_b32 s14, -1
                                        ; implicit-def: $vgpr37
.LBB6_13929:                            ;   in Loop: Header=BB6_13744 Depth=3
	s_delay_alu instid0(SALU_CYCLE_1)
	s_and_b32 vcc_lo, exec_lo, s14
	s_cbranch_vccz .LBB6_13939
; %bb.13930:                            ;   in Loop: Header=BB6_13744 Depth=3
	v_and_b32_e32 v38, 0xff, v36
	s_mov_b32 s14, 0
	s_mov_b32 s35, exec_lo
                                        ; implicit-def: $sgpr34
	s_delay_alu instid0(VALU_DEP_1)
	v_cmpx_lt_i16_e32 0x7f, v38
	s_xor_b32 s35, exec_lo, s35
	s_cbranch_execnz .LBB6_14310
; %bb.13931:                            ;   in Loop: Header=BB6_13744 Depth=3
	s_or_saveexec_b32 s35, s35
	v_mov_b32_e32 v37, s34
	s_xor_b32 exec_lo, exec_lo, s35
	s_cbranch_execnz .LBB6_14313
.LBB6_13932:                            ;   in Loop: Header=BB6_13744 Depth=3
	s_or_b32 exec_lo, exec_lo, s35
	s_and_saveexec_b32 s34, s14
	s_cbranch_execz .LBB6_13934
.LBB6_13933:                            ;   in Loop: Header=BB6_13744 Depth=3
	v_bfe_u32 v37, v13, 16, 3
	v_bfe_u32 v48, v13, 19, 4
	s_delay_alu instid0(VALU_DEP_2) | instskip(NEXT) | instid1(VALU_DEP_2)
	v_clz_i32_u32_e32 v38, v37
	v_cmp_eq_u32_e32 vcc_lo, 0, v48
	s_delay_alu instid0(VALU_DEP_2) | instskip(NEXT) | instid1(VALU_DEP_1)
	v_min_u32_e32 v38, 32, v38
	v_subrev_nc_u32_e32 v39, 28, v38
	v_sub_nc_u32_e32 v38, 29, v38
	s_delay_alu instid0(VALU_DEP_1) | instskip(NEXT) | instid1(VALU_DEP_1)
	v_dual_cndmask_b32 v38, v48, v38 :: v_dual_lshlrev_b32 v39, v39, v36
	v_and_b32_e32 v39, 7, v39
	v_lshlrev_b32_e32 v36, 24, v36
	s_delay_alu instid0(VALU_DEP_3) | instskip(NEXT) | instid1(VALU_DEP_2)
	v_lshl_add_u32 v38, v38, 23, 0x3b800000
	v_dual_cndmask_b32 v37, v37, v39 :: v_dual_and_b32 v36, 0x80000000, v36
	s_delay_alu instid0(VALU_DEP_1) | instskip(NEXT) | instid1(VALU_DEP_1)
	v_lshlrev_b32_e32 v37, 20, v37
	v_or3_b32 v37, v36, v38, v37
.LBB6_13934:                            ;   in Loop: Header=BB6_13744 Depth=3
	s_or_b32 exec_lo, exec_lo, s34
	v_and_b32_e32 v38, 0xff, v35
	s_mov_b32 s14, 0
	s_mov_b32 s35, exec_lo
                                        ; implicit-def: $sgpr34
	s_delay_alu instid0(VALU_DEP_1)
	v_cmpx_lt_i16_e32 0x7f, v38
	s_xor_b32 s35, exec_lo, s35
	s_cbranch_execnz .LBB6_14314
; %bb.13935:                            ;   in Loop: Header=BB6_13744 Depth=3
	s_or_saveexec_b32 s35, s35
	v_mov_b32_e32 v36, s34
	s_xor_b32 exec_lo, exec_lo, s35
	s_cbranch_execnz .LBB6_14317
.LBB6_13936:                            ;   in Loop: Header=BB6_13744 Depth=3
	s_or_b32 exec_lo, exec_lo, s35
	s_and_saveexec_b32 s34, s14
	s_cbranch_execz .LBB6_13938
.LBB6_13937:                            ;   in Loop: Header=BB6_13744 Depth=3
	v_bfe_u32 v36, v9, 16, 3
	v_bfe_u32 v48, v9, 19, 4
	s_delay_alu instid0(VALU_DEP_2) | instskip(NEXT) | instid1(VALU_DEP_2)
	v_clz_i32_u32_e32 v38, v36
	v_cmp_eq_u32_e32 vcc_lo, 0, v48
	s_delay_alu instid0(VALU_DEP_2) | instskip(NEXT) | instid1(VALU_DEP_1)
	v_min_u32_e32 v38, 32, v38
	v_subrev_nc_u32_e32 v39, 28, v38
	v_sub_nc_u32_e32 v38, 29, v38
	s_delay_alu instid0(VALU_DEP_1) | instskip(SKIP_1) | instid1(VALU_DEP_2)
	v_dual_cndmask_b32 v38, v48, v38 :: v_dual_lshlrev_b32 v39, v39, v35
	v_lshlrev_b32_e32 v35, 24, v35
	v_and_b32_e32 v39, 7, v39
	s_delay_alu instid0(VALU_DEP_3) | instskip(NEXT) | instid1(VALU_DEP_3)
	v_lshl_add_u32 v38, v38, 23, 0x3b800000
	v_and_b32_e32 v35, 0x80000000, v35
	s_delay_alu instid0(VALU_DEP_3) | instskip(NEXT) | instid1(VALU_DEP_1)
	v_cndmask_b32_e32 v36, v36, v39, vcc_lo
	v_lshlrev_b32_e32 v36, 20, v36
	s_delay_alu instid0(VALU_DEP_1)
	v_or3_b32 v36, v35, v38, v36
.LBB6_13938:                            ;   in Loop: Header=BB6_13744 Depth=3
	s_or_b32 exec_lo, exec_lo, s34
	s_delay_alu instid0(VALU_DEP_1) | instskip(NEXT) | instid1(VALU_DEP_1)
	v_dual_max_f32 v35, v36, v36 :: v_dual_max_f32 v36, v37, v37
	v_min_f32_e32 v37, v36, v35
.LBB6_13939:                            ;   in Loop: Header=BB6_13744 Depth=3
	s_delay_alu instid0(VALU_DEP_1) | instskip(NEXT) | instid1(VALU_DEP_1)
	v_and_b32_e32 v35, 0x7f800000, v37
	v_cmp_ne_u32_e32 vcc_lo, 0x7f800000, v35
	v_mov_b32_e32 v35, 0x80
	s_and_saveexec_b32 s34, vcc_lo
	s_cbranch_execz .LBB6_13947
; %bb.13940:                            ;   in Loop: Header=BB6_13744 Depth=3
	v_mov_b32_e32 v35, 0
	s_mov_b32 s35, exec_lo
	v_cmpx_ne_u32_e32 0, v37
	s_cbranch_execz .LBB6_13946
; %bb.13941:                            ;   in Loop: Header=BB6_13744 Depth=3
	v_bfe_u32 v35, v37, 23, 8
	v_and_b32_e32 v36, 0x7fffff, v37
	s_delay_alu instid0(VALU_DEP_2) | instskip(SKIP_1) | instid1(VALU_DEP_3)
	v_sub_nc_u32_e32 v38, 0x78, v35
	v_cmp_gt_u32_e32 vcc_lo, 0x79, v35
	v_or_b32_e32 v39, 0x800000, v36
	s_delay_alu instid0(VALU_DEP_3) | instskip(SKIP_2) | instid1(VALU_DEP_3)
	v_cndmask_b32_e32 v38, 0, v38, vcc_lo
	v_cmp_eq_u32_e32 vcc_lo, 0, v35
	v_add_nc_u32_e32 v35, 0xffffff89, v35
	v_cndmask_b32_e64 v38, v38, 0x77, vcc_lo
	v_cndmask_b32_e32 v36, v39, v36, vcc_lo
	s_delay_alu instid0(VALU_DEP_3) | instskip(NEXT) | instid1(VALU_DEP_3)
	v_cndmask_b32_e64 v35, v35, 0xffffff8a, vcc_lo
	v_lshl_add_u32 v39, 0x100000, v38, -1
	s_delay_alu instid0(VALU_DEP_3) | instskip(SKIP_1) | instid1(VALU_DEP_4)
	v_lshrrev_b32_e32 v48, v38, v36
	v_lshlrev_b32_e64 v50, v38, 0x80000
	v_add_nc_u32_e32 v38, v38, v35
	s_delay_alu instid0(VALU_DEP_4) | instskip(NEXT) | instid1(VALU_DEP_4)
	v_and_b32_e32 v36, v39, v36
	v_bfe_u32 v49, v48, 20, 1
	s_delay_alu instid0(VALU_DEP_2) | instskip(NEXT) | instid1(VALU_DEP_2)
	v_cmp_eq_u32_e64 s14, v36, v50
	v_add_nc_u32_e32 v39, -1, v49
	s_delay_alu instid0(VALU_DEP_1) | instskip(SKIP_2) | instid1(VALU_DEP_2)
	v_cndmask_b32_e64 v36, 0, v39, s14
	v_lshrrev_b32_e32 v39, 23, v48
	s_mov_b32 s14, exec_lo
	v_add_nc_u32_e32 v36, v36, v48
	s_delay_alu instid0(VALU_DEP_2) | instskip(NEXT) | instid1(VALU_DEP_2)
	v_xor_b32_e32 v39, 1, v39
	v_and_b32_e32 v35, 0xfffff, v36
	s_delay_alu instid0(VALU_DEP_1) | instskip(NEXT) | instid1(VALU_DEP_3)
	v_add_nc_u32_e32 v36, v35, v48
                                        ; implicit-def: $vgpr35
	v_cmpx_ne_u32_e64 v38, v39
	s_xor_b32 s14, exec_lo, s14
; %bb.13942:                            ;   in Loop: Header=BB6_13744 Depth=3
	s_delay_alu instid0(VALU_DEP_2) | instskip(SKIP_2) | instid1(VALU_DEP_2)
	v_cmp_lt_u32_e32 vcc_lo, 0xffffff, v36
	v_sub_nc_u32_e32 v35, v38, v39
	v_cndmask_b32_e64 v38, 0, 1, vcc_lo
	v_add_co_ci_u32_e32 v35, vcc_lo, 0, v35, vcc_lo
	s_delay_alu instid0(VALU_DEP_2)
	v_lshrrev_b32_e32 v36, v38, v36
; %bb.13943:                            ;   in Loop: Header=BB6_13744 Depth=3
	s_and_not1_saveexec_b32 s14, s14
; %bb.13944:                            ;   in Loop: Header=BB6_13744 Depth=3
	s_delay_alu instid0(VALU_DEP_1)
	v_bfe_u32 v35, v36, 23, 1
; %bb.13945:                            ;   in Loop: Header=BB6_13744 Depth=3
	s_or_b32 exec_lo, exec_lo, s14
	v_lshrrev_b32_e32 v36, 20, v36
	s_delay_alu instid0(VALU_DEP_2) | instskip(SKIP_2) | instid1(VALU_DEP_2)
	v_cmp_gt_i32_e32 vcc_lo, 16, v35
	v_lshrrev_b32_e32 v37, 24, v37
	v_min_i32_e32 v38, 15, v35
	v_dual_cndmask_b32 v36, 7, v36 :: v_dual_and_b32 v37, 0x80, v37
	s_delay_alu instid0(VALU_DEP_1) | instskip(SKIP_1) | instid1(VALU_DEP_2)
	v_or_b32_e32 v35, v35, v36
	v_and_b32_e32 v39, 7, v36
	v_cmp_ne_u32_e32 vcc_lo, 0, v35
	v_lshlrev_b32_e32 v38, 3, v38
	s_delay_alu instid0(VALU_DEP_1) | instskip(NEXT) | instid1(VALU_DEP_1)
	v_and_b32_e32 v38, 0xf8, v38
	v_or3_b32 v36, v38, v37, v39
	s_delay_alu instid0(VALU_DEP_1)
	v_cndmask_b32_e32 v35, 0, v36, vcc_lo
.LBB6_13946:                            ;   in Loop: Header=BB6_13744 Depth=3
	s_or_b32 exec_lo, exec_lo, s35
.LBB6_13947:                            ;   in Loop: Header=BB6_13744 Depth=3
	s_delay_alu instid0(SALU_CYCLE_1)
	s_or_b32 exec_lo, exec_lo, s34
	v_lshrrev_b32_e32 v37, 24, v13
	v_lshrrev_b32_e32 v36, 24, v9
	s_and_b32 vcc_lo, exec_lo, s31
	s_cbranch_vccz .LBB6_13957
; %bb.13948:                            ;   in Loop: Header=BB6_13744 Depth=3
	s_mov_b32 s14, 0
	s_mov_b32 s35, exec_lo
                                        ; implicit-def: $sgpr34
	v_cmpx_lt_i16_e32 0x7f, v37
	s_xor_b32 s35, exec_lo, s35
	s_cbranch_execnz .LBB6_14318
; %bb.13949:                            ;   in Loop: Header=BB6_13744 Depth=3
	s_or_saveexec_b32 s35, s35
	v_mov_b32_e32 v38, s34
	s_xor_b32 exec_lo, exec_lo, s35
	s_cbranch_execnz .LBB6_14321
.LBB6_13950:                            ;   in Loop: Header=BB6_13744 Depth=3
	s_or_b32 exec_lo, exec_lo, s35
	s_and_saveexec_b32 s34, s14
	s_cbranch_execz .LBB6_13952
.LBB6_13951:                            ;   in Loop: Header=BB6_13744 Depth=3
	v_bfe_u32 v38, v13, 24, 3
	v_bfe_u32 v49, v13, 27, 4
	s_delay_alu instid0(VALU_DEP_2) | instskip(NEXT) | instid1(VALU_DEP_2)
	v_clz_i32_u32_e32 v39, v38
	v_cmp_eq_u32_e32 vcc_lo, 0, v49
	s_delay_alu instid0(VALU_DEP_2) | instskip(NEXT) | instid1(VALU_DEP_1)
	v_min_u32_e32 v39, 32, v39
	v_subrev_nc_u32_e32 v48, 28, v39
	v_sub_nc_u32_e32 v39, 29, v39
	s_delay_alu instid0(VALU_DEP_1) | instskip(NEXT) | instid1(VALU_DEP_1)
	v_dual_cndmask_b32 v39, v49, v39 :: v_dual_lshlrev_b32 v48, v48, v37
	v_and_b32_e32 v48, 7, v48
	s_delay_alu instid0(VALU_DEP_2) | instskip(NEXT) | instid1(VALU_DEP_2)
	v_lshl_add_u32 v39, v39, 23, 0x3b800000
	v_cndmask_b32_e32 v38, v38, v48, vcc_lo
	v_and_b32_e32 v48, 0x80000000, v13
	s_delay_alu instid0(VALU_DEP_2) | instskip(NEXT) | instid1(VALU_DEP_1)
	v_lshlrev_b32_e32 v38, 20, v38
	v_or3_b32 v38, v48, v39, v38
.LBB6_13952:                            ;   in Loop: Header=BB6_13744 Depth=3
	s_or_b32 exec_lo, exec_lo, s34
	s_mov_b32 s14, 0
	s_mov_b32 s35, exec_lo
                                        ; implicit-def: $sgpr34
	v_cmpx_lt_i16_e32 0x7f, v36
	s_xor_b32 s35, exec_lo, s35
	s_cbranch_execnz .LBB6_14322
; %bb.13953:                            ;   in Loop: Header=BB6_13744 Depth=3
	s_or_saveexec_b32 s35, s35
	v_mov_b32_e32 v39, s34
	s_xor_b32 exec_lo, exec_lo, s35
	s_cbranch_execnz .LBB6_14325
.LBB6_13954:                            ;   in Loop: Header=BB6_13744 Depth=3
	s_or_b32 exec_lo, exec_lo, s35
	s_and_saveexec_b32 s34, s14
	s_cbranch_execz .LBB6_13956
.LBB6_13955:                            ;   in Loop: Header=BB6_13744 Depth=3
	v_bfe_u32 v39, v9, 24, 3
	v_bfe_u32 v50, v9, 27, 4
	s_delay_alu instid0(VALU_DEP_2) | instskip(NEXT) | instid1(VALU_DEP_2)
	v_clz_i32_u32_e32 v48, v39
	v_cmp_eq_u32_e32 vcc_lo, 0, v50
	s_delay_alu instid0(VALU_DEP_2) | instskip(NEXT) | instid1(VALU_DEP_1)
	v_min_u32_e32 v48, 32, v48
	v_subrev_nc_u32_e32 v49, 28, v48
	v_sub_nc_u32_e32 v48, 29, v48
	s_delay_alu instid0(VALU_DEP_2) | instskip(NEXT) | instid1(VALU_DEP_1)
	v_lshlrev_b32_e32 v49, v49, v36
	v_dual_cndmask_b32 v48, v50, v48 :: v_dual_and_b32 v49, 7, v49
	s_delay_alu instid0(VALU_DEP_1) | instskip(NEXT) | instid1(VALU_DEP_2)
	v_lshl_add_u32 v48, v48, 23, 0x3b800000
	v_cndmask_b32_e32 v39, v39, v49, vcc_lo
	v_and_b32_e32 v49, 0x80000000, v9
	s_delay_alu instid0(VALU_DEP_2) | instskip(NEXT) | instid1(VALU_DEP_1)
	v_lshlrev_b32_e32 v39, 20, v39
	v_or3_b32 v39, v49, v48, v39
.LBB6_13956:                            ;   in Loop: Header=BB6_13744 Depth=3
	s_or_b32 exec_lo, exec_lo, s34
	s_delay_alu instid0(VALU_DEP_1) | instskip(SKIP_1) | instid1(VALU_DEP_1)
	v_dual_max_f32 v39, v39, v39 :: v_dual_max_f32 v38, v38, v38
	s_mov_b32 s14, 0
	v_max_f32_e32 v38, v38, v39
	s_branch .LBB6_13958
.LBB6_13957:                            ;   in Loop: Header=BB6_13744 Depth=3
	s_mov_b32 s14, -1
                                        ; implicit-def: $vgpr38
.LBB6_13958:                            ;   in Loop: Header=BB6_13744 Depth=3
	s_delay_alu instid0(SALU_CYCLE_1)
	s_and_b32 vcc_lo, exec_lo, s14
	s_cbranch_vccz .LBB6_13968
; %bb.13959:                            ;   in Loop: Header=BB6_13744 Depth=3
	s_mov_b32 s14, 0
	s_mov_b32 s35, exec_lo
                                        ; implicit-def: $sgpr34
	v_cmpx_lt_i16_e32 0x7f, v37
	s_xor_b32 s35, exec_lo, s35
	s_cbranch_execnz .LBB6_14326
; %bb.13960:                            ;   in Loop: Header=BB6_13744 Depth=3
	s_or_saveexec_b32 s35, s35
	v_mov_b32_e32 v38, s34
	s_xor_b32 exec_lo, exec_lo, s35
	s_cbranch_execnz .LBB6_14329
.LBB6_13961:                            ;   in Loop: Header=BB6_13744 Depth=3
	s_or_b32 exec_lo, exec_lo, s35
	s_and_saveexec_b32 s34, s14
	s_cbranch_execz .LBB6_13963
.LBB6_13962:                            ;   in Loop: Header=BB6_13744 Depth=3
	v_bfe_u32 v38, v13, 24, 3
	s_delay_alu instid0(VALU_DEP_1) | instskip(NEXT) | instid1(VALU_DEP_1)
	v_clz_i32_u32_e32 v39, v38
	v_min_u32_e32 v39, 32, v39
	s_delay_alu instid0(VALU_DEP_1) | instskip(SKIP_1) | instid1(VALU_DEP_2)
	v_subrev_nc_u32_e32 v48, 28, v39
	v_sub_nc_u32_e32 v39, 29, v39
	v_lshlrev_b32_e32 v37, v48, v37
	v_bfe_u32 v48, v13, 27, 4
	v_and_b32_e32 v13, 0x80000000, v13
	s_delay_alu instid0(VALU_DEP_3) | instskip(NEXT) | instid1(VALU_DEP_3)
	v_and_b32_e32 v37, 7, v37
	v_cmp_eq_u32_e32 vcc_lo, 0, v48
	v_cndmask_b32_e32 v39, v48, v39, vcc_lo
	s_delay_alu instid0(VALU_DEP_3) | instskip(NEXT) | instid1(VALU_DEP_2)
	v_cndmask_b32_e32 v37, v38, v37, vcc_lo
	v_lshl_add_u32 v38, v39, 23, 0x3b800000
	s_delay_alu instid0(VALU_DEP_2) | instskip(NEXT) | instid1(VALU_DEP_1)
	v_lshlrev_b32_e32 v37, 20, v37
	v_or3_b32 v38, v13, v38, v37
.LBB6_13963:                            ;   in Loop: Header=BB6_13744 Depth=3
	s_or_b32 exec_lo, exec_lo, s34
	s_mov_b32 s14, 0
	s_mov_b32 s35, exec_lo
                                        ; implicit-def: $sgpr34
	v_cmpx_lt_i16_e32 0x7f, v36
	s_xor_b32 s35, exec_lo, s35
	s_cbranch_execnz .LBB6_14330
; %bb.13964:                            ;   in Loop: Header=BB6_13744 Depth=3
	s_or_saveexec_b32 s35, s35
	v_mov_b32_e32 v13, s34
	s_xor_b32 exec_lo, exec_lo, s35
	s_cbranch_execnz .LBB6_14333
.LBB6_13965:                            ;   in Loop: Header=BB6_13744 Depth=3
	s_or_b32 exec_lo, exec_lo, s35
	s_and_saveexec_b32 s34, s14
	s_cbranch_execz .LBB6_13967
.LBB6_13966:                            ;   in Loop: Header=BB6_13744 Depth=3
	v_bfe_u32 v13, v9, 24, 3
	s_delay_alu instid0(VALU_DEP_1) | instskip(NEXT) | instid1(VALU_DEP_1)
	v_clz_i32_u32_e32 v37, v13
	v_min_u32_e32 v37, 32, v37
	s_delay_alu instid0(VALU_DEP_1) | instskip(SKIP_1) | instid1(VALU_DEP_2)
	v_subrev_nc_u32_e32 v39, 28, v37
	v_sub_nc_u32_e32 v37, 29, v37
	v_lshlrev_b32_e32 v36, v39, v36
	v_bfe_u32 v39, v9, 27, 4
	v_and_b32_e32 v9, 0x80000000, v9
	s_delay_alu instid0(VALU_DEP_2) | instskip(NEXT) | instid1(VALU_DEP_4)
	v_cmp_eq_u32_e32 vcc_lo, 0, v39
	v_dual_cndmask_b32 v37, v39, v37 :: v_dual_and_b32 v36, 7, v36
	s_delay_alu instid0(VALU_DEP_1) | instskip(NEXT) | instid1(VALU_DEP_2)
	v_cndmask_b32_e32 v13, v13, v36, vcc_lo
	v_lshl_add_u32 v36, v37, 23, 0x3b800000
	s_delay_alu instid0(VALU_DEP_2) | instskip(NEXT) | instid1(VALU_DEP_1)
	v_lshlrev_b32_e32 v13, 20, v13
	v_or3_b32 v13, v9, v36, v13
.LBB6_13967:                            ;   in Loop: Header=BB6_13744 Depth=3
	s_or_b32 exec_lo, exec_lo, s34
	s_delay_alu instid0(VALU_DEP_1) | instskip(SKIP_1) | instid1(VALU_DEP_1)
	v_max_f32_e32 v9, v13, v13
	v_max_f32_e32 v13, v38, v38
	v_min_f32_e32 v38, v13, v9
.LBB6_13968:                            ;   in Loop: Header=BB6_13744 Depth=3
	s_delay_alu instid0(VALU_DEP_1) | instskip(NEXT) | instid1(VALU_DEP_1)
	v_and_b32_e32 v9, 0x7f800000, v38
	v_cmp_ne_u32_e32 vcc_lo, 0x7f800000, v9
	v_mov_b32_e32 v9, 0x8000
	s_and_saveexec_b32 s34, vcc_lo
	s_cbranch_execz .LBB6_13976
; %bb.13969:                            ;   in Loop: Header=BB6_13744 Depth=3
	v_mov_b32_e32 v9, 0
	s_mov_b32 s35, exec_lo
	v_cmpx_ne_u32_e32 0, v38
	s_cbranch_execz .LBB6_13975
; %bb.13970:                            ;   in Loop: Header=BB6_13744 Depth=3
	v_bfe_u32 v9, v38, 23, 8
	s_delay_alu instid0(VALU_DEP_1) | instskip(SKIP_1) | instid1(VALU_DEP_2)
	v_sub_nc_u32_e32 v36, 0x78, v9
	v_cmp_gt_u32_e32 vcc_lo, 0x79, v9
	v_dual_cndmask_b32 v36, 0, v36 :: v_dual_and_b32 v13, 0x7fffff, v38
	s_delay_alu instid0(VALU_DEP_1) | instskip(SKIP_2) | instid1(VALU_DEP_4)
	v_or_b32_e32 v37, 0x800000, v13
	v_cmp_eq_u32_e32 vcc_lo, 0, v9
	v_add_nc_u32_e32 v9, 0xffffff89, v9
	v_cndmask_b32_e64 v36, v36, 0x77, vcc_lo
	s_delay_alu instid0(VALU_DEP_4) | instskip(NEXT) | instid1(VALU_DEP_3)
	v_cndmask_b32_e32 v13, v37, v13, vcc_lo
	v_cndmask_b32_e64 v9, v9, 0xffffff8a, vcc_lo
	s_delay_alu instid0(VALU_DEP_3) | instskip(NEXT) | instid1(VALU_DEP_3)
	v_lshl_add_u32 v37, 0x100000, v36, -1
	v_lshrrev_b32_e32 v39, v36, v13
	v_lshlrev_b32_e64 v49, v36, 0x80000
	s_delay_alu instid0(VALU_DEP_4) | instskip(NEXT) | instid1(VALU_DEP_4)
	v_add_nc_u32_e32 v36, v36, v9
	v_and_b32_e32 v13, v37, v13
	s_delay_alu instid0(VALU_DEP_4) | instskip(NEXT) | instid1(VALU_DEP_2)
	v_bfe_u32 v48, v39, 20, 1
	v_cmp_eq_u32_e64 s14, v13, v49
	s_delay_alu instid0(VALU_DEP_2) | instskip(NEXT) | instid1(VALU_DEP_1)
	v_add_nc_u32_e32 v37, -1, v48
	v_cndmask_b32_e64 v13, 0, v37, s14
	v_lshrrev_b32_e32 v37, 23, v39
	s_mov_b32 s14, exec_lo
	s_delay_alu instid0(VALU_DEP_2) | instskip(NEXT) | instid1(VALU_DEP_2)
	v_add_nc_u32_e32 v13, v13, v39
	v_xor_b32_e32 v37, 1, v37
	s_delay_alu instid0(VALU_DEP_2) | instskip(NEXT) | instid1(VALU_DEP_1)
	v_and_b32_e32 v9, 0xfffff, v13
	v_add_nc_u32_e32 v13, v9, v39
                                        ; implicit-def: $vgpr9
	s_delay_alu instid0(VALU_DEP_3)
	v_cmpx_ne_u32_e64 v36, v37
	s_xor_b32 s14, exec_lo, s14
; %bb.13971:                            ;   in Loop: Header=BB6_13744 Depth=3
	s_delay_alu instid0(VALU_DEP_2) | instskip(SKIP_2) | instid1(VALU_DEP_2)
	v_cmp_lt_u32_e32 vcc_lo, 0xffffff, v13
	v_sub_nc_u32_e32 v9, v36, v37
	v_cndmask_b32_e64 v36, 0, 1, vcc_lo
	v_add_co_ci_u32_e32 v9, vcc_lo, 0, v9, vcc_lo
	s_delay_alu instid0(VALU_DEP_2)
	v_lshrrev_b32_e32 v13, v36, v13
; %bb.13972:                            ;   in Loop: Header=BB6_13744 Depth=3
	s_and_not1_saveexec_b32 s14, s14
; %bb.13973:                            ;   in Loop: Header=BB6_13744 Depth=3
	s_delay_alu instid0(VALU_DEP_1)
	v_bfe_u32 v9, v13, 23, 1
; %bb.13974:                            ;   in Loop: Header=BB6_13744 Depth=3
	s_or_b32 exec_lo, exec_lo, s14
	v_lshrrev_b32_e32 v13, 20, v13
	s_delay_alu instid0(VALU_DEP_2) | instskip(SKIP_2) | instid1(VALU_DEP_2)
	v_cmp_gt_i32_e32 vcc_lo, 16, v9
	v_min_i32_e32 v36, 15, v9
	v_lshrrev_b32_e32 v37, 24, v38
	v_dual_cndmask_b32 v13, 7, v13 :: v_dual_lshlrev_b32 v36, 3, v36
	s_delay_alu instid0(VALU_DEP_2) | instskip(NEXT) | instid1(VALU_DEP_2)
	v_and_b32_e32 v37, 0x80, v37
	v_or_b32_e32 v9, v9, v13
	v_and_b32_e32 v38, 7, v13
	s_delay_alu instid0(VALU_DEP_2) | instskip(SKIP_1) | instid1(VALU_DEP_1)
	v_cmp_ne_u32_e32 vcc_lo, 0, v9
	v_and_b32_e32 v36, 0xf8, v36
	v_or3_b32 v36, v37, v36, v38
	s_delay_alu instid0(VALU_DEP_1) | instskip(NEXT) | instid1(VALU_DEP_1)
	v_lshlrev_b32_e32 v13, 8, v36
	v_cndmask_b32_e32 v9, 0, v13, vcc_lo
.LBB6_13975:                            ;   in Loop: Header=BB6_13744 Depth=3
	s_or_b32 exec_lo, exec_lo, s35
.LBB6_13976:                            ;   in Loop: Header=BB6_13744 Depth=3
	s_delay_alu instid0(SALU_CYCLE_1) | instskip(NEXT) | instid1(SALU_CYCLE_1)
	s_or_b32 exec_lo, exec_lo, s34
	s_and_b32 vcc_lo, exec_lo, s31
	s_cbranch_vccz .LBB6_13986
; %bb.13977:                            ;   in Loop: Header=BB6_13744 Depth=3
	v_and_b32_e32 v36, 0xff, v14
	s_mov_b32 s14, 0
	s_mov_b32 s35, exec_lo
                                        ; implicit-def: $sgpr34
	s_delay_alu instid0(VALU_DEP_1)
	v_cmpx_lt_i16_e32 0x7f, v36
	s_xor_b32 s35, exec_lo, s35
	s_cbranch_execnz .LBB6_14334
; %bb.13978:                            ;   in Loop: Header=BB6_13744 Depth=3
	s_or_saveexec_b32 s35, s35
	v_mov_b32_e32 v13, s34
	s_xor_b32 exec_lo, exec_lo, s35
	s_cbranch_execnz .LBB6_14337
.LBB6_13979:                            ;   in Loop: Header=BB6_13744 Depth=3
	s_or_b32 exec_lo, exec_lo, s35
	s_and_saveexec_b32 s34, s14
	s_cbranch_execz .LBB6_13981
.LBB6_13980:                            ;   in Loop: Header=BB6_13744 Depth=3
	v_bfe_u32 v38, v14, 3, 4
	v_lshlrev_b32_e32 v39, 24, v14
	s_delay_alu instid0(VALU_DEP_2) | instskip(SKIP_1) | instid1(VALU_DEP_1)
	v_cmp_eq_u32_e32 vcc_lo, 0, v38
	v_and_b32_e32 v13, 7, v14
	v_clz_i32_u32_e32 v36, v13
	s_delay_alu instid0(VALU_DEP_1) | instskip(NEXT) | instid1(VALU_DEP_1)
	v_min_u32_e32 v36, 32, v36
	v_subrev_nc_u32_e32 v37, 28, v36
	v_sub_nc_u32_e32 v36, 29, v36
	s_delay_alu instid0(VALU_DEP_1) | instskip(NEXT) | instid1(VALU_DEP_1)
	v_dual_cndmask_b32 v36, v38, v36 :: v_dual_lshlrev_b32 v37, v37, v14
	v_and_b32_e32 v37, 7, v37
	s_delay_alu instid0(VALU_DEP_2) | instskip(NEXT) | instid1(VALU_DEP_2)
	v_lshl_add_u32 v36, v36, 23, 0x3b800000
	v_cndmask_b32_e32 v13, v13, v37, vcc_lo
	v_and_b32_e32 v37, 0x80000000, v39
	s_delay_alu instid0(VALU_DEP_2) | instskip(NEXT) | instid1(VALU_DEP_1)
	v_lshlrev_b32_e32 v13, 20, v13
	v_or3_b32 v13, v37, v36, v13
.LBB6_13981:                            ;   in Loop: Header=BB6_13744 Depth=3
	s_or_b32 exec_lo, exec_lo, s34
	v_and_b32_e32 v37, 0xff, v10
	s_mov_b32 s14, 0
	s_mov_b32 s35, exec_lo
                                        ; implicit-def: $sgpr34
	s_delay_alu instid0(VALU_DEP_1)
	v_cmpx_lt_i16_e32 0x7f, v37
	s_xor_b32 s35, exec_lo, s35
	s_cbranch_execnz .LBB6_14338
; %bb.13982:                            ;   in Loop: Header=BB6_13744 Depth=3
	s_or_saveexec_b32 s35, s35
	v_mov_b32_e32 v36, s34
	s_xor_b32 exec_lo, exec_lo, s35
	s_cbranch_execnz .LBB6_14341
.LBB6_13983:                            ;   in Loop: Header=BB6_13744 Depth=3
	s_or_b32 exec_lo, exec_lo, s35
	s_and_saveexec_b32 s34, s14
	s_cbranch_execz .LBB6_13985
.LBB6_13984:                            ;   in Loop: Header=BB6_13744 Depth=3
	v_bfe_u32 v39, v10, 3, 4
	v_lshlrev_b32_e32 v48, 24, v10
	s_delay_alu instid0(VALU_DEP_2) | instskip(SKIP_1) | instid1(VALU_DEP_1)
	v_cmp_eq_u32_e32 vcc_lo, 0, v39
	v_and_b32_e32 v36, 7, v10
	v_clz_i32_u32_e32 v37, v36
	s_delay_alu instid0(VALU_DEP_1) | instskip(NEXT) | instid1(VALU_DEP_1)
	v_min_u32_e32 v37, 32, v37
	v_subrev_nc_u32_e32 v38, 28, v37
	v_sub_nc_u32_e32 v37, 29, v37
	s_delay_alu instid0(VALU_DEP_1) | instskip(NEXT) | instid1(VALU_DEP_1)
	v_dual_cndmask_b32 v37, v39, v37 :: v_dual_lshlrev_b32 v38, v38, v10
	v_and_b32_e32 v38, 7, v38
	s_delay_alu instid0(VALU_DEP_2) | instskip(NEXT) | instid1(VALU_DEP_2)
	v_lshl_add_u32 v37, v37, 23, 0x3b800000
	v_cndmask_b32_e32 v36, v36, v38, vcc_lo
	v_and_b32_e32 v38, 0x80000000, v48
	s_delay_alu instid0(VALU_DEP_2) | instskip(NEXT) | instid1(VALU_DEP_1)
	v_lshlrev_b32_e32 v36, 20, v36
	v_or3_b32 v36, v38, v37, v36
.LBB6_13985:                            ;   in Loop: Header=BB6_13744 Depth=3
	s_or_b32 exec_lo, exec_lo, s34
	s_delay_alu instid0(VALU_DEP_1) | instskip(SKIP_1) | instid1(VALU_DEP_1)
	v_dual_max_f32 v36, v36, v36 :: v_dual_max_f32 v13, v13, v13
	s_mov_b32 s14, 0
	v_max_f32_e32 v36, v13, v36
	s_branch .LBB6_13987
.LBB6_13986:                            ;   in Loop: Header=BB6_13744 Depth=3
	s_mov_b32 s14, -1
                                        ; implicit-def: $vgpr36
.LBB6_13987:                            ;   in Loop: Header=BB6_13744 Depth=3
	s_delay_alu instid0(SALU_CYCLE_1)
	s_and_b32 vcc_lo, exec_lo, s14
	s_cbranch_vccz .LBB6_13997
; %bb.13988:                            ;   in Loop: Header=BB6_13744 Depth=3
	v_and_b32_e32 v36, 0xff, v14
	s_mov_b32 s14, 0
	s_mov_b32 s35, exec_lo
                                        ; implicit-def: $sgpr34
	s_delay_alu instid0(VALU_DEP_1)
	v_cmpx_lt_i16_e32 0x7f, v36
	s_xor_b32 s35, exec_lo, s35
	s_cbranch_execnz .LBB6_14342
; %bb.13989:                            ;   in Loop: Header=BB6_13744 Depth=3
	s_or_saveexec_b32 s35, s35
	v_mov_b32_e32 v13, s34
	s_xor_b32 exec_lo, exec_lo, s35
	s_cbranch_execnz .LBB6_14345
.LBB6_13990:                            ;   in Loop: Header=BB6_13744 Depth=3
	s_or_b32 exec_lo, exec_lo, s35
	s_and_saveexec_b32 s34, s14
	s_cbranch_execz .LBB6_13992
.LBB6_13991:                            ;   in Loop: Header=BB6_13744 Depth=3
	v_bfe_u32 v38, v14, 3, 4
	v_lshlrev_b32_e32 v39, 24, v14
	s_delay_alu instid0(VALU_DEP_2) | instskip(SKIP_1) | instid1(VALU_DEP_1)
	v_cmp_eq_u32_e32 vcc_lo, 0, v38
	v_and_b32_e32 v13, 7, v14
	v_clz_i32_u32_e32 v36, v13
	s_delay_alu instid0(VALU_DEP_1) | instskip(NEXT) | instid1(VALU_DEP_1)
	v_min_u32_e32 v36, 32, v36
	v_subrev_nc_u32_e32 v37, 28, v36
	v_sub_nc_u32_e32 v36, 29, v36
	s_delay_alu instid0(VALU_DEP_1) | instskip(NEXT) | instid1(VALU_DEP_1)
	v_dual_cndmask_b32 v36, v38, v36 :: v_dual_lshlrev_b32 v37, v37, v14
	v_and_b32_e32 v37, 7, v37
	s_delay_alu instid0(VALU_DEP_2) | instskip(NEXT) | instid1(VALU_DEP_2)
	v_lshl_add_u32 v36, v36, 23, 0x3b800000
	v_cndmask_b32_e32 v13, v13, v37, vcc_lo
	v_and_b32_e32 v37, 0x80000000, v39
	s_delay_alu instid0(VALU_DEP_2) | instskip(NEXT) | instid1(VALU_DEP_1)
	v_lshlrev_b32_e32 v13, 20, v13
	v_or3_b32 v13, v37, v36, v13
.LBB6_13992:                            ;   in Loop: Header=BB6_13744 Depth=3
	s_or_b32 exec_lo, exec_lo, s34
	v_and_b32_e32 v37, 0xff, v10
	s_mov_b32 s14, 0
	s_mov_b32 s35, exec_lo
                                        ; implicit-def: $sgpr34
	s_delay_alu instid0(VALU_DEP_1)
	v_cmpx_lt_i16_e32 0x7f, v37
	s_xor_b32 s35, exec_lo, s35
	s_cbranch_execnz .LBB6_14346
; %bb.13993:                            ;   in Loop: Header=BB6_13744 Depth=3
	s_or_saveexec_b32 s35, s35
	v_mov_b32_e32 v36, s34
	s_xor_b32 exec_lo, exec_lo, s35
	s_cbranch_execnz .LBB6_14349
.LBB6_13994:                            ;   in Loop: Header=BB6_13744 Depth=3
	s_or_b32 exec_lo, exec_lo, s35
	s_and_saveexec_b32 s34, s14
	s_cbranch_execz .LBB6_13996
.LBB6_13995:                            ;   in Loop: Header=BB6_13744 Depth=3
	v_bfe_u32 v39, v10, 3, 4
	v_lshlrev_b32_e32 v48, 24, v10
	s_delay_alu instid0(VALU_DEP_2) | instskip(SKIP_1) | instid1(VALU_DEP_1)
	v_cmp_eq_u32_e32 vcc_lo, 0, v39
	v_and_b32_e32 v36, 7, v10
	v_clz_i32_u32_e32 v37, v36
	s_delay_alu instid0(VALU_DEP_1) | instskip(NEXT) | instid1(VALU_DEP_1)
	v_min_u32_e32 v37, 32, v37
	v_subrev_nc_u32_e32 v38, 28, v37
	v_sub_nc_u32_e32 v37, 29, v37
	s_delay_alu instid0(VALU_DEP_1) | instskip(NEXT) | instid1(VALU_DEP_1)
	v_dual_cndmask_b32 v37, v39, v37 :: v_dual_lshlrev_b32 v38, v38, v10
	v_and_b32_e32 v38, 7, v38
	s_delay_alu instid0(VALU_DEP_2) | instskip(NEXT) | instid1(VALU_DEP_2)
	v_lshl_add_u32 v37, v37, 23, 0x3b800000
	v_cndmask_b32_e32 v36, v36, v38, vcc_lo
	v_and_b32_e32 v38, 0x80000000, v48
	s_delay_alu instid0(VALU_DEP_2) | instskip(NEXT) | instid1(VALU_DEP_1)
	v_lshlrev_b32_e32 v36, 20, v36
	v_or3_b32 v36, v38, v37, v36
.LBB6_13996:                            ;   in Loop: Header=BB6_13744 Depth=3
	s_or_b32 exec_lo, exec_lo, s34
	s_delay_alu instid0(VALU_DEP_1) | instskip(NEXT) | instid1(VALU_DEP_1)
	v_dual_max_f32 v36, v36, v36 :: v_dual_max_f32 v13, v13, v13
	v_min_f32_e32 v36, v13, v36
.LBB6_13997:                            ;   in Loop: Header=BB6_13744 Depth=3
	s_delay_alu instid0(VALU_DEP_1) | instskip(NEXT) | instid1(VALU_DEP_1)
	v_and_b32_e32 v13, 0x7f800000, v36
	v_cmp_ne_u32_e32 vcc_lo, 0x7f800000, v13
	v_mov_b32_e32 v13, 0x80
	s_and_saveexec_b32 s34, vcc_lo
	s_cbranch_execz .LBB6_14005
; %bb.13998:                            ;   in Loop: Header=BB6_13744 Depth=3
	v_mov_b32_e32 v13, 0
	s_mov_b32 s35, exec_lo
	v_cmpx_ne_u32_e32 0, v36
	s_cbranch_execz .LBB6_14004
; %bb.13999:                            ;   in Loop: Header=BB6_13744 Depth=3
	v_bfe_u32 v13, v36, 23, 8
	s_delay_alu instid0(VALU_DEP_1) | instskip(SKIP_1) | instid1(VALU_DEP_2)
	v_sub_nc_u32_e32 v38, 0x78, v13
	v_cmp_gt_u32_e32 vcc_lo, 0x79, v13
	v_dual_cndmask_b32 v38, 0, v38 :: v_dual_and_b32 v37, 0x7fffff, v36
	s_delay_alu instid0(VALU_DEP_1) | instskip(SKIP_2) | instid1(VALU_DEP_4)
	v_or_b32_e32 v39, 0x800000, v37
	v_cmp_eq_u32_e32 vcc_lo, 0, v13
	v_add_nc_u32_e32 v13, 0xffffff89, v13
	v_cndmask_b32_e64 v38, v38, 0x77, vcc_lo
	s_delay_alu instid0(VALU_DEP_4) | instskip(NEXT) | instid1(VALU_DEP_3)
	v_cndmask_b32_e32 v37, v39, v37, vcc_lo
	v_cndmask_b32_e64 v13, v13, 0xffffff8a, vcc_lo
	s_delay_alu instid0(VALU_DEP_3) | instskip(NEXT) | instid1(VALU_DEP_3)
	v_lshl_add_u32 v39, 0x100000, v38, -1
	v_lshrrev_b32_e32 v48, v38, v37
	v_lshlrev_b32_e64 v50, v38, 0x80000
	s_delay_alu instid0(VALU_DEP_4) | instskip(NEXT) | instid1(VALU_DEP_4)
	v_add_nc_u32_e32 v38, v38, v13
	v_and_b32_e32 v37, v39, v37
	s_delay_alu instid0(VALU_DEP_4) | instskip(NEXT) | instid1(VALU_DEP_2)
	v_bfe_u32 v49, v48, 20, 1
	v_cmp_eq_u32_e64 s14, v37, v50
	s_delay_alu instid0(VALU_DEP_2) | instskip(NEXT) | instid1(VALU_DEP_1)
	v_add_nc_u32_e32 v39, -1, v49
	v_cndmask_b32_e64 v37, 0, v39, s14
	v_lshrrev_b32_e32 v39, 23, v48
	s_mov_b32 s14, exec_lo
	s_delay_alu instid0(VALU_DEP_2) | instskip(NEXT) | instid1(VALU_DEP_2)
	v_add_nc_u32_e32 v37, v37, v48
	v_xor_b32_e32 v39, 1, v39
	s_delay_alu instid0(VALU_DEP_2) | instskip(NEXT) | instid1(VALU_DEP_1)
	v_and_b32_e32 v13, 0xfffff, v37
	v_add_nc_u32_e32 v37, v13, v48
                                        ; implicit-def: $vgpr13
	s_delay_alu instid0(VALU_DEP_3)
	v_cmpx_ne_u32_e64 v38, v39
	s_xor_b32 s14, exec_lo, s14
; %bb.14000:                            ;   in Loop: Header=BB6_13744 Depth=3
	s_delay_alu instid0(VALU_DEP_2) | instskip(SKIP_2) | instid1(VALU_DEP_2)
	v_cmp_lt_u32_e32 vcc_lo, 0xffffff, v37
	v_sub_nc_u32_e32 v13, v38, v39
	v_cndmask_b32_e64 v38, 0, 1, vcc_lo
	v_add_co_ci_u32_e32 v13, vcc_lo, 0, v13, vcc_lo
	s_delay_alu instid0(VALU_DEP_2)
	v_lshrrev_b32_e32 v37, v38, v37
; %bb.14001:                            ;   in Loop: Header=BB6_13744 Depth=3
	s_and_not1_saveexec_b32 s14, s14
; %bb.14002:                            ;   in Loop: Header=BB6_13744 Depth=3
	s_delay_alu instid0(VALU_DEP_1)
	v_bfe_u32 v13, v37, 23, 1
; %bb.14003:                            ;   in Loop: Header=BB6_13744 Depth=3
	s_or_b32 exec_lo, exec_lo, s14
	v_lshrrev_b32_e32 v37, 20, v37
	s_delay_alu instid0(VALU_DEP_2) | instskip(SKIP_2) | instid1(VALU_DEP_2)
	v_cmp_gt_i32_e32 vcc_lo, 16, v13
	v_lshrrev_b32_e32 v36, 24, v36
	v_min_i32_e32 v38, 15, v13
	v_dual_cndmask_b32 v37, 7, v37 :: v_dual_and_b32 v36, 0x80, v36
	s_delay_alu instid0(VALU_DEP_1) | instskip(SKIP_1) | instid1(VALU_DEP_2)
	v_or_b32_e32 v13, v13, v37
	v_and_b32_e32 v39, 7, v37
	v_cmp_ne_u32_e32 vcc_lo, 0, v13
	v_lshlrev_b32_e32 v38, 3, v38
	s_delay_alu instid0(VALU_DEP_1) | instskip(NEXT) | instid1(VALU_DEP_1)
	v_or3_b32 v36, v38, v36, v39
	v_cndmask_b32_e32 v13, 0, v36, vcc_lo
.LBB6_14004:                            ;   in Loop: Header=BB6_13744 Depth=3
	s_or_b32 exec_lo, exec_lo, s35
.LBB6_14005:                            ;   in Loop: Header=BB6_13744 Depth=3
	s_delay_alu instid0(SALU_CYCLE_1)
	s_or_b32 exec_lo, exec_lo, s34
	v_lshrrev_b16 v37, 8, v14
	v_lshrrev_b16 v36, 8, v10
	s_and_b32 vcc_lo, exec_lo, s31
	s_cbranch_vccz .LBB6_14015
; %bb.14006:                            ;   in Loop: Header=BB6_13744 Depth=3
	s_mov_b32 s14, 0
	s_mov_b32 s35, exec_lo
                                        ; implicit-def: $sgpr34
	v_cmpx_lt_i16_e32 0x7f, v37
	s_xor_b32 s35, exec_lo, s35
	s_cbranch_execnz .LBB6_14350
; %bb.14007:                            ;   in Loop: Header=BB6_13744 Depth=3
	s_or_saveexec_b32 s35, s35
	v_mov_b32_e32 v38, s34
	s_xor_b32 exec_lo, exec_lo, s35
	s_cbranch_execnz .LBB6_14353
.LBB6_14008:                            ;   in Loop: Header=BB6_13744 Depth=3
	s_or_b32 exec_lo, exec_lo, s35
	s_and_saveexec_b32 s34, s14
	s_cbranch_execz .LBB6_14010
.LBB6_14009:                            ;   in Loop: Header=BB6_13744 Depth=3
	v_and_b32_e32 v38, 0xffff, v37
	s_delay_alu instid0(VALU_DEP_1) | instskip(NEXT) | instid1(VALU_DEP_1)
	v_and_b32_e32 v39, 7, v38
	v_clz_i32_u32_e32 v48, v39
	s_delay_alu instid0(VALU_DEP_1) | instskip(NEXT) | instid1(VALU_DEP_1)
	v_min_u32_e32 v48, 32, v48
	v_subrev_nc_u32_e32 v49, 28, v48
	v_sub_nc_u32_e32 v48, 29, v48
	s_delay_alu instid0(VALU_DEP_2) | instskip(SKIP_1) | instid1(VALU_DEP_2)
	v_lshlrev_b32_e32 v49, v49, v38
	v_bfe_u32 v38, v38, 3, 4
	v_and_b32_e32 v49, 7, v49
	s_delay_alu instid0(VALU_DEP_2) | instskip(SKIP_1) | instid1(VALU_DEP_3)
	v_cmp_eq_u32_e32 vcc_lo, 0, v38
	v_cndmask_b32_e32 v38, v38, v48, vcc_lo
	v_dual_cndmask_b32 v39, v39, v49 :: v_dual_lshlrev_b32 v50, 16, v14
	s_delay_alu instid0(VALU_DEP_2) | instskip(NEXT) | instid1(VALU_DEP_2)
	v_lshl_add_u32 v38, v38, 23, 0x3b800000
	v_and_b32_e32 v48, 0x80000000, v50
	s_delay_alu instid0(VALU_DEP_3) | instskip(NEXT) | instid1(VALU_DEP_1)
	v_lshlrev_b32_e32 v39, 20, v39
	v_or3_b32 v38, v48, v38, v39
.LBB6_14010:                            ;   in Loop: Header=BB6_13744 Depth=3
	s_or_b32 exec_lo, exec_lo, s34
	s_mov_b32 s14, 0
	s_mov_b32 s35, exec_lo
                                        ; implicit-def: $sgpr34
	v_cmpx_lt_i16_e32 0x7f, v36
	s_xor_b32 s35, exec_lo, s35
	s_cbranch_execnz .LBB6_14354
; %bb.14011:                            ;   in Loop: Header=BB6_13744 Depth=3
	s_or_saveexec_b32 s35, s35
	v_mov_b32_e32 v39, s34
	s_xor_b32 exec_lo, exec_lo, s35
	s_cbranch_execnz .LBB6_14357
.LBB6_14012:                            ;   in Loop: Header=BB6_13744 Depth=3
	s_or_b32 exec_lo, exec_lo, s35
	s_and_saveexec_b32 s34, s14
	s_cbranch_execz .LBB6_14014
.LBB6_14013:                            ;   in Loop: Header=BB6_13744 Depth=3
	v_and_b32_e32 v39, 0xffff, v36
	v_lshlrev_b32_e32 v51, 16, v10
	s_delay_alu instid0(VALU_DEP_2) | instskip(NEXT) | instid1(VALU_DEP_1)
	v_and_b32_e32 v48, 7, v39
	v_clz_i32_u32_e32 v49, v48
	s_delay_alu instid0(VALU_DEP_1) | instskip(NEXT) | instid1(VALU_DEP_1)
	v_min_u32_e32 v49, 32, v49
	v_subrev_nc_u32_e32 v50, 28, v49
	v_sub_nc_u32_e32 v49, 29, v49
	s_delay_alu instid0(VALU_DEP_2) | instskip(SKIP_1) | instid1(VALU_DEP_2)
	v_lshlrev_b32_e32 v50, v50, v39
	v_bfe_u32 v39, v39, 3, 4
	v_and_b32_e32 v50, 7, v50
	s_delay_alu instid0(VALU_DEP_2) | instskip(NEXT) | instid1(VALU_DEP_2)
	v_cmp_eq_u32_e32 vcc_lo, 0, v39
	v_dual_cndmask_b32 v39, v39, v49 :: v_dual_cndmask_b32 v48, v48, v50
	v_and_b32_e32 v49, 0x80000000, v51
	s_delay_alu instid0(VALU_DEP_2) | instskip(NEXT) | instid1(VALU_DEP_3)
	v_lshl_add_u32 v39, v39, 23, 0x3b800000
	v_lshlrev_b32_e32 v48, 20, v48
	s_delay_alu instid0(VALU_DEP_1)
	v_or3_b32 v39, v49, v39, v48
.LBB6_14014:                            ;   in Loop: Header=BB6_13744 Depth=3
	s_or_b32 exec_lo, exec_lo, s34
	s_delay_alu instid0(VALU_DEP_1) | instskip(SKIP_1) | instid1(VALU_DEP_1)
	v_dual_max_f32 v39, v39, v39 :: v_dual_max_f32 v38, v38, v38
	s_mov_b32 s14, 0
	v_max_f32_e32 v38, v38, v39
	s_branch .LBB6_14016
.LBB6_14015:                            ;   in Loop: Header=BB6_13744 Depth=3
	s_mov_b32 s14, -1
                                        ; implicit-def: $vgpr38
.LBB6_14016:                            ;   in Loop: Header=BB6_13744 Depth=3
	s_delay_alu instid0(SALU_CYCLE_1)
	s_and_b32 vcc_lo, exec_lo, s14
	s_cbranch_vccz .LBB6_14026
; %bb.14017:                            ;   in Loop: Header=BB6_13744 Depth=3
	s_mov_b32 s14, 0
	s_mov_b32 s35, exec_lo
                                        ; implicit-def: $sgpr34
	v_cmpx_lt_i16_e32 0x7f, v37
	s_xor_b32 s35, exec_lo, s35
	s_cbranch_execnz .LBB6_14358
; %bb.14018:                            ;   in Loop: Header=BB6_13744 Depth=3
	s_or_saveexec_b32 s35, s35
	v_mov_b32_e32 v38, s34
	s_xor_b32 exec_lo, exec_lo, s35
	s_cbranch_execnz .LBB6_14361
.LBB6_14019:                            ;   in Loop: Header=BB6_13744 Depth=3
	s_or_b32 exec_lo, exec_lo, s35
	s_and_saveexec_b32 s34, s14
	s_cbranch_execz .LBB6_14021
.LBB6_14020:                            ;   in Loop: Header=BB6_13744 Depth=3
	v_and_b32_e32 v37, 0xffff, v37
	v_lshlrev_b32_e32 v49, 16, v14
	s_delay_alu instid0(VALU_DEP_2) | instskip(NEXT) | instid1(VALU_DEP_1)
	v_and_b32_e32 v38, 7, v37
	v_clz_i32_u32_e32 v39, v38
	s_delay_alu instid0(VALU_DEP_1) | instskip(NEXT) | instid1(VALU_DEP_1)
	v_min_u32_e32 v39, 32, v39
	v_subrev_nc_u32_e32 v48, 28, v39
	v_sub_nc_u32_e32 v39, 29, v39
	s_delay_alu instid0(VALU_DEP_2) | instskip(SKIP_1) | instid1(VALU_DEP_2)
	v_lshlrev_b32_e32 v48, v48, v37
	v_bfe_u32 v37, v37, 3, 4
	v_and_b32_e32 v48, 7, v48
	s_delay_alu instid0(VALU_DEP_2) | instskip(NEXT) | instid1(VALU_DEP_2)
	v_cmp_eq_u32_e32 vcc_lo, 0, v37
	v_dual_cndmask_b32 v37, v37, v39 :: v_dual_cndmask_b32 v38, v38, v48
	v_and_b32_e32 v39, 0x80000000, v49
	s_delay_alu instid0(VALU_DEP_2) | instskip(NEXT) | instid1(VALU_DEP_3)
	v_lshl_add_u32 v37, v37, 23, 0x3b800000
	v_lshlrev_b32_e32 v38, 20, v38
	s_delay_alu instid0(VALU_DEP_1)
	v_or3_b32 v38, v39, v37, v38
.LBB6_14021:                            ;   in Loop: Header=BB6_13744 Depth=3
	s_or_b32 exec_lo, exec_lo, s34
	s_mov_b32 s14, 0
	s_mov_b32 s35, exec_lo
                                        ; implicit-def: $sgpr34
	v_cmpx_lt_i16_e32 0x7f, v36
	s_xor_b32 s35, exec_lo, s35
	s_cbranch_execnz .LBB6_14362
; %bb.14022:                            ;   in Loop: Header=BB6_13744 Depth=3
	s_or_saveexec_b32 s35, s35
	v_mov_b32_e32 v37, s34
	s_xor_b32 exec_lo, exec_lo, s35
	s_cbranch_execnz .LBB6_14365
.LBB6_14023:                            ;   in Loop: Header=BB6_13744 Depth=3
	s_or_b32 exec_lo, exec_lo, s35
	s_and_saveexec_b32 s34, s14
	s_cbranch_execz .LBB6_14025
.LBB6_14024:                            ;   in Loop: Header=BB6_13744 Depth=3
	v_and_b32_e32 v36, 0xffff, v36
	v_lshlrev_b32_e32 v49, 16, v10
	s_delay_alu instid0(VALU_DEP_2) | instskip(NEXT) | instid1(VALU_DEP_1)
	v_and_b32_e32 v37, 7, v36
	v_clz_i32_u32_e32 v39, v37
	s_delay_alu instid0(VALU_DEP_1) | instskip(NEXT) | instid1(VALU_DEP_1)
	v_min_u32_e32 v39, 32, v39
	v_subrev_nc_u32_e32 v48, 28, v39
	v_sub_nc_u32_e32 v39, 29, v39
	s_delay_alu instid0(VALU_DEP_2) | instskip(SKIP_1) | instid1(VALU_DEP_2)
	v_lshlrev_b32_e32 v48, v48, v36
	v_bfe_u32 v36, v36, 3, 4
	v_and_b32_e32 v48, 7, v48
	s_delay_alu instid0(VALU_DEP_2) | instskip(NEXT) | instid1(VALU_DEP_2)
	v_cmp_eq_u32_e32 vcc_lo, 0, v36
	v_dual_cndmask_b32 v36, v36, v39 :: v_dual_cndmask_b32 v37, v37, v48
	v_and_b32_e32 v39, 0x80000000, v49
	s_delay_alu instid0(VALU_DEP_2) | instskip(NEXT) | instid1(VALU_DEP_3)
	v_lshl_add_u32 v36, v36, 23, 0x3b800000
	v_lshlrev_b32_e32 v37, 20, v37
	s_delay_alu instid0(VALU_DEP_1)
	v_or3_b32 v37, v39, v36, v37
.LBB6_14025:                            ;   in Loop: Header=BB6_13744 Depth=3
	s_or_b32 exec_lo, exec_lo, s34
	s_delay_alu instid0(VALU_DEP_1) | instskip(NEXT) | instid1(VALU_DEP_1)
	v_dual_max_f32 v36, v37, v37 :: v_dual_max_f32 v37, v38, v38
	v_min_f32_e32 v38, v37, v36
.LBB6_14026:                            ;   in Loop: Header=BB6_13744 Depth=3
	s_delay_alu instid0(VALU_DEP_1) | instskip(NEXT) | instid1(VALU_DEP_1)
	v_and_b32_e32 v36, 0x7f800000, v38
	v_cmp_ne_u32_e32 vcc_lo, 0x7f800000, v36
	v_mov_b32_e32 v36, 0x80
	s_and_saveexec_b32 s34, vcc_lo
	s_cbranch_execz .LBB6_14034
; %bb.14027:                            ;   in Loop: Header=BB6_13744 Depth=3
	v_mov_b32_e32 v36, 0
	s_mov_b32 s35, exec_lo
	v_cmpx_ne_u32_e32 0, v38
	s_cbranch_execz .LBB6_14033
; %bb.14028:                            ;   in Loop: Header=BB6_13744 Depth=3
	v_bfe_u32 v36, v38, 23, 8
	v_and_b32_e32 v37, 0x7fffff, v38
	s_delay_alu instid0(VALU_DEP_2) | instskip(SKIP_1) | instid1(VALU_DEP_3)
	v_sub_nc_u32_e32 v39, 0x78, v36
	v_cmp_gt_u32_e32 vcc_lo, 0x79, v36
	v_or_b32_e32 v48, 0x800000, v37
	s_delay_alu instid0(VALU_DEP_3) | instskip(SKIP_2) | instid1(VALU_DEP_3)
	v_cndmask_b32_e32 v39, 0, v39, vcc_lo
	v_cmp_eq_u32_e32 vcc_lo, 0, v36
	v_add_nc_u32_e32 v36, 0xffffff89, v36
	v_cndmask_b32_e64 v39, v39, 0x77, vcc_lo
	v_cndmask_b32_e32 v37, v48, v37, vcc_lo
	s_delay_alu instid0(VALU_DEP_3) | instskip(NEXT) | instid1(VALU_DEP_3)
	v_cndmask_b32_e64 v36, v36, 0xffffff8a, vcc_lo
	v_lshl_add_u32 v48, 0x100000, v39, -1
	s_delay_alu instid0(VALU_DEP_3) | instskip(SKIP_1) | instid1(VALU_DEP_4)
	v_lshrrev_b32_e32 v49, v39, v37
	v_lshlrev_b32_e64 v51, v39, 0x80000
	v_add_nc_u32_e32 v39, v39, v36
	s_delay_alu instid0(VALU_DEP_4) | instskip(NEXT) | instid1(VALU_DEP_4)
	v_and_b32_e32 v37, v48, v37
	v_bfe_u32 v50, v49, 20, 1
	s_delay_alu instid0(VALU_DEP_2) | instskip(NEXT) | instid1(VALU_DEP_2)
	v_cmp_eq_u32_e64 s14, v37, v51
	v_add_nc_u32_e32 v48, -1, v50
	s_delay_alu instid0(VALU_DEP_1) | instskip(SKIP_2) | instid1(VALU_DEP_2)
	v_cndmask_b32_e64 v37, 0, v48, s14
	v_lshrrev_b32_e32 v48, 23, v49
	s_mov_b32 s14, exec_lo
	v_add_nc_u32_e32 v37, v37, v49
	s_delay_alu instid0(VALU_DEP_2) | instskip(NEXT) | instid1(VALU_DEP_2)
	v_xor_b32_e32 v48, 1, v48
	v_and_b32_e32 v36, 0xfffff, v37
	s_delay_alu instid0(VALU_DEP_1) | instskip(NEXT) | instid1(VALU_DEP_3)
	v_add_nc_u32_e32 v37, v36, v49
                                        ; implicit-def: $vgpr36
	v_cmpx_ne_u32_e64 v39, v48
	s_xor_b32 s14, exec_lo, s14
; %bb.14029:                            ;   in Loop: Header=BB6_13744 Depth=3
	s_delay_alu instid0(VALU_DEP_2) | instskip(SKIP_2) | instid1(VALU_DEP_2)
	v_cmp_lt_u32_e32 vcc_lo, 0xffffff, v37
	v_sub_nc_u32_e32 v36, v39, v48
	v_cndmask_b32_e64 v39, 0, 1, vcc_lo
	v_add_co_ci_u32_e32 v36, vcc_lo, 0, v36, vcc_lo
	s_delay_alu instid0(VALU_DEP_2)
	v_lshrrev_b32_e32 v37, v39, v37
; %bb.14030:                            ;   in Loop: Header=BB6_13744 Depth=3
	s_and_not1_saveexec_b32 s14, s14
; %bb.14031:                            ;   in Loop: Header=BB6_13744 Depth=3
	s_delay_alu instid0(VALU_DEP_1)
	v_bfe_u32 v36, v37, 23, 1
; %bb.14032:                            ;   in Loop: Header=BB6_13744 Depth=3
	s_or_b32 exec_lo, exec_lo, s14
	v_lshrrev_b32_e32 v37, 20, v37
	s_delay_alu instid0(VALU_DEP_2) | instskip(SKIP_2) | instid1(VALU_DEP_2)
	v_cmp_gt_i32_e32 vcc_lo, 16, v36
	v_lshrrev_b32_e32 v38, 24, v38
	v_min_i32_e32 v39, 15, v36
	v_dual_cndmask_b32 v37, 7, v37 :: v_dual_and_b32 v38, 0x80, v38
	s_delay_alu instid0(VALU_DEP_1) | instskip(SKIP_1) | instid1(VALU_DEP_2)
	v_or_b32_e32 v36, v36, v37
	v_and_b32_e32 v48, 7, v37
	v_cmp_ne_u32_e32 vcc_lo, 0, v36
	v_lshlrev_b32_e32 v39, 3, v39
	s_delay_alu instid0(VALU_DEP_1) | instskip(NEXT) | instid1(VALU_DEP_1)
	v_or3_b32 v37, v39, v38, v48
	v_cndmask_b32_e32 v36, 0, v37, vcc_lo
.LBB6_14033:                            ;   in Loop: Header=BB6_13744 Depth=3
	s_or_b32 exec_lo, exec_lo, s35
.LBB6_14034:                            ;   in Loop: Header=BB6_13744 Depth=3
	s_delay_alu instid0(SALU_CYCLE_1)
	s_or_b32 exec_lo, exec_lo, s34
	v_lshrrev_b32_e32 v38, 16, v14
	v_lshrrev_b32_e32 v37, 16, v10
	s_and_b32 vcc_lo, exec_lo, s31
	s_cbranch_vccz .LBB6_14044
; %bb.14035:                            ;   in Loop: Header=BB6_13744 Depth=3
	s_delay_alu instid0(VALU_DEP_2) | instskip(SKIP_2) | instid1(VALU_DEP_1)
	v_and_b32_e32 v48, 0xff, v38
	s_mov_b32 s14, 0
	s_mov_b32 s35, exec_lo
                                        ; implicit-def: $sgpr34
	v_cmpx_lt_i16_e32 0x7f, v48
	s_xor_b32 s35, exec_lo, s35
	s_cbranch_execnz .LBB6_14366
; %bb.14036:                            ;   in Loop: Header=BB6_13744 Depth=3
	s_or_saveexec_b32 s35, s35
	v_mov_b32_e32 v39, s34
	s_xor_b32 exec_lo, exec_lo, s35
	s_cbranch_execnz .LBB6_14369
.LBB6_14037:                            ;   in Loop: Header=BB6_13744 Depth=3
	s_or_b32 exec_lo, exec_lo, s35
	s_and_saveexec_b32 s34, s14
	s_cbranch_execz .LBB6_14039
.LBB6_14038:                            ;   in Loop: Header=BB6_13744 Depth=3
	v_bfe_u32 v39, v14, 16, 3
	v_bfe_u32 v50, v14, 19, 4
	v_lshlrev_b32_e32 v51, 24, v38
	s_delay_alu instid0(VALU_DEP_3) | instskip(NEXT) | instid1(VALU_DEP_3)
	v_clz_i32_u32_e32 v48, v39
	v_cmp_eq_u32_e32 vcc_lo, 0, v50
	s_delay_alu instid0(VALU_DEP_2) | instskip(NEXT) | instid1(VALU_DEP_1)
	v_min_u32_e32 v48, 32, v48
	v_subrev_nc_u32_e32 v49, 28, v48
	v_sub_nc_u32_e32 v48, 29, v48
	s_delay_alu instid0(VALU_DEP_1) | instskip(NEXT) | instid1(VALU_DEP_1)
	v_dual_cndmask_b32 v48, v50, v48 :: v_dual_lshlrev_b32 v49, v49, v38
	v_and_b32_e32 v49, 7, v49
	s_delay_alu instid0(VALU_DEP_2) | instskip(NEXT) | instid1(VALU_DEP_2)
	v_lshl_add_u32 v48, v48, 23, 0x3b800000
	v_cndmask_b32_e32 v39, v39, v49, vcc_lo
	v_and_b32_e32 v49, 0x80000000, v51
	s_delay_alu instid0(VALU_DEP_2) | instskip(NEXT) | instid1(VALU_DEP_1)
	v_lshlrev_b32_e32 v39, 20, v39
	v_or3_b32 v39, v49, v48, v39
.LBB6_14039:                            ;   in Loop: Header=BB6_13744 Depth=3
	s_or_b32 exec_lo, exec_lo, s34
	v_and_b32_e32 v49, 0xff, v37
	s_mov_b32 s14, 0
	s_mov_b32 s35, exec_lo
                                        ; implicit-def: $sgpr34
	s_delay_alu instid0(VALU_DEP_1)
	v_cmpx_lt_i16_e32 0x7f, v49
	s_xor_b32 s35, exec_lo, s35
	s_cbranch_execnz .LBB6_14370
; %bb.14040:                            ;   in Loop: Header=BB6_13744 Depth=3
	s_or_saveexec_b32 s35, s35
	v_mov_b32_e32 v48, s34
	s_xor_b32 exec_lo, exec_lo, s35
	s_cbranch_execnz .LBB6_14373
.LBB6_14041:                            ;   in Loop: Header=BB6_13744 Depth=3
	s_or_b32 exec_lo, exec_lo, s35
	s_and_saveexec_b32 s34, s14
	s_cbranch_execz .LBB6_14043
.LBB6_14042:                            ;   in Loop: Header=BB6_13744 Depth=3
	v_bfe_u32 v48, v10, 16, 3
	v_bfe_u32 v51, v10, 19, 4
	s_delay_alu instid0(VALU_DEP_2) | instskip(NEXT) | instid1(VALU_DEP_2)
	v_clz_i32_u32_e32 v49, v48
	v_cmp_eq_u32_e32 vcc_lo, 0, v51
	s_delay_alu instid0(VALU_DEP_2) | instskip(NEXT) | instid1(VALU_DEP_1)
	v_min_u32_e32 v49, 32, v49
	v_subrev_nc_u32_e32 v50, 28, v49
	v_sub_nc_u32_e32 v49, 29, v49
	s_delay_alu instid0(VALU_DEP_2) | instskip(NEXT) | instid1(VALU_DEP_1)
	v_lshlrev_b32_e32 v50, v50, v37
	v_dual_cndmask_b32 v49, v51, v49 :: v_dual_and_b32 v50, 7, v50
	v_lshlrev_b32_e32 v101, 24, v37
	s_delay_alu instid0(VALU_DEP_2) | instskip(NEXT) | instid1(VALU_DEP_3)
	v_lshl_add_u32 v49, v49, 23, 0x3b800000
	v_cndmask_b32_e32 v48, v48, v50, vcc_lo
	s_delay_alu instid0(VALU_DEP_3) | instskip(NEXT) | instid1(VALU_DEP_2)
	v_and_b32_e32 v50, 0x80000000, v101
	v_lshlrev_b32_e32 v48, 20, v48
	s_delay_alu instid0(VALU_DEP_1)
	v_or3_b32 v48, v50, v49, v48
.LBB6_14043:                            ;   in Loop: Header=BB6_13744 Depth=3
	s_or_b32 exec_lo, exec_lo, s34
	s_delay_alu instid0(VALU_DEP_1) | instskip(SKIP_1) | instid1(VALU_DEP_1)
	v_dual_max_f32 v48, v48, v48 :: v_dual_max_f32 v39, v39, v39
	s_mov_b32 s14, 0
	v_max_f32_e32 v39, v39, v48
	s_branch .LBB6_14045
.LBB6_14044:                            ;   in Loop: Header=BB6_13744 Depth=3
	s_mov_b32 s14, -1
                                        ; implicit-def: $vgpr39
.LBB6_14045:                            ;   in Loop: Header=BB6_13744 Depth=3
	s_delay_alu instid0(SALU_CYCLE_1)
	s_and_b32 vcc_lo, exec_lo, s14
	s_cbranch_vccz .LBB6_14055
; %bb.14046:                            ;   in Loop: Header=BB6_13744 Depth=3
	v_and_b32_e32 v48, 0xff, v38
	s_mov_b32 s14, 0
	s_mov_b32 s35, exec_lo
                                        ; implicit-def: $sgpr34
	s_delay_alu instid0(VALU_DEP_1)
	v_cmpx_lt_i16_e32 0x7f, v48
	s_xor_b32 s35, exec_lo, s35
	s_cbranch_execnz .LBB6_14374
; %bb.14047:                            ;   in Loop: Header=BB6_13744 Depth=3
	s_or_saveexec_b32 s35, s35
	v_mov_b32_e32 v39, s34
	s_xor_b32 exec_lo, exec_lo, s35
	s_cbranch_execnz .LBB6_14377
.LBB6_14048:                            ;   in Loop: Header=BB6_13744 Depth=3
	s_or_b32 exec_lo, exec_lo, s35
	s_and_saveexec_b32 s34, s14
	s_cbranch_execz .LBB6_14050
.LBB6_14049:                            ;   in Loop: Header=BB6_13744 Depth=3
	v_bfe_u32 v39, v14, 16, 3
	v_bfe_u32 v50, v14, 19, 4
	s_delay_alu instid0(VALU_DEP_2) | instskip(NEXT) | instid1(VALU_DEP_2)
	v_clz_i32_u32_e32 v48, v39
	v_cmp_eq_u32_e32 vcc_lo, 0, v50
	s_delay_alu instid0(VALU_DEP_2) | instskip(NEXT) | instid1(VALU_DEP_1)
	v_min_u32_e32 v48, 32, v48
	v_subrev_nc_u32_e32 v49, 28, v48
	v_sub_nc_u32_e32 v48, 29, v48
	s_delay_alu instid0(VALU_DEP_1) | instskip(NEXT) | instid1(VALU_DEP_1)
	v_dual_cndmask_b32 v48, v50, v48 :: v_dual_lshlrev_b32 v49, v49, v38
	v_and_b32_e32 v49, 7, v49
	v_lshlrev_b32_e32 v38, 24, v38
	s_delay_alu instid0(VALU_DEP_3) | instskip(NEXT) | instid1(VALU_DEP_2)
	v_lshl_add_u32 v48, v48, 23, 0x3b800000
	v_dual_cndmask_b32 v39, v39, v49 :: v_dual_and_b32 v38, 0x80000000, v38
	s_delay_alu instid0(VALU_DEP_1) | instskip(NEXT) | instid1(VALU_DEP_1)
	v_lshlrev_b32_e32 v39, 20, v39
	v_or3_b32 v39, v38, v48, v39
.LBB6_14050:                            ;   in Loop: Header=BB6_13744 Depth=3
	s_or_b32 exec_lo, exec_lo, s34
	v_and_b32_e32 v48, 0xff, v37
	s_mov_b32 s14, 0
	s_mov_b32 s35, exec_lo
                                        ; implicit-def: $sgpr34
	s_delay_alu instid0(VALU_DEP_1)
	v_cmpx_lt_i16_e32 0x7f, v48
	s_xor_b32 s35, exec_lo, s35
	s_cbranch_execnz .LBB6_14378
; %bb.14051:                            ;   in Loop: Header=BB6_13744 Depth=3
	s_or_saveexec_b32 s35, s35
	v_mov_b32_e32 v38, s34
	s_xor_b32 exec_lo, exec_lo, s35
	s_cbranch_execnz .LBB6_14381
.LBB6_14052:                            ;   in Loop: Header=BB6_13744 Depth=3
	s_or_b32 exec_lo, exec_lo, s35
	s_and_saveexec_b32 s34, s14
	s_cbranch_execz .LBB6_14054
.LBB6_14053:                            ;   in Loop: Header=BB6_13744 Depth=3
	v_bfe_u32 v38, v10, 16, 3
	v_bfe_u32 v50, v10, 19, 4
	s_delay_alu instid0(VALU_DEP_2) | instskip(NEXT) | instid1(VALU_DEP_2)
	v_clz_i32_u32_e32 v48, v38
	v_cmp_eq_u32_e32 vcc_lo, 0, v50
	s_delay_alu instid0(VALU_DEP_2) | instskip(NEXT) | instid1(VALU_DEP_1)
	v_min_u32_e32 v48, 32, v48
	v_subrev_nc_u32_e32 v49, 28, v48
	v_sub_nc_u32_e32 v48, 29, v48
	s_delay_alu instid0(VALU_DEP_1) | instskip(SKIP_1) | instid1(VALU_DEP_2)
	v_dual_cndmask_b32 v48, v50, v48 :: v_dual_lshlrev_b32 v49, v49, v37
	v_lshlrev_b32_e32 v37, 24, v37
	v_and_b32_e32 v49, 7, v49
	s_delay_alu instid0(VALU_DEP_3) | instskip(NEXT) | instid1(VALU_DEP_3)
	v_lshl_add_u32 v48, v48, 23, 0x3b800000
	v_and_b32_e32 v37, 0x80000000, v37
	s_delay_alu instid0(VALU_DEP_3) | instskip(NEXT) | instid1(VALU_DEP_1)
	v_cndmask_b32_e32 v38, v38, v49, vcc_lo
	v_lshlrev_b32_e32 v38, 20, v38
	s_delay_alu instid0(VALU_DEP_1)
	v_or3_b32 v38, v37, v48, v38
.LBB6_14054:                            ;   in Loop: Header=BB6_13744 Depth=3
	s_or_b32 exec_lo, exec_lo, s34
	s_delay_alu instid0(VALU_DEP_1) | instskip(NEXT) | instid1(VALU_DEP_1)
	v_dual_max_f32 v37, v38, v38 :: v_dual_max_f32 v38, v39, v39
	v_min_f32_e32 v39, v38, v37
.LBB6_14055:                            ;   in Loop: Header=BB6_13744 Depth=3
	s_delay_alu instid0(VALU_DEP_1) | instskip(NEXT) | instid1(VALU_DEP_1)
	v_and_b32_e32 v37, 0x7f800000, v39
	v_cmp_ne_u32_e32 vcc_lo, 0x7f800000, v37
	v_mov_b32_e32 v37, 0x80
	s_and_saveexec_b32 s34, vcc_lo
	s_cbranch_execz .LBB6_14063
; %bb.14056:                            ;   in Loop: Header=BB6_13744 Depth=3
	v_mov_b32_e32 v37, 0
	s_mov_b32 s35, exec_lo
	v_cmpx_ne_u32_e32 0, v39
	s_cbranch_execz .LBB6_14062
; %bb.14057:                            ;   in Loop: Header=BB6_13744 Depth=3
	v_bfe_u32 v37, v39, 23, 8
	v_and_b32_e32 v38, 0x7fffff, v39
	s_delay_alu instid0(VALU_DEP_2) | instskip(SKIP_1) | instid1(VALU_DEP_3)
	v_sub_nc_u32_e32 v48, 0x78, v37
	v_cmp_gt_u32_e32 vcc_lo, 0x79, v37
	v_or_b32_e32 v49, 0x800000, v38
	s_delay_alu instid0(VALU_DEP_3) | instskip(SKIP_2) | instid1(VALU_DEP_3)
	v_cndmask_b32_e32 v48, 0, v48, vcc_lo
	v_cmp_eq_u32_e32 vcc_lo, 0, v37
	v_add_nc_u32_e32 v37, 0xffffff89, v37
	v_cndmask_b32_e64 v48, v48, 0x77, vcc_lo
	v_cndmask_b32_e32 v38, v49, v38, vcc_lo
	s_delay_alu instid0(VALU_DEP_3) | instskip(NEXT) | instid1(VALU_DEP_3)
	v_cndmask_b32_e64 v37, v37, 0xffffff8a, vcc_lo
	v_lshl_add_u32 v49, 0x100000, v48, -1
	s_delay_alu instid0(VALU_DEP_3) | instskip(SKIP_1) | instid1(VALU_DEP_4)
	v_lshrrev_b32_e32 v50, v48, v38
	v_lshlrev_b32_e64 v101, v48, 0x80000
	v_add_nc_u32_e32 v48, v48, v37
	s_delay_alu instid0(VALU_DEP_4) | instskip(NEXT) | instid1(VALU_DEP_4)
	v_and_b32_e32 v38, v49, v38
	v_bfe_u32 v51, v50, 20, 1
	s_delay_alu instid0(VALU_DEP_2) | instskip(NEXT) | instid1(VALU_DEP_2)
	v_cmp_eq_u32_e64 s14, v38, v101
	v_add_nc_u32_e32 v49, -1, v51
	s_delay_alu instid0(VALU_DEP_1) | instskip(SKIP_2) | instid1(VALU_DEP_2)
	v_cndmask_b32_e64 v38, 0, v49, s14
	v_lshrrev_b32_e32 v49, 23, v50
	s_mov_b32 s14, exec_lo
	v_add_nc_u32_e32 v38, v38, v50
	s_delay_alu instid0(VALU_DEP_2) | instskip(NEXT) | instid1(VALU_DEP_2)
	v_xor_b32_e32 v49, 1, v49
	v_and_b32_e32 v37, 0xfffff, v38
	s_delay_alu instid0(VALU_DEP_1) | instskip(NEXT) | instid1(VALU_DEP_3)
	v_add_nc_u32_e32 v38, v37, v50
                                        ; implicit-def: $vgpr37
	v_cmpx_ne_u32_e64 v48, v49
	s_xor_b32 s14, exec_lo, s14
; %bb.14058:                            ;   in Loop: Header=BB6_13744 Depth=3
	s_delay_alu instid0(VALU_DEP_2) | instskip(SKIP_2) | instid1(VALU_DEP_2)
	v_cmp_lt_u32_e32 vcc_lo, 0xffffff, v38
	v_sub_nc_u32_e32 v37, v48, v49
	v_cndmask_b32_e64 v48, 0, 1, vcc_lo
	v_add_co_ci_u32_e32 v37, vcc_lo, 0, v37, vcc_lo
	s_delay_alu instid0(VALU_DEP_2)
	v_lshrrev_b32_e32 v38, v48, v38
; %bb.14059:                            ;   in Loop: Header=BB6_13744 Depth=3
	s_and_not1_saveexec_b32 s14, s14
; %bb.14060:                            ;   in Loop: Header=BB6_13744 Depth=3
	s_delay_alu instid0(VALU_DEP_1)
	v_bfe_u32 v37, v38, 23, 1
; %bb.14061:                            ;   in Loop: Header=BB6_13744 Depth=3
	s_or_b32 exec_lo, exec_lo, s14
	v_lshrrev_b32_e32 v38, 20, v38
	s_delay_alu instid0(VALU_DEP_2) | instskip(SKIP_2) | instid1(VALU_DEP_2)
	v_cmp_gt_i32_e32 vcc_lo, 16, v37
	v_lshrrev_b32_e32 v39, 24, v39
	v_min_i32_e32 v48, 15, v37
	v_dual_cndmask_b32 v38, 7, v38 :: v_dual_and_b32 v39, 0x80, v39
	s_delay_alu instid0(VALU_DEP_1) | instskip(SKIP_1) | instid1(VALU_DEP_2)
	v_or_b32_e32 v37, v37, v38
	v_and_b32_e32 v49, 7, v38
	v_cmp_ne_u32_e32 vcc_lo, 0, v37
	v_lshlrev_b32_e32 v48, 3, v48
	s_delay_alu instid0(VALU_DEP_1) | instskip(NEXT) | instid1(VALU_DEP_1)
	v_or3_b32 v38, v48, v39, v49
	v_cndmask_b32_e32 v37, 0, v38, vcc_lo
.LBB6_14062:                            ;   in Loop: Header=BB6_13744 Depth=3
	s_or_b32 exec_lo, exec_lo, s35
.LBB6_14063:                            ;   in Loop: Header=BB6_13744 Depth=3
	s_delay_alu instid0(SALU_CYCLE_1)
	s_or_b32 exec_lo, exec_lo, s34
	v_lshrrev_b32_e32 v39, 24, v14
	v_lshrrev_b32_e32 v38, 24, v10
	s_and_b32 vcc_lo, exec_lo, s31
	s_cbranch_vccz .LBB6_14073
; %bb.14064:                            ;   in Loop: Header=BB6_13744 Depth=3
	s_mov_b32 s14, 0
	s_mov_b32 s35, exec_lo
                                        ; implicit-def: $sgpr34
	v_cmpx_lt_i16_e32 0x7f, v39
	s_xor_b32 s35, exec_lo, s35
	s_cbranch_execnz .LBB6_14382
; %bb.14065:                            ;   in Loop: Header=BB6_13744 Depth=3
	s_or_saveexec_b32 s35, s35
	v_mov_b32_e32 v48, s34
	s_xor_b32 exec_lo, exec_lo, s35
	s_cbranch_execnz .LBB6_14385
.LBB6_14066:                            ;   in Loop: Header=BB6_13744 Depth=3
	s_or_b32 exec_lo, exec_lo, s35
	s_and_saveexec_b32 s34, s14
	s_cbranch_execz .LBB6_14068
.LBB6_14067:                            ;   in Loop: Header=BB6_13744 Depth=3
	v_bfe_u32 v48, v14, 24, 3
	v_bfe_u32 v51, v14, 27, 4
	s_delay_alu instid0(VALU_DEP_2) | instskip(NEXT) | instid1(VALU_DEP_2)
	v_clz_i32_u32_e32 v49, v48
	v_cmp_eq_u32_e32 vcc_lo, 0, v51
	s_delay_alu instid0(VALU_DEP_2) | instskip(NEXT) | instid1(VALU_DEP_1)
	v_min_u32_e32 v49, 32, v49
	v_subrev_nc_u32_e32 v50, 28, v49
	v_sub_nc_u32_e32 v49, 29, v49
	s_delay_alu instid0(VALU_DEP_1) | instskip(NEXT) | instid1(VALU_DEP_1)
	v_dual_cndmask_b32 v49, v51, v49 :: v_dual_lshlrev_b32 v50, v50, v39
	v_and_b32_e32 v50, 7, v50
	s_delay_alu instid0(VALU_DEP_2) | instskip(NEXT) | instid1(VALU_DEP_2)
	v_lshl_add_u32 v49, v49, 23, 0x3b800000
	v_cndmask_b32_e32 v48, v48, v50, vcc_lo
	v_and_b32_e32 v50, 0x80000000, v14
	s_delay_alu instid0(VALU_DEP_2) | instskip(NEXT) | instid1(VALU_DEP_1)
	v_lshlrev_b32_e32 v48, 20, v48
	v_or3_b32 v48, v50, v49, v48
.LBB6_14068:                            ;   in Loop: Header=BB6_13744 Depth=3
	s_or_b32 exec_lo, exec_lo, s34
	s_mov_b32 s14, 0
	s_mov_b32 s35, exec_lo
                                        ; implicit-def: $sgpr34
	v_cmpx_lt_i16_e32 0x7f, v38
	s_xor_b32 s35, exec_lo, s35
	s_cbranch_execnz .LBB6_14386
; %bb.14069:                            ;   in Loop: Header=BB6_13744 Depth=3
	s_or_saveexec_b32 s35, s35
	v_mov_b32_e32 v49, s34
	s_xor_b32 exec_lo, exec_lo, s35
	s_cbranch_execnz .LBB6_14389
.LBB6_14070:                            ;   in Loop: Header=BB6_13744 Depth=3
	s_or_b32 exec_lo, exec_lo, s35
	s_and_saveexec_b32 s34, s14
	s_cbranch_execz .LBB6_14072
.LBB6_14071:                            ;   in Loop: Header=BB6_13744 Depth=3
	v_bfe_u32 v49, v10, 24, 3
	v_bfe_u32 v101, v10, 27, 4
	s_delay_alu instid0(VALU_DEP_2) | instskip(NEXT) | instid1(VALU_DEP_2)
	v_clz_i32_u32_e32 v50, v49
	v_cmp_eq_u32_e32 vcc_lo, 0, v101
	s_delay_alu instid0(VALU_DEP_2) | instskip(NEXT) | instid1(VALU_DEP_1)
	v_min_u32_e32 v50, 32, v50
	v_subrev_nc_u32_e32 v51, 28, v50
	v_sub_nc_u32_e32 v50, 29, v50
	s_delay_alu instid0(VALU_DEP_2) | instskip(NEXT) | instid1(VALU_DEP_1)
	v_lshlrev_b32_e32 v51, v51, v38
	v_dual_cndmask_b32 v50, v101, v50 :: v_dual_and_b32 v51, 7, v51
	s_delay_alu instid0(VALU_DEP_1) | instskip(NEXT) | instid1(VALU_DEP_2)
	v_lshl_add_u32 v50, v50, 23, 0x3b800000
	v_cndmask_b32_e32 v49, v49, v51, vcc_lo
	v_and_b32_e32 v51, 0x80000000, v10
	s_delay_alu instid0(VALU_DEP_2) | instskip(NEXT) | instid1(VALU_DEP_1)
	v_lshlrev_b32_e32 v49, 20, v49
	v_or3_b32 v49, v51, v50, v49
.LBB6_14072:                            ;   in Loop: Header=BB6_13744 Depth=3
	s_or_b32 exec_lo, exec_lo, s34
	s_delay_alu instid0(VALU_DEP_1) | instskip(SKIP_1) | instid1(VALU_DEP_1)
	v_dual_max_f32 v49, v49, v49 :: v_dual_max_f32 v48, v48, v48
	s_mov_b32 s14, 0
	v_max_f32_e32 v48, v48, v49
	s_branch .LBB6_14074
.LBB6_14073:                            ;   in Loop: Header=BB6_13744 Depth=3
	s_mov_b32 s14, -1
                                        ; implicit-def: $vgpr48
.LBB6_14074:                            ;   in Loop: Header=BB6_13744 Depth=3
	s_delay_alu instid0(SALU_CYCLE_1)
	s_and_b32 vcc_lo, exec_lo, s14
	s_cbranch_vccz .LBB6_14084
; %bb.14075:                            ;   in Loop: Header=BB6_13744 Depth=3
	s_mov_b32 s14, 0
	s_mov_b32 s35, exec_lo
                                        ; implicit-def: $sgpr34
	v_cmpx_lt_i16_e32 0x7f, v39
	s_xor_b32 s35, exec_lo, s35
	s_cbranch_execnz .LBB6_14390
; %bb.14076:                            ;   in Loop: Header=BB6_13744 Depth=3
	s_or_saveexec_b32 s35, s35
	v_mov_b32_e32 v48, s34
	s_xor_b32 exec_lo, exec_lo, s35
	s_cbranch_execnz .LBB6_14393
.LBB6_14077:                            ;   in Loop: Header=BB6_13744 Depth=3
	s_or_b32 exec_lo, exec_lo, s35
	s_and_saveexec_b32 s34, s14
	s_cbranch_execz .LBB6_14079
.LBB6_14078:                            ;   in Loop: Header=BB6_13744 Depth=3
	v_bfe_u32 v48, v14, 24, 3
	s_delay_alu instid0(VALU_DEP_1) | instskip(NEXT) | instid1(VALU_DEP_1)
	v_clz_i32_u32_e32 v49, v48
	v_min_u32_e32 v49, 32, v49
	s_delay_alu instid0(VALU_DEP_1) | instskip(SKIP_1) | instid1(VALU_DEP_2)
	v_subrev_nc_u32_e32 v50, 28, v49
	v_sub_nc_u32_e32 v49, 29, v49
	v_lshlrev_b32_e32 v39, v50, v39
	v_bfe_u32 v50, v14, 27, 4
	v_and_b32_e32 v14, 0x80000000, v14
	s_delay_alu instid0(VALU_DEP_3) | instskip(NEXT) | instid1(VALU_DEP_3)
	v_and_b32_e32 v39, 7, v39
	v_cmp_eq_u32_e32 vcc_lo, 0, v50
	v_cndmask_b32_e32 v49, v50, v49, vcc_lo
	s_delay_alu instid0(VALU_DEP_3) | instskip(NEXT) | instid1(VALU_DEP_2)
	v_cndmask_b32_e32 v39, v48, v39, vcc_lo
	v_lshl_add_u32 v48, v49, 23, 0x3b800000
	s_delay_alu instid0(VALU_DEP_2) | instskip(NEXT) | instid1(VALU_DEP_1)
	v_lshlrev_b32_e32 v39, 20, v39
	v_or3_b32 v48, v14, v48, v39
.LBB6_14079:                            ;   in Loop: Header=BB6_13744 Depth=3
	s_or_b32 exec_lo, exec_lo, s34
	s_mov_b32 s14, 0
	s_mov_b32 s35, exec_lo
                                        ; implicit-def: $sgpr34
	v_cmpx_lt_i16_e32 0x7f, v38
	s_xor_b32 s35, exec_lo, s35
	s_cbranch_execnz .LBB6_14394
; %bb.14080:                            ;   in Loop: Header=BB6_13744 Depth=3
	s_or_saveexec_b32 s35, s35
	v_mov_b32_e32 v14, s34
	s_xor_b32 exec_lo, exec_lo, s35
	s_cbranch_execnz .LBB6_14397
.LBB6_14081:                            ;   in Loop: Header=BB6_13744 Depth=3
	s_or_b32 exec_lo, exec_lo, s35
	s_and_saveexec_b32 s34, s14
	s_cbranch_execz .LBB6_14083
.LBB6_14082:                            ;   in Loop: Header=BB6_13744 Depth=3
	v_bfe_u32 v14, v10, 24, 3
	s_delay_alu instid0(VALU_DEP_1) | instskip(NEXT) | instid1(VALU_DEP_1)
	v_clz_i32_u32_e32 v39, v14
	v_min_u32_e32 v39, 32, v39
	s_delay_alu instid0(VALU_DEP_1) | instskip(SKIP_1) | instid1(VALU_DEP_2)
	v_subrev_nc_u32_e32 v49, 28, v39
	v_sub_nc_u32_e32 v39, 29, v39
	v_lshlrev_b32_e32 v38, v49, v38
	v_bfe_u32 v49, v10, 27, 4
	v_and_b32_e32 v10, 0x80000000, v10
	s_delay_alu instid0(VALU_DEP_2) | instskip(NEXT) | instid1(VALU_DEP_4)
	v_cmp_eq_u32_e32 vcc_lo, 0, v49
	v_dual_cndmask_b32 v39, v49, v39 :: v_dual_and_b32 v38, 7, v38
	s_delay_alu instid0(VALU_DEP_1) | instskip(NEXT) | instid1(VALU_DEP_2)
	v_cndmask_b32_e32 v14, v14, v38, vcc_lo
	v_lshl_add_u32 v38, v39, 23, 0x3b800000
	s_delay_alu instid0(VALU_DEP_2) | instskip(NEXT) | instid1(VALU_DEP_1)
	v_lshlrev_b32_e32 v14, 20, v14
	v_or3_b32 v14, v10, v38, v14
.LBB6_14083:                            ;   in Loop: Header=BB6_13744 Depth=3
	s_or_b32 exec_lo, exec_lo, s34
	s_delay_alu instid0(VALU_DEP_1) | instskip(SKIP_1) | instid1(VALU_DEP_1)
	v_max_f32_e32 v10, v14, v14
	v_max_f32_e32 v14, v48, v48
	v_min_f32_e32 v48, v14, v10
.LBB6_14084:                            ;   in Loop: Header=BB6_13744 Depth=3
	s_delay_alu instid0(VALU_DEP_1) | instskip(NEXT) | instid1(VALU_DEP_1)
	v_and_b32_e32 v10, 0x7f800000, v48
	v_cmp_ne_u32_e32 vcc_lo, 0x7f800000, v10
	v_mov_b32_e32 v10, 0x80
	s_and_saveexec_b32 s34, vcc_lo
	s_cbranch_execz .LBB6_14092
; %bb.14085:                            ;   in Loop: Header=BB6_13744 Depth=3
	v_mov_b32_e32 v10, 0
	s_mov_b32 s35, exec_lo
	v_cmpx_ne_u32_e32 0, v48
	s_cbranch_execz .LBB6_14091
; %bb.14086:                            ;   in Loop: Header=BB6_13744 Depth=3
	v_bfe_u32 v10, v48, 23, 8
	v_and_b32_e32 v14, 0x7fffff, v48
	s_delay_alu instid0(VALU_DEP_2) | instskip(SKIP_1) | instid1(VALU_DEP_3)
	v_sub_nc_u32_e32 v38, 0x78, v10
	v_cmp_gt_u32_e32 vcc_lo, 0x79, v10
	v_or_b32_e32 v39, 0x800000, v14
	s_delay_alu instid0(VALU_DEP_3) | instskip(SKIP_2) | instid1(VALU_DEP_3)
	v_cndmask_b32_e32 v38, 0, v38, vcc_lo
	v_cmp_eq_u32_e32 vcc_lo, 0, v10
	v_add_nc_u32_e32 v10, 0xffffff89, v10
	v_cndmask_b32_e64 v38, v38, 0x77, vcc_lo
	v_cndmask_b32_e32 v14, v39, v14, vcc_lo
	s_delay_alu instid0(VALU_DEP_3) | instskip(NEXT) | instid1(VALU_DEP_3)
	v_cndmask_b32_e64 v10, v10, 0xffffff8a, vcc_lo
	v_lshl_add_u32 v39, 0x100000, v38, -1
	s_delay_alu instid0(VALU_DEP_3) | instskip(SKIP_1) | instid1(VALU_DEP_4)
	v_lshrrev_b32_e32 v49, v38, v14
	v_lshlrev_b32_e64 v51, v38, 0x80000
	v_add_nc_u32_e32 v38, v38, v10
	s_delay_alu instid0(VALU_DEP_4) | instskip(NEXT) | instid1(VALU_DEP_4)
	v_and_b32_e32 v14, v39, v14
	v_bfe_u32 v50, v49, 20, 1
	s_delay_alu instid0(VALU_DEP_2) | instskip(NEXT) | instid1(VALU_DEP_2)
	v_cmp_eq_u32_e64 s14, v14, v51
	v_add_nc_u32_e32 v39, -1, v50
	s_delay_alu instid0(VALU_DEP_1) | instskip(SKIP_2) | instid1(VALU_DEP_2)
	v_cndmask_b32_e64 v14, 0, v39, s14
	v_lshrrev_b32_e32 v39, 23, v49
	s_mov_b32 s14, exec_lo
	v_add_nc_u32_e32 v14, v14, v49
	s_delay_alu instid0(VALU_DEP_2) | instskip(NEXT) | instid1(VALU_DEP_2)
	v_xor_b32_e32 v39, 1, v39
	v_and_b32_e32 v10, 0xfffff, v14
	s_delay_alu instid0(VALU_DEP_1) | instskip(NEXT) | instid1(VALU_DEP_3)
	v_add_nc_u32_e32 v14, v10, v49
                                        ; implicit-def: $vgpr10
	v_cmpx_ne_u32_e64 v38, v39
	s_xor_b32 s14, exec_lo, s14
; %bb.14087:                            ;   in Loop: Header=BB6_13744 Depth=3
	s_delay_alu instid0(VALU_DEP_2) | instskip(SKIP_2) | instid1(VALU_DEP_2)
	v_cmp_lt_u32_e32 vcc_lo, 0xffffff, v14
	v_sub_nc_u32_e32 v10, v38, v39
	v_cndmask_b32_e64 v38, 0, 1, vcc_lo
	v_add_co_ci_u32_e32 v10, vcc_lo, 0, v10, vcc_lo
	s_delay_alu instid0(VALU_DEP_2)
	v_lshrrev_b32_e32 v14, v38, v14
; %bb.14088:                            ;   in Loop: Header=BB6_13744 Depth=3
	s_and_not1_saveexec_b32 s14, s14
; %bb.14089:                            ;   in Loop: Header=BB6_13744 Depth=3
	s_delay_alu instid0(VALU_DEP_1)
	v_bfe_u32 v10, v14, 23, 1
; %bb.14090:                            ;   in Loop: Header=BB6_13744 Depth=3
	s_or_b32 exec_lo, exec_lo, s14
	v_lshrrev_b32_e32 v14, 20, v14
	s_delay_alu instid0(VALU_DEP_2) | instskip(SKIP_2) | instid1(VALU_DEP_4)
	v_cmp_gt_i32_e32 vcc_lo, 16, v10
	v_lshrrev_b32_e32 v38, 24, v48
	v_min_i32_e32 v39, 15, v10
	v_cndmask_b32_e32 v14, 7, v14, vcc_lo
	s_delay_alu instid0(VALU_DEP_3) | instskip(NEXT) | instid1(VALU_DEP_3)
	v_and_b32_e32 v38, 0x80, v38
	v_lshlrev_b32_e32 v39, 3, v39
	s_delay_alu instid0(VALU_DEP_3) | instskip(SKIP_1) | instid1(VALU_DEP_2)
	v_and_b32_e32 v48, 7, v14
	v_or_b32_e32 v10, v10, v14
	v_or3_b32 v14, v39, v38, v48
	s_delay_alu instid0(VALU_DEP_2) | instskip(NEXT) | instid1(VALU_DEP_2)
	v_cmp_ne_u32_e32 vcc_lo, 0, v10
	v_cndmask_b32_e32 v10, 0, v14, vcc_lo
.LBB6_14091:                            ;   in Loop: Header=BB6_13744 Depth=3
	s_or_b32 exec_lo, exec_lo, s35
.LBB6_14092:                            ;   in Loop: Header=BB6_13744 Depth=3
	s_delay_alu instid0(SALU_CYCLE_1) | instskip(NEXT) | instid1(SALU_CYCLE_1)
	s_or_b32 exec_lo, exec_lo, s34
	s_and_b32 vcc_lo, exec_lo, s31
	s_cbranch_vccz .LBB6_14102
; %bb.14093:                            ;   in Loop: Header=BB6_13744 Depth=3
	v_and_b32_e32 v38, 0xff, v15
	s_mov_b32 s14, 0
	s_mov_b32 s35, exec_lo
                                        ; implicit-def: $sgpr34
	s_delay_alu instid0(VALU_DEP_1)
	v_cmpx_lt_i16_e32 0x7f, v38
	s_xor_b32 s35, exec_lo, s35
	s_cbranch_execnz .LBB6_14398
; %bb.14094:                            ;   in Loop: Header=BB6_13744 Depth=3
	s_or_saveexec_b32 s35, s35
	v_mov_b32_e32 v14, s34
	s_xor_b32 exec_lo, exec_lo, s35
	s_cbranch_execnz .LBB6_14401
.LBB6_14095:                            ;   in Loop: Header=BB6_13744 Depth=3
	s_or_b32 exec_lo, exec_lo, s35
	s_and_saveexec_b32 s34, s14
	s_cbranch_execz .LBB6_14097
.LBB6_14096:                            ;   in Loop: Header=BB6_13744 Depth=3
	v_and_b32_e32 v14, 7, v15
	v_bfe_u32 v48, v15, 3, 4
	v_lshlrev_b32_e32 v49, 24, v15
	s_delay_alu instid0(VALU_DEP_3) | instskip(NEXT) | instid1(VALU_DEP_3)
	v_clz_i32_u32_e32 v38, v14
	v_cmp_eq_u32_e32 vcc_lo, 0, v48
	s_delay_alu instid0(VALU_DEP_2) | instskip(NEXT) | instid1(VALU_DEP_1)
	v_min_u32_e32 v38, 32, v38
	v_subrev_nc_u32_e32 v39, 28, v38
	v_sub_nc_u32_e32 v38, 29, v38
	s_delay_alu instid0(VALU_DEP_1) | instskip(NEXT) | instid1(VALU_DEP_1)
	v_dual_cndmask_b32 v38, v48, v38 :: v_dual_lshlrev_b32 v39, v39, v15
	v_and_b32_e32 v39, 7, v39
	s_delay_alu instid0(VALU_DEP_2) | instskip(NEXT) | instid1(VALU_DEP_2)
	v_lshl_add_u32 v38, v38, 23, 0x3b800000
	v_dual_cndmask_b32 v14, v14, v39 :: v_dual_and_b32 v39, 0x80000000, v49
	s_delay_alu instid0(VALU_DEP_1) | instskip(NEXT) | instid1(VALU_DEP_1)
	v_lshlrev_b32_e32 v14, 20, v14
	v_or3_b32 v14, v39, v38, v14
.LBB6_14097:                            ;   in Loop: Header=BB6_13744 Depth=3
	s_or_b32 exec_lo, exec_lo, s34
	v_and_b32_e32 v39, 0xff, v11
	s_mov_b32 s14, 0
	s_mov_b32 s35, exec_lo
                                        ; implicit-def: $sgpr34
	s_delay_alu instid0(VALU_DEP_1)
	v_cmpx_lt_i16_e32 0x7f, v39
	s_xor_b32 s35, exec_lo, s35
	s_cbranch_execnz .LBB6_14402
; %bb.14098:                            ;   in Loop: Header=BB6_13744 Depth=3
	s_or_saveexec_b32 s35, s35
	v_mov_b32_e32 v38, s34
	s_xor_b32 exec_lo, exec_lo, s35
	s_cbranch_execnz .LBB6_14405
.LBB6_14099:                            ;   in Loop: Header=BB6_13744 Depth=3
	s_or_b32 exec_lo, exec_lo, s35
	s_and_saveexec_b32 s34, s14
	s_cbranch_execz .LBB6_14101
.LBB6_14100:                            ;   in Loop: Header=BB6_13744 Depth=3
	v_and_b32_e32 v38, 7, v11
	v_bfe_u32 v49, v11, 3, 4
	v_lshlrev_b32_e32 v50, 24, v11
	s_delay_alu instid0(VALU_DEP_3) | instskip(NEXT) | instid1(VALU_DEP_3)
	v_clz_i32_u32_e32 v39, v38
	v_cmp_eq_u32_e32 vcc_lo, 0, v49
	s_delay_alu instid0(VALU_DEP_2) | instskip(NEXT) | instid1(VALU_DEP_1)
	v_min_u32_e32 v39, 32, v39
	v_subrev_nc_u32_e32 v48, 28, v39
	v_sub_nc_u32_e32 v39, 29, v39
	s_delay_alu instid0(VALU_DEP_2) | instskip(NEXT) | instid1(VALU_DEP_1)
	v_lshlrev_b32_e32 v48, v48, v11
	v_dual_cndmask_b32 v39, v49, v39 :: v_dual_and_b32 v48, 7, v48
	s_delay_alu instid0(VALU_DEP_1) | instskip(NEXT) | instid1(VALU_DEP_2)
	v_lshl_add_u32 v39, v39, 23, 0x3b800000
	v_cndmask_b32_e32 v38, v38, v48, vcc_lo
	v_and_b32_e32 v48, 0x80000000, v50
	s_delay_alu instid0(VALU_DEP_2) | instskip(NEXT) | instid1(VALU_DEP_1)
	v_lshlrev_b32_e32 v38, 20, v38
	v_or3_b32 v38, v48, v39, v38
.LBB6_14101:                            ;   in Loop: Header=BB6_13744 Depth=3
	s_or_b32 exec_lo, exec_lo, s34
	s_delay_alu instid0(VALU_DEP_1) | instskip(SKIP_2) | instid1(VALU_DEP_1)
	v_max_f32_e32 v38, v38, v38
	v_max_f32_e32 v14, v14, v14
	s_mov_b32 s14, 0
	v_max_f32_e32 v38, v14, v38
	s_branch .LBB6_14103
.LBB6_14102:                            ;   in Loop: Header=BB6_13744 Depth=3
	s_mov_b32 s14, -1
                                        ; implicit-def: $vgpr38
.LBB6_14103:                            ;   in Loop: Header=BB6_13744 Depth=3
	s_delay_alu instid0(SALU_CYCLE_1)
	s_and_b32 vcc_lo, exec_lo, s14
	s_cbranch_vccz .LBB6_14113
; %bb.14104:                            ;   in Loop: Header=BB6_13744 Depth=3
	v_and_b32_e32 v38, 0xff, v15
	s_mov_b32 s14, 0
	s_mov_b32 s35, exec_lo
                                        ; implicit-def: $sgpr34
	s_delay_alu instid0(VALU_DEP_1)
	v_cmpx_lt_i16_e32 0x7f, v38
	s_xor_b32 s35, exec_lo, s35
	s_cbranch_execnz .LBB6_14406
; %bb.14105:                            ;   in Loop: Header=BB6_13744 Depth=3
	s_or_saveexec_b32 s35, s35
	v_mov_b32_e32 v14, s34
	s_xor_b32 exec_lo, exec_lo, s35
	s_cbranch_execnz .LBB6_14409
.LBB6_14106:                            ;   in Loop: Header=BB6_13744 Depth=3
	s_or_b32 exec_lo, exec_lo, s35
	s_and_saveexec_b32 s34, s14
	s_cbranch_execz .LBB6_14108
.LBB6_14107:                            ;   in Loop: Header=BB6_13744 Depth=3
	v_and_b32_e32 v14, 7, v15
	v_bfe_u32 v48, v15, 3, 4
	v_lshlrev_b32_e32 v49, 24, v15
	s_delay_alu instid0(VALU_DEP_3) | instskip(NEXT) | instid1(VALU_DEP_3)
	v_clz_i32_u32_e32 v38, v14
	v_cmp_eq_u32_e32 vcc_lo, 0, v48
	s_delay_alu instid0(VALU_DEP_2) | instskip(NEXT) | instid1(VALU_DEP_1)
	v_min_u32_e32 v38, 32, v38
	v_subrev_nc_u32_e32 v39, 28, v38
	v_sub_nc_u32_e32 v38, 29, v38
	s_delay_alu instid0(VALU_DEP_1) | instskip(NEXT) | instid1(VALU_DEP_1)
	v_dual_cndmask_b32 v38, v48, v38 :: v_dual_lshlrev_b32 v39, v39, v15
	v_and_b32_e32 v39, 7, v39
	s_delay_alu instid0(VALU_DEP_2) | instskip(NEXT) | instid1(VALU_DEP_2)
	v_lshl_add_u32 v38, v38, 23, 0x3b800000
	v_dual_cndmask_b32 v14, v14, v39 :: v_dual_and_b32 v39, 0x80000000, v49
	s_delay_alu instid0(VALU_DEP_1) | instskip(NEXT) | instid1(VALU_DEP_1)
	v_lshlrev_b32_e32 v14, 20, v14
	v_or3_b32 v14, v39, v38, v14
.LBB6_14108:                            ;   in Loop: Header=BB6_13744 Depth=3
	s_or_b32 exec_lo, exec_lo, s34
	v_and_b32_e32 v39, 0xff, v11
	s_mov_b32 s14, 0
	s_mov_b32 s35, exec_lo
                                        ; implicit-def: $sgpr34
	s_delay_alu instid0(VALU_DEP_1)
	v_cmpx_lt_i16_e32 0x7f, v39
	s_xor_b32 s35, exec_lo, s35
	s_cbranch_execnz .LBB6_14410
; %bb.14109:                            ;   in Loop: Header=BB6_13744 Depth=3
	s_or_saveexec_b32 s35, s35
	v_mov_b32_e32 v38, s34
	s_xor_b32 exec_lo, exec_lo, s35
	s_cbranch_execnz .LBB6_14413
.LBB6_14110:                            ;   in Loop: Header=BB6_13744 Depth=3
	s_or_b32 exec_lo, exec_lo, s35
	s_and_saveexec_b32 s34, s14
	s_cbranch_execz .LBB6_14112
.LBB6_14111:                            ;   in Loop: Header=BB6_13744 Depth=3
	v_and_b32_e32 v38, 7, v11
	v_bfe_u32 v49, v11, 3, 4
	v_lshlrev_b32_e32 v50, 24, v11
	s_delay_alu instid0(VALU_DEP_3) | instskip(NEXT) | instid1(VALU_DEP_3)
	v_clz_i32_u32_e32 v39, v38
	v_cmp_eq_u32_e32 vcc_lo, 0, v49
	s_delay_alu instid0(VALU_DEP_2) | instskip(NEXT) | instid1(VALU_DEP_1)
	v_min_u32_e32 v39, 32, v39
	v_subrev_nc_u32_e32 v48, 28, v39
	v_sub_nc_u32_e32 v39, 29, v39
	s_delay_alu instid0(VALU_DEP_2) | instskip(NEXT) | instid1(VALU_DEP_1)
	v_lshlrev_b32_e32 v48, v48, v11
	v_dual_cndmask_b32 v39, v49, v39 :: v_dual_and_b32 v48, 7, v48
	s_delay_alu instid0(VALU_DEP_1) | instskip(NEXT) | instid1(VALU_DEP_2)
	v_lshl_add_u32 v39, v39, 23, 0x3b800000
	v_cndmask_b32_e32 v38, v38, v48, vcc_lo
	v_and_b32_e32 v48, 0x80000000, v50
	s_delay_alu instid0(VALU_DEP_2) | instskip(NEXT) | instid1(VALU_DEP_1)
	v_lshlrev_b32_e32 v38, 20, v38
	v_or3_b32 v38, v48, v39, v38
.LBB6_14112:                            ;   in Loop: Header=BB6_13744 Depth=3
	s_or_b32 exec_lo, exec_lo, s34
	s_delay_alu instid0(VALU_DEP_1) | instskip(SKIP_1) | instid1(VALU_DEP_1)
	v_max_f32_e32 v38, v38, v38
	v_max_f32_e32 v14, v14, v14
	v_min_f32_e32 v38, v14, v38
.LBB6_14113:                            ;   in Loop: Header=BB6_13744 Depth=3
	s_delay_alu instid0(VALU_DEP_1) | instskip(NEXT) | instid1(VALU_DEP_1)
	v_and_b32_e32 v14, 0x7f800000, v38
	v_cmp_ne_u32_e32 vcc_lo, 0x7f800000, v14
	v_mov_b32_e32 v14, 0x80
	s_and_saveexec_b32 s34, vcc_lo
	s_cbranch_execz .LBB6_14121
; %bb.14114:                            ;   in Loop: Header=BB6_13744 Depth=3
	v_mov_b32_e32 v14, 0
	s_mov_b32 s35, exec_lo
	v_cmpx_ne_u32_e32 0, v38
	s_cbranch_execz .LBB6_14120
; %bb.14115:                            ;   in Loop: Header=BB6_13744 Depth=3
	v_bfe_u32 v14, v38, 23, 8
	s_delay_alu instid0(VALU_DEP_1) | instskip(SKIP_1) | instid1(VALU_DEP_2)
	v_sub_nc_u32_e32 v48, 0x78, v14
	v_cmp_gt_u32_e32 vcc_lo, 0x79, v14
	v_dual_cndmask_b32 v48, 0, v48 :: v_dual_and_b32 v39, 0x7fffff, v38
	s_delay_alu instid0(VALU_DEP_1) | instskip(SKIP_2) | instid1(VALU_DEP_4)
	v_or_b32_e32 v49, 0x800000, v39
	v_cmp_eq_u32_e32 vcc_lo, 0, v14
	v_add_nc_u32_e32 v14, 0xffffff89, v14
	v_cndmask_b32_e64 v48, v48, 0x77, vcc_lo
	s_delay_alu instid0(VALU_DEP_4) | instskip(NEXT) | instid1(VALU_DEP_3)
	v_cndmask_b32_e32 v39, v49, v39, vcc_lo
	v_cndmask_b32_e64 v14, v14, 0xffffff8a, vcc_lo
	s_delay_alu instid0(VALU_DEP_3) | instskip(NEXT) | instid1(VALU_DEP_3)
	v_lshl_add_u32 v49, 0x100000, v48, -1
	v_lshrrev_b32_e32 v50, v48, v39
	v_lshlrev_b32_e64 v101, v48, 0x80000
	s_delay_alu instid0(VALU_DEP_4) | instskip(NEXT) | instid1(VALU_DEP_4)
	v_add_nc_u32_e32 v48, v48, v14
	v_and_b32_e32 v39, v49, v39
	s_delay_alu instid0(VALU_DEP_4) | instskip(NEXT) | instid1(VALU_DEP_2)
	v_bfe_u32 v51, v50, 20, 1
	v_cmp_eq_u32_e64 s14, v39, v101
	s_delay_alu instid0(VALU_DEP_2) | instskip(NEXT) | instid1(VALU_DEP_1)
	v_add_nc_u32_e32 v49, -1, v51
	v_cndmask_b32_e64 v39, 0, v49, s14
	v_lshrrev_b32_e32 v49, 23, v50
	s_mov_b32 s14, exec_lo
	s_delay_alu instid0(VALU_DEP_2) | instskip(NEXT) | instid1(VALU_DEP_2)
	v_add_nc_u32_e32 v39, v39, v50
	v_xor_b32_e32 v49, 1, v49
	s_delay_alu instid0(VALU_DEP_2) | instskip(NEXT) | instid1(VALU_DEP_1)
	v_and_b32_e32 v14, 0xfffff, v39
	v_add_nc_u32_e32 v39, v14, v50
                                        ; implicit-def: $vgpr14
	s_delay_alu instid0(VALU_DEP_3)
	v_cmpx_ne_u32_e64 v48, v49
	s_xor_b32 s14, exec_lo, s14
; %bb.14116:                            ;   in Loop: Header=BB6_13744 Depth=3
	s_delay_alu instid0(VALU_DEP_2) | instskip(SKIP_2) | instid1(VALU_DEP_2)
	v_cmp_lt_u32_e32 vcc_lo, 0xffffff, v39
	v_sub_nc_u32_e32 v14, v48, v49
	v_cndmask_b32_e64 v48, 0, 1, vcc_lo
	v_add_co_ci_u32_e32 v14, vcc_lo, 0, v14, vcc_lo
	s_delay_alu instid0(VALU_DEP_2)
	v_lshrrev_b32_e32 v39, v48, v39
; %bb.14117:                            ;   in Loop: Header=BB6_13744 Depth=3
	s_and_not1_saveexec_b32 s14, s14
; %bb.14118:                            ;   in Loop: Header=BB6_13744 Depth=3
	s_delay_alu instid0(VALU_DEP_1)
	v_bfe_u32 v14, v39, 23, 1
; %bb.14119:                            ;   in Loop: Header=BB6_13744 Depth=3
	s_or_b32 exec_lo, exec_lo, s14
	v_lshrrev_b32_e32 v39, 20, v39
	s_delay_alu instid0(VALU_DEP_2) | instskip(SKIP_2) | instid1(VALU_DEP_2)
	v_cmp_gt_i32_e32 vcc_lo, 16, v14
	v_lshrrev_b32_e32 v38, 24, v38
	v_min_i32_e32 v48, 15, v14
	v_dual_cndmask_b32 v39, 7, v39 :: v_dual_and_b32 v38, 0x80, v38
	s_delay_alu instid0(VALU_DEP_2) | instskip(NEXT) | instid1(VALU_DEP_2)
	v_lshlrev_b32_e32 v48, 3, v48
	v_or_b32_e32 v14, v14, v39
	s_delay_alu instid0(VALU_DEP_1) | instskip(SKIP_1) | instid1(VALU_DEP_1)
	v_cmp_ne_u32_e32 vcc_lo, 0, v14
	v_and_b32_e32 v49, 7, v39
	v_or3_b32 v38, v48, v38, v49
	s_delay_alu instid0(VALU_DEP_1)
	v_cndmask_b32_e32 v14, 0, v38, vcc_lo
.LBB6_14120:                            ;   in Loop: Header=BB6_13744 Depth=3
	s_or_b32 exec_lo, exec_lo, s35
.LBB6_14121:                            ;   in Loop: Header=BB6_13744 Depth=3
	s_delay_alu instid0(SALU_CYCLE_1)
	s_or_b32 exec_lo, exec_lo, s34
	v_lshrrev_b16 v39, 8, v15
	v_lshrrev_b16 v38, 8, v11
	s_and_b32 vcc_lo, exec_lo, s31
	s_cbranch_vccz .LBB6_14131
; %bb.14122:                            ;   in Loop: Header=BB6_13744 Depth=3
	s_mov_b32 s14, 0
	s_mov_b32 s35, exec_lo
                                        ; implicit-def: $sgpr34
	v_cmpx_lt_i16_e32 0x7f, v39
	s_xor_b32 s35, exec_lo, s35
	s_cbranch_execnz .LBB6_14414
; %bb.14123:                            ;   in Loop: Header=BB6_13744 Depth=3
	s_or_saveexec_b32 s35, s35
	v_mov_b32_e32 v48, s34
	s_xor_b32 exec_lo, exec_lo, s35
	s_cbranch_execnz .LBB6_14417
.LBB6_14124:                            ;   in Loop: Header=BB6_13744 Depth=3
	s_or_b32 exec_lo, exec_lo, s35
	s_and_saveexec_b32 s34, s14
	s_cbranch_execz .LBB6_14126
.LBB6_14125:                            ;   in Loop: Header=BB6_13744 Depth=3
	v_and_b32_e32 v48, 0xffff, v39
	v_lshlrev_b32_e32 v101, 16, v15
	s_delay_alu instid0(VALU_DEP_2) | instskip(NEXT) | instid1(VALU_DEP_1)
	v_and_b32_e32 v49, 7, v48
	v_clz_i32_u32_e32 v50, v49
	s_delay_alu instid0(VALU_DEP_1) | instskip(NEXT) | instid1(VALU_DEP_1)
	v_min_u32_e32 v50, 32, v50
	v_subrev_nc_u32_e32 v51, 28, v50
	v_sub_nc_u32_e32 v50, 29, v50
	s_delay_alu instid0(VALU_DEP_2) | instskip(SKIP_1) | instid1(VALU_DEP_2)
	v_lshlrev_b32_e32 v51, v51, v48
	v_bfe_u32 v48, v48, 3, 4
	v_and_b32_e32 v51, 7, v51
	s_delay_alu instid0(VALU_DEP_2) | instskip(NEXT) | instid1(VALU_DEP_2)
	v_cmp_eq_u32_e32 vcc_lo, 0, v48
	v_dual_cndmask_b32 v48, v48, v50 :: v_dual_cndmask_b32 v49, v49, v51
	v_and_b32_e32 v50, 0x80000000, v101
	s_delay_alu instid0(VALU_DEP_2) | instskip(NEXT) | instid1(VALU_DEP_3)
	v_lshl_add_u32 v48, v48, 23, 0x3b800000
	v_lshlrev_b32_e32 v49, 20, v49
	s_delay_alu instid0(VALU_DEP_1)
	v_or3_b32 v48, v50, v48, v49
.LBB6_14126:                            ;   in Loop: Header=BB6_13744 Depth=3
	s_or_b32 exec_lo, exec_lo, s34
	s_mov_b32 s14, 0
	s_mov_b32 s35, exec_lo
                                        ; implicit-def: $sgpr34
	v_cmpx_lt_i16_e32 0x7f, v38
	s_xor_b32 s35, exec_lo, s35
	s_cbranch_execnz .LBB6_14418
; %bb.14127:                            ;   in Loop: Header=BB6_13744 Depth=3
	s_or_saveexec_b32 s35, s35
	v_mov_b32_e32 v49, s34
	s_xor_b32 exec_lo, exec_lo, s35
	s_cbranch_execnz .LBB6_14421
.LBB6_14128:                            ;   in Loop: Header=BB6_13744 Depth=3
	s_or_b32 exec_lo, exec_lo, s35
	s_and_saveexec_b32 s34, s14
	s_cbranch_execz .LBB6_14130
.LBB6_14129:                            ;   in Loop: Header=BB6_13744 Depth=3
	v_and_b32_e32 v49, 0xffff, v38
	v_lshlrev_b32_e32 v102, 16, v11
	s_delay_alu instid0(VALU_DEP_2) | instskip(NEXT) | instid1(VALU_DEP_1)
	v_and_b32_e32 v50, 7, v49
	v_clz_i32_u32_e32 v51, v50
	s_delay_alu instid0(VALU_DEP_1) | instskip(NEXT) | instid1(VALU_DEP_1)
	v_min_u32_e32 v51, 32, v51
	v_subrev_nc_u32_e32 v101, 28, v51
	v_sub_nc_u32_e32 v51, 29, v51
	s_delay_alu instid0(VALU_DEP_2) | instskip(SKIP_1) | instid1(VALU_DEP_2)
	v_lshlrev_b32_e32 v101, v101, v49
	v_bfe_u32 v49, v49, 3, 4
	v_and_b32_e32 v101, 7, v101
	s_delay_alu instid0(VALU_DEP_2) | instskip(NEXT) | instid1(VALU_DEP_2)
	v_cmp_eq_u32_e32 vcc_lo, 0, v49
	v_dual_cndmask_b32 v49, v49, v51 :: v_dual_cndmask_b32 v50, v50, v101
	v_and_b32_e32 v51, 0x80000000, v102
	s_delay_alu instid0(VALU_DEP_2) | instskip(NEXT) | instid1(VALU_DEP_3)
	v_lshl_add_u32 v49, v49, 23, 0x3b800000
	v_lshlrev_b32_e32 v50, 20, v50
	s_delay_alu instid0(VALU_DEP_1)
	v_or3_b32 v49, v51, v49, v50
.LBB6_14130:                            ;   in Loop: Header=BB6_13744 Depth=3
	s_or_b32 exec_lo, exec_lo, s34
	s_delay_alu instid0(VALU_DEP_1) | instskip(SKIP_1) | instid1(VALU_DEP_1)
	v_dual_max_f32 v49, v49, v49 :: v_dual_max_f32 v48, v48, v48
	s_mov_b32 s14, 0
	v_max_f32_e32 v48, v48, v49
	s_branch .LBB6_14132
.LBB6_14131:                            ;   in Loop: Header=BB6_13744 Depth=3
	s_mov_b32 s14, -1
                                        ; implicit-def: $vgpr48
.LBB6_14132:                            ;   in Loop: Header=BB6_13744 Depth=3
	s_delay_alu instid0(SALU_CYCLE_1)
	s_and_b32 vcc_lo, exec_lo, s14
	s_cbranch_vccz .LBB6_14142
; %bb.14133:                            ;   in Loop: Header=BB6_13744 Depth=3
	s_mov_b32 s14, 0
	s_mov_b32 s35, exec_lo
                                        ; implicit-def: $sgpr34
	v_cmpx_lt_i16_e32 0x7f, v39
	s_xor_b32 s35, exec_lo, s35
	s_cbranch_execnz .LBB6_14422
; %bb.14134:                            ;   in Loop: Header=BB6_13744 Depth=3
	s_or_saveexec_b32 s35, s35
	v_mov_b32_e32 v48, s34
	s_xor_b32 exec_lo, exec_lo, s35
	s_cbranch_execnz .LBB6_14425
.LBB6_14135:                            ;   in Loop: Header=BB6_13744 Depth=3
	s_or_b32 exec_lo, exec_lo, s35
	s_and_saveexec_b32 s34, s14
	s_cbranch_execz .LBB6_14137
.LBB6_14136:                            ;   in Loop: Header=BB6_13744 Depth=3
	v_and_b32_e32 v39, 0xffff, v39
	v_lshlrev_b32_e32 v51, 16, v15
	s_delay_alu instid0(VALU_DEP_2) | instskip(NEXT) | instid1(VALU_DEP_1)
	v_and_b32_e32 v48, 7, v39
	v_clz_i32_u32_e32 v49, v48
	s_delay_alu instid0(VALU_DEP_1) | instskip(NEXT) | instid1(VALU_DEP_1)
	v_min_u32_e32 v49, 32, v49
	v_subrev_nc_u32_e32 v50, 28, v49
	v_sub_nc_u32_e32 v49, 29, v49
	s_delay_alu instid0(VALU_DEP_2) | instskip(SKIP_1) | instid1(VALU_DEP_2)
	v_lshlrev_b32_e32 v50, v50, v39
	v_bfe_u32 v39, v39, 3, 4
	v_and_b32_e32 v50, 7, v50
	s_delay_alu instid0(VALU_DEP_2) | instskip(NEXT) | instid1(VALU_DEP_2)
	v_cmp_eq_u32_e32 vcc_lo, 0, v39
	v_dual_cndmask_b32 v39, v39, v49 :: v_dual_cndmask_b32 v48, v48, v50
	v_and_b32_e32 v49, 0x80000000, v51
	s_delay_alu instid0(VALU_DEP_2) | instskip(NEXT) | instid1(VALU_DEP_3)
	v_lshl_add_u32 v39, v39, 23, 0x3b800000
	v_lshlrev_b32_e32 v48, 20, v48
	s_delay_alu instid0(VALU_DEP_1)
	v_or3_b32 v48, v49, v39, v48
.LBB6_14137:                            ;   in Loop: Header=BB6_13744 Depth=3
	s_or_b32 exec_lo, exec_lo, s34
	s_mov_b32 s14, 0
	s_mov_b32 s35, exec_lo
                                        ; implicit-def: $sgpr34
	v_cmpx_lt_i16_e32 0x7f, v38
	s_xor_b32 s35, exec_lo, s35
	s_cbranch_execnz .LBB6_14426
; %bb.14138:                            ;   in Loop: Header=BB6_13744 Depth=3
	s_or_saveexec_b32 s35, s35
	v_mov_b32_e32 v39, s34
	s_xor_b32 exec_lo, exec_lo, s35
	s_cbranch_execnz .LBB6_14429
.LBB6_14139:                            ;   in Loop: Header=BB6_13744 Depth=3
	s_or_b32 exec_lo, exec_lo, s35
	s_and_saveexec_b32 s34, s14
	s_cbranch_execz .LBB6_14141
.LBB6_14140:                            ;   in Loop: Header=BB6_13744 Depth=3
	v_and_b32_e32 v38, 0xffff, v38
	v_lshlrev_b32_e32 v51, 16, v11
	s_delay_alu instid0(VALU_DEP_2) | instskip(NEXT) | instid1(VALU_DEP_1)
	v_and_b32_e32 v39, 7, v38
	v_clz_i32_u32_e32 v49, v39
	s_delay_alu instid0(VALU_DEP_1) | instskip(NEXT) | instid1(VALU_DEP_1)
	v_min_u32_e32 v49, 32, v49
	v_subrev_nc_u32_e32 v50, 28, v49
	v_sub_nc_u32_e32 v49, 29, v49
	s_delay_alu instid0(VALU_DEP_2) | instskip(SKIP_1) | instid1(VALU_DEP_2)
	v_lshlrev_b32_e32 v50, v50, v38
	v_bfe_u32 v38, v38, 3, 4
	v_and_b32_e32 v50, 7, v50
	s_delay_alu instid0(VALU_DEP_2) | instskip(NEXT) | instid1(VALU_DEP_2)
	v_cmp_eq_u32_e32 vcc_lo, 0, v38
	v_dual_cndmask_b32 v38, v38, v49 :: v_dual_cndmask_b32 v39, v39, v50
	v_and_b32_e32 v49, 0x80000000, v51
	s_delay_alu instid0(VALU_DEP_2) | instskip(NEXT) | instid1(VALU_DEP_3)
	v_lshl_add_u32 v38, v38, 23, 0x3b800000
	v_lshlrev_b32_e32 v39, 20, v39
	s_delay_alu instid0(VALU_DEP_1)
	v_or3_b32 v39, v49, v38, v39
.LBB6_14141:                            ;   in Loop: Header=BB6_13744 Depth=3
	s_or_b32 exec_lo, exec_lo, s34
	s_delay_alu instid0(VALU_DEP_1) | instskip(NEXT) | instid1(VALU_DEP_1)
	v_dual_max_f32 v38, v39, v39 :: v_dual_max_f32 v39, v48, v48
	v_min_f32_e32 v48, v39, v38
.LBB6_14142:                            ;   in Loop: Header=BB6_13744 Depth=3
	s_delay_alu instid0(VALU_DEP_1) | instskip(NEXT) | instid1(VALU_DEP_1)
	v_and_b32_e32 v38, 0x7f800000, v48
	v_cmp_ne_u32_e32 vcc_lo, 0x7f800000, v38
	v_mov_b32_e32 v38, 0x80
	s_and_saveexec_b32 s34, vcc_lo
	s_cbranch_execz .LBB6_14150
; %bb.14143:                            ;   in Loop: Header=BB6_13744 Depth=3
	v_mov_b32_e32 v38, 0
	s_mov_b32 s35, exec_lo
	v_cmpx_ne_u32_e32 0, v48
	s_cbranch_execz .LBB6_14149
; %bb.14144:                            ;   in Loop: Header=BB6_13744 Depth=3
	v_bfe_u32 v38, v48, 23, 8
	v_and_b32_e32 v39, 0x7fffff, v48
	s_delay_alu instid0(VALU_DEP_2) | instskip(SKIP_1) | instid1(VALU_DEP_3)
	v_sub_nc_u32_e32 v49, 0x78, v38
	v_cmp_gt_u32_e32 vcc_lo, 0x79, v38
	v_or_b32_e32 v50, 0x800000, v39
	s_delay_alu instid0(VALU_DEP_3) | instskip(SKIP_2) | instid1(VALU_DEP_3)
	v_cndmask_b32_e32 v49, 0, v49, vcc_lo
	v_cmp_eq_u32_e32 vcc_lo, 0, v38
	v_add_nc_u32_e32 v38, 0xffffff89, v38
	v_cndmask_b32_e64 v49, v49, 0x77, vcc_lo
	v_cndmask_b32_e32 v39, v50, v39, vcc_lo
	s_delay_alu instid0(VALU_DEP_3) | instskip(NEXT) | instid1(VALU_DEP_3)
	v_cndmask_b32_e64 v38, v38, 0xffffff8a, vcc_lo
	v_lshl_add_u32 v50, 0x100000, v49, -1
	s_delay_alu instid0(VALU_DEP_3) | instskip(SKIP_1) | instid1(VALU_DEP_4)
	v_lshrrev_b32_e32 v51, v49, v39
	v_lshlrev_b32_e64 v102, v49, 0x80000
	v_add_nc_u32_e32 v49, v49, v38
	s_delay_alu instid0(VALU_DEP_4) | instskip(NEXT) | instid1(VALU_DEP_4)
	v_and_b32_e32 v39, v50, v39
	v_bfe_u32 v101, v51, 20, 1
	s_delay_alu instid0(VALU_DEP_2) | instskip(NEXT) | instid1(VALU_DEP_2)
	v_cmp_eq_u32_e64 s14, v39, v102
	v_add_nc_u32_e32 v50, -1, v101
	s_delay_alu instid0(VALU_DEP_1) | instskip(SKIP_2) | instid1(VALU_DEP_2)
	v_cndmask_b32_e64 v39, 0, v50, s14
	v_lshrrev_b32_e32 v50, 23, v51
	s_mov_b32 s14, exec_lo
	v_add_nc_u32_e32 v39, v39, v51
	s_delay_alu instid0(VALU_DEP_2) | instskip(NEXT) | instid1(VALU_DEP_2)
	v_xor_b32_e32 v50, 1, v50
	v_and_b32_e32 v38, 0xfffff, v39
	s_delay_alu instid0(VALU_DEP_1) | instskip(NEXT) | instid1(VALU_DEP_3)
	v_add_nc_u32_e32 v39, v38, v51
                                        ; implicit-def: $vgpr38
	v_cmpx_ne_u32_e64 v49, v50
	s_xor_b32 s14, exec_lo, s14
; %bb.14145:                            ;   in Loop: Header=BB6_13744 Depth=3
	s_delay_alu instid0(VALU_DEP_2) | instskip(SKIP_2) | instid1(VALU_DEP_2)
	v_cmp_lt_u32_e32 vcc_lo, 0xffffff, v39
	v_sub_nc_u32_e32 v38, v49, v50
	v_cndmask_b32_e64 v49, 0, 1, vcc_lo
	v_add_co_ci_u32_e32 v38, vcc_lo, 0, v38, vcc_lo
	s_delay_alu instid0(VALU_DEP_2)
	v_lshrrev_b32_e32 v39, v49, v39
; %bb.14146:                            ;   in Loop: Header=BB6_13744 Depth=3
	s_and_not1_saveexec_b32 s14, s14
; %bb.14147:                            ;   in Loop: Header=BB6_13744 Depth=3
	s_delay_alu instid0(VALU_DEP_1)
	v_bfe_u32 v38, v39, 23, 1
; %bb.14148:                            ;   in Loop: Header=BB6_13744 Depth=3
	s_or_b32 exec_lo, exec_lo, s14
	v_lshrrev_b32_e32 v39, 20, v39
	s_delay_alu instid0(VALU_DEP_2) | instskip(SKIP_2) | instid1(VALU_DEP_2)
	v_cmp_gt_i32_e32 vcc_lo, 16, v38
	v_lshrrev_b32_e32 v48, 24, v48
	v_min_i32_e32 v49, 15, v38
	v_dual_cndmask_b32 v39, 7, v39 :: v_dual_and_b32 v48, 0x80, v48
	s_delay_alu instid0(VALU_DEP_1) | instskip(SKIP_1) | instid1(VALU_DEP_2)
	v_or_b32_e32 v38, v38, v39
	v_and_b32_e32 v50, 7, v39
	v_cmp_ne_u32_e32 vcc_lo, 0, v38
	v_lshlrev_b32_e32 v49, 3, v49
	s_delay_alu instid0(VALU_DEP_1) | instskip(NEXT) | instid1(VALU_DEP_1)
	v_or3_b32 v39, v49, v48, v50
	v_cndmask_b32_e32 v38, 0, v39, vcc_lo
.LBB6_14149:                            ;   in Loop: Header=BB6_13744 Depth=3
	s_or_b32 exec_lo, exec_lo, s35
.LBB6_14150:                            ;   in Loop: Header=BB6_13744 Depth=3
	s_delay_alu instid0(SALU_CYCLE_1)
	s_or_b32 exec_lo, exec_lo, s34
	v_lshrrev_b32_e32 v48, 16, v15
	v_lshrrev_b32_e32 v39, 16, v11
	s_and_b32 vcc_lo, exec_lo, s31
	s_cbranch_vccz .LBB6_14160
; %bb.14151:                            ;   in Loop: Header=BB6_13744 Depth=3
	s_delay_alu instid0(VALU_DEP_2) | instskip(SKIP_2) | instid1(VALU_DEP_1)
	v_and_b32_e32 v50, 0xff, v48
	s_mov_b32 s14, 0
	s_mov_b32 s35, exec_lo
                                        ; implicit-def: $sgpr34
	v_cmpx_lt_i16_e32 0x7f, v50
	s_xor_b32 s35, exec_lo, s35
	s_cbranch_execnz .LBB6_14430
; %bb.14152:                            ;   in Loop: Header=BB6_13744 Depth=3
	s_or_saveexec_b32 s35, s35
	v_mov_b32_e32 v49, s34
	s_xor_b32 exec_lo, exec_lo, s35
	s_cbranch_execnz .LBB6_14433
.LBB6_14153:                            ;   in Loop: Header=BB6_13744 Depth=3
	s_or_b32 exec_lo, exec_lo, s35
	s_and_saveexec_b32 s34, s14
	s_cbranch_execz .LBB6_14155
.LBB6_14154:                            ;   in Loop: Header=BB6_13744 Depth=3
	v_bfe_u32 v49, v15, 16, 3
	v_bfe_u32 v101, v15, 19, 4
	s_delay_alu instid0(VALU_DEP_2) | instskip(NEXT) | instid1(VALU_DEP_2)
	v_clz_i32_u32_e32 v50, v49
	v_cmp_eq_u32_e32 vcc_lo, 0, v101
	s_delay_alu instid0(VALU_DEP_2) | instskip(NEXT) | instid1(VALU_DEP_1)
	v_min_u32_e32 v50, 32, v50
	v_subrev_nc_u32_e32 v51, 28, v50
	v_sub_nc_u32_e32 v50, 29, v50
	s_delay_alu instid0(VALU_DEP_1) | instskip(NEXT) | instid1(VALU_DEP_1)
	v_dual_cndmask_b32 v50, v101, v50 :: v_dual_lshlrev_b32 v51, v51, v48
	v_and_b32_e32 v51, 7, v51
	v_lshlrev_b32_e32 v102, 24, v48
	s_delay_alu instid0(VALU_DEP_3) | instskip(NEXT) | instid1(VALU_DEP_3)
	v_lshl_add_u32 v50, v50, 23, 0x3b800000
	v_cndmask_b32_e32 v49, v49, v51, vcc_lo
	s_delay_alu instid0(VALU_DEP_3) | instskip(NEXT) | instid1(VALU_DEP_2)
	v_and_b32_e32 v51, 0x80000000, v102
	v_lshlrev_b32_e32 v49, 20, v49
	s_delay_alu instid0(VALU_DEP_1)
	v_or3_b32 v49, v51, v50, v49
.LBB6_14155:                            ;   in Loop: Header=BB6_13744 Depth=3
	s_or_b32 exec_lo, exec_lo, s34
	v_and_b32_e32 v51, 0xff, v39
	s_mov_b32 s14, 0
	s_mov_b32 s35, exec_lo
                                        ; implicit-def: $sgpr34
	s_delay_alu instid0(VALU_DEP_1)
	v_cmpx_lt_i16_e32 0x7f, v51
	s_xor_b32 s35, exec_lo, s35
	s_cbranch_execnz .LBB6_14434
; %bb.14156:                            ;   in Loop: Header=BB6_13744 Depth=3
	s_or_saveexec_b32 s35, s35
	v_mov_b32_e32 v50, s34
	s_xor_b32 exec_lo, exec_lo, s35
	s_cbranch_execnz .LBB6_14437
.LBB6_14157:                            ;   in Loop: Header=BB6_13744 Depth=3
	s_or_b32 exec_lo, exec_lo, s35
	s_and_saveexec_b32 s34, s14
	s_cbranch_execz .LBB6_14159
.LBB6_14158:                            ;   in Loop: Header=BB6_13744 Depth=3
	v_bfe_u32 v50, v11, 16, 3
	v_bfe_u32 v102, v11, 19, 4
	v_lshlrev_b32_e32 v112, 24, v39
	s_delay_alu instid0(VALU_DEP_3) | instskip(NEXT) | instid1(VALU_DEP_3)
	v_clz_i32_u32_e32 v51, v50
	v_cmp_eq_u32_e32 vcc_lo, 0, v102
	s_delay_alu instid0(VALU_DEP_2) | instskip(NEXT) | instid1(VALU_DEP_1)
	v_min_u32_e32 v51, 32, v51
	v_subrev_nc_u32_e32 v101, 28, v51
	v_sub_nc_u32_e32 v51, 29, v51
	s_delay_alu instid0(VALU_DEP_2) | instskip(NEXT) | instid1(VALU_DEP_1)
	v_lshlrev_b32_e32 v101, v101, v39
	v_and_b32_e32 v101, 7, v101
	s_delay_alu instid0(VALU_DEP_1) | instskip(NEXT) | instid1(VALU_DEP_1)
	v_dual_cndmask_b32 v50, v50, v101 :: v_dual_and_b32 v101, 0x80000000, v112
	v_dual_cndmask_b32 v51, v102, v51 :: v_dual_lshlrev_b32 v50, 20, v50
	s_delay_alu instid0(VALU_DEP_1) | instskip(NEXT) | instid1(VALU_DEP_1)
	v_lshl_add_u32 v51, v51, 23, 0x3b800000
	v_or3_b32 v50, v101, v51, v50
.LBB6_14159:                            ;   in Loop: Header=BB6_13744 Depth=3
	s_or_b32 exec_lo, exec_lo, s34
	s_delay_alu instid0(VALU_DEP_1) | instskip(SKIP_1) | instid1(VALU_DEP_1)
	v_dual_max_f32 v50, v50, v50 :: v_dual_max_f32 v49, v49, v49
	s_mov_b32 s14, 0
	v_max_f32_e32 v49, v49, v50
	s_branch .LBB6_14161
.LBB6_14160:                            ;   in Loop: Header=BB6_13744 Depth=3
	s_mov_b32 s14, -1
                                        ; implicit-def: $vgpr49
.LBB6_14161:                            ;   in Loop: Header=BB6_13744 Depth=3
	s_delay_alu instid0(SALU_CYCLE_1)
	s_and_b32 vcc_lo, exec_lo, s14
	s_cbranch_vccz .LBB6_14171
; %bb.14162:                            ;   in Loop: Header=BB6_13744 Depth=3
	v_and_b32_e32 v50, 0xff, v48
	s_mov_b32 s14, 0
	s_mov_b32 s35, exec_lo
                                        ; implicit-def: $sgpr34
	s_delay_alu instid0(VALU_DEP_1)
	v_cmpx_lt_i16_e32 0x7f, v50
	s_xor_b32 s35, exec_lo, s35
	s_cbranch_execnz .LBB6_14438
; %bb.14163:                            ;   in Loop: Header=BB6_13744 Depth=3
	s_or_saveexec_b32 s35, s35
	v_mov_b32_e32 v49, s34
	s_xor_b32 exec_lo, exec_lo, s35
	s_cbranch_execnz .LBB6_14441
.LBB6_14164:                            ;   in Loop: Header=BB6_13744 Depth=3
	s_or_b32 exec_lo, exec_lo, s35
	s_and_saveexec_b32 s34, s14
	s_cbranch_execz .LBB6_14166
.LBB6_14165:                            ;   in Loop: Header=BB6_13744 Depth=3
	v_bfe_u32 v49, v15, 16, 3
	v_bfe_u32 v101, v15, 19, 4
	s_delay_alu instid0(VALU_DEP_2) | instskip(NEXT) | instid1(VALU_DEP_2)
	v_clz_i32_u32_e32 v50, v49
	v_cmp_eq_u32_e32 vcc_lo, 0, v101
	s_delay_alu instid0(VALU_DEP_2) | instskip(NEXT) | instid1(VALU_DEP_1)
	v_min_u32_e32 v50, 32, v50
	v_subrev_nc_u32_e32 v51, 28, v50
	v_sub_nc_u32_e32 v50, 29, v50
	s_delay_alu instid0(VALU_DEP_1) | instskip(NEXT) | instid1(VALU_DEP_1)
	v_dual_cndmask_b32 v50, v101, v50 :: v_dual_lshlrev_b32 v51, v51, v48
	v_and_b32_e32 v51, 7, v51
	v_lshlrev_b32_e32 v48, 24, v48
	s_delay_alu instid0(VALU_DEP_3) | instskip(NEXT) | instid1(VALU_DEP_2)
	v_lshl_add_u32 v50, v50, 23, 0x3b800000
	v_dual_cndmask_b32 v49, v49, v51 :: v_dual_and_b32 v48, 0x80000000, v48
	s_delay_alu instid0(VALU_DEP_1) | instskip(NEXT) | instid1(VALU_DEP_1)
	v_lshlrev_b32_e32 v49, 20, v49
	v_or3_b32 v49, v48, v50, v49
.LBB6_14166:                            ;   in Loop: Header=BB6_13744 Depth=3
	s_or_b32 exec_lo, exec_lo, s34
	v_and_b32_e32 v50, 0xff, v39
	s_mov_b32 s14, 0
	s_mov_b32 s35, exec_lo
                                        ; implicit-def: $sgpr34
	s_delay_alu instid0(VALU_DEP_1)
	v_cmpx_lt_i16_e32 0x7f, v50
	s_xor_b32 s35, exec_lo, s35
	s_cbranch_execnz .LBB6_14442
; %bb.14167:                            ;   in Loop: Header=BB6_13744 Depth=3
	s_or_saveexec_b32 s35, s35
	v_mov_b32_e32 v48, s34
	s_xor_b32 exec_lo, exec_lo, s35
	s_cbranch_execnz .LBB6_14445
.LBB6_14168:                            ;   in Loop: Header=BB6_13744 Depth=3
	s_or_b32 exec_lo, exec_lo, s35
	s_and_saveexec_b32 s34, s14
	s_cbranch_execz .LBB6_14170
.LBB6_14169:                            ;   in Loop: Header=BB6_13744 Depth=3
	v_bfe_u32 v48, v11, 16, 3
	v_bfe_u32 v101, v11, 19, 4
	s_delay_alu instid0(VALU_DEP_2) | instskip(NEXT) | instid1(VALU_DEP_2)
	v_clz_i32_u32_e32 v50, v48
	v_cmp_eq_u32_e32 vcc_lo, 0, v101
	s_delay_alu instid0(VALU_DEP_2) | instskip(NEXT) | instid1(VALU_DEP_1)
	v_min_u32_e32 v50, 32, v50
	v_subrev_nc_u32_e32 v51, 28, v50
	v_sub_nc_u32_e32 v50, 29, v50
	s_delay_alu instid0(VALU_DEP_1) | instskip(SKIP_1) | instid1(VALU_DEP_2)
	v_dual_cndmask_b32 v50, v101, v50 :: v_dual_lshlrev_b32 v51, v51, v39
	v_lshlrev_b32_e32 v39, 24, v39
	v_and_b32_e32 v51, 7, v51
	s_delay_alu instid0(VALU_DEP_3) | instskip(NEXT) | instid1(VALU_DEP_3)
	v_lshl_add_u32 v50, v50, 23, 0x3b800000
	v_and_b32_e32 v39, 0x80000000, v39
	s_delay_alu instid0(VALU_DEP_3) | instskip(NEXT) | instid1(VALU_DEP_1)
	v_cndmask_b32_e32 v48, v48, v51, vcc_lo
	v_lshlrev_b32_e32 v48, 20, v48
	s_delay_alu instid0(VALU_DEP_1)
	v_or3_b32 v48, v39, v50, v48
.LBB6_14170:                            ;   in Loop: Header=BB6_13744 Depth=3
	s_or_b32 exec_lo, exec_lo, s34
	s_delay_alu instid0(VALU_DEP_1) | instskip(NEXT) | instid1(VALU_DEP_1)
	v_dual_max_f32 v39, v48, v48 :: v_dual_max_f32 v48, v49, v49
	v_min_f32_e32 v49, v48, v39
.LBB6_14171:                            ;   in Loop: Header=BB6_13744 Depth=3
	s_delay_alu instid0(VALU_DEP_1) | instskip(NEXT) | instid1(VALU_DEP_1)
	v_and_b32_e32 v39, 0x7f800000, v49
	v_cmp_ne_u32_e32 vcc_lo, 0x7f800000, v39
	v_mov_b32_e32 v39, 0x80
	s_and_saveexec_b32 s34, vcc_lo
	s_cbranch_execz .LBB6_14179
; %bb.14172:                            ;   in Loop: Header=BB6_13744 Depth=3
	v_mov_b32_e32 v39, 0
	s_mov_b32 s35, exec_lo
	v_cmpx_ne_u32_e32 0, v49
	s_cbranch_execz .LBB6_14178
; %bb.14173:                            ;   in Loop: Header=BB6_13744 Depth=3
	v_bfe_u32 v39, v49, 23, 8
	v_and_b32_e32 v48, 0x7fffff, v49
	s_delay_alu instid0(VALU_DEP_2) | instskip(SKIP_1) | instid1(VALU_DEP_3)
	v_sub_nc_u32_e32 v50, 0x78, v39
	v_cmp_gt_u32_e32 vcc_lo, 0x79, v39
	v_or_b32_e32 v51, 0x800000, v48
	s_delay_alu instid0(VALU_DEP_3) | instskip(SKIP_2) | instid1(VALU_DEP_3)
	v_cndmask_b32_e32 v50, 0, v50, vcc_lo
	v_cmp_eq_u32_e32 vcc_lo, 0, v39
	v_add_nc_u32_e32 v39, 0xffffff89, v39
	v_cndmask_b32_e64 v50, v50, 0x77, vcc_lo
	v_cndmask_b32_e32 v48, v51, v48, vcc_lo
	s_delay_alu instid0(VALU_DEP_3) | instskip(NEXT) | instid1(VALU_DEP_3)
	v_cndmask_b32_e64 v39, v39, 0xffffff8a, vcc_lo
	v_lshl_add_u32 v51, 0x100000, v50, -1
	s_delay_alu instid0(VALU_DEP_3) | instskip(SKIP_1) | instid1(VALU_DEP_4)
	v_lshrrev_b32_e32 v101, v50, v48
	v_lshlrev_b32_e64 v112, v50, 0x80000
	v_add_nc_u32_e32 v50, v50, v39
	s_delay_alu instid0(VALU_DEP_4) | instskip(NEXT) | instid1(VALU_DEP_4)
	v_and_b32_e32 v48, v51, v48
	v_bfe_u32 v102, v101, 20, 1
	s_delay_alu instid0(VALU_DEP_2) | instskip(NEXT) | instid1(VALU_DEP_2)
	v_cmp_eq_u32_e64 s14, v48, v112
	v_add_nc_u32_e32 v51, -1, v102
	s_delay_alu instid0(VALU_DEP_1) | instskip(SKIP_2) | instid1(VALU_DEP_2)
	v_cndmask_b32_e64 v48, 0, v51, s14
	v_lshrrev_b32_e32 v51, 23, v101
	s_mov_b32 s14, exec_lo
	v_add_nc_u32_e32 v48, v48, v101
	s_delay_alu instid0(VALU_DEP_2) | instskip(NEXT) | instid1(VALU_DEP_2)
	v_xor_b32_e32 v51, 1, v51
	v_and_b32_e32 v39, 0xfffff, v48
	s_delay_alu instid0(VALU_DEP_1) | instskip(NEXT) | instid1(VALU_DEP_3)
	v_add_nc_u32_e32 v48, v39, v101
                                        ; implicit-def: $vgpr39
	v_cmpx_ne_u32_e64 v50, v51
	s_xor_b32 s14, exec_lo, s14
; %bb.14174:                            ;   in Loop: Header=BB6_13744 Depth=3
	s_delay_alu instid0(VALU_DEP_2) | instskip(SKIP_2) | instid1(VALU_DEP_2)
	v_cmp_lt_u32_e32 vcc_lo, 0xffffff, v48
	v_sub_nc_u32_e32 v39, v50, v51
	v_cndmask_b32_e64 v50, 0, 1, vcc_lo
	v_add_co_ci_u32_e32 v39, vcc_lo, 0, v39, vcc_lo
	s_delay_alu instid0(VALU_DEP_2)
	v_lshrrev_b32_e32 v48, v50, v48
; %bb.14175:                            ;   in Loop: Header=BB6_13744 Depth=3
	s_and_not1_saveexec_b32 s14, s14
; %bb.14176:                            ;   in Loop: Header=BB6_13744 Depth=3
	s_delay_alu instid0(VALU_DEP_1)
	v_bfe_u32 v39, v48, 23, 1
; %bb.14177:                            ;   in Loop: Header=BB6_13744 Depth=3
	s_or_b32 exec_lo, exec_lo, s14
	v_lshrrev_b32_e32 v48, 20, v48
	s_delay_alu instid0(VALU_DEP_2) | instskip(SKIP_2) | instid1(VALU_DEP_2)
	v_cmp_gt_i32_e32 vcc_lo, 16, v39
	v_lshrrev_b32_e32 v49, 24, v49
	v_min_i32_e32 v50, 15, v39
	v_dual_cndmask_b32 v48, 7, v48 :: v_dual_and_b32 v49, 0x80, v49
	s_delay_alu instid0(VALU_DEP_1) | instskip(SKIP_1) | instid1(VALU_DEP_2)
	v_or_b32_e32 v39, v39, v48
	v_and_b32_e32 v51, 7, v48
	v_cmp_ne_u32_e32 vcc_lo, 0, v39
	v_lshlrev_b32_e32 v50, 3, v50
	s_delay_alu instid0(VALU_DEP_1) | instskip(NEXT) | instid1(VALU_DEP_1)
	v_and_b32_e32 v50, 0xf8, v50
	v_or3_b32 v48, v50, v49, v51
	s_delay_alu instid0(VALU_DEP_1)
	v_cndmask_b32_e32 v39, 0, v48, vcc_lo
.LBB6_14178:                            ;   in Loop: Header=BB6_13744 Depth=3
	s_or_b32 exec_lo, exec_lo, s35
.LBB6_14179:                            ;   in Loop: Header=BB6_13744 Depth=3
	s_delay_alu instid0(SALU_CYCLE_1)
	s_or_b32 exec_lo, exec_lo, s34
	v_lshrrev_b32_e32 v49, 24, v15
	v_lshrrev_b32_e32 v48, 24, v11
	s_and_b32 vcc_lo, exec_lo, s31
	s_cbranch_vccz .LBB6_14189
; %bb.14180:                            ;   in Loop: Header=BB6_13744 Depth=3
	s_mov_b32 s14, 0
	s_mov_b32 s35, exec_lo
                                        ; implicit-def: $sgpr34
	v_cmpx_lt_i16_e32 0x7f, v49
	s_xor_b32 s35, exec_lo, s35
	s_cbranch_execnz .LBB6_14446
; %bb.14181:                            ;   in Loop: Header=BB6_13744 Depth=3
	s_or_saveexec_b32 s35, s35
	v_mov_b32_e32 v50, s34
	s_xor_b32 exec_lo, exec_lo, s35
	s_cbranch_execnz .LBB6_14449
.LBB6_14182:                            ;   in Loop: Header=BB6_13744 Depth=3
	s_or_b32 exec_lo, exec_lo, s35
	s_and_saveexec_b32 s34, s14
	s_cbranch_execz .LBB6_14184
.LBB6_14183:                            ;   in Loop: Header=BB6_13744 Depth=3
	v_bfe_u32 v50, v15, 24, 3
	v_bfe_u32 v102, v15, 27, 4
	s_delay_alu instid0(VALU_DEP_2) | instskip(NEXT) | instid1(VALU_DEP_2)
	v_clz_i32_u32_e32 v51, v50
	v_cmp_eq_u32_e32 vcc_lo, 0, v102
	s_delay_alu instid0(VALU_DEP_2) | instskip(NEXT) | instid1(VALU_DEP_1)
	v_min_u32_e32 v51, 32, v51
	v_subrev_nc_u32_e32 v101, 28, v51
	v_sub_nc_u32_e32 v51, 29, v51
	s_delay_alu instid0(VALU_DEP_2) | instskip(NEXT) | instid1(VALU_DEP_1)
	v_lshlrev_b32_e32 v101, v101, v49
	v_and_b32_e32 v101, 7, v101
	s_delay_alu instid0(VALU_DEP_1) | instskip(NEXT) | instid1(VALU_DEP_1)
	v_dual_cndmask_b32 v50, v50, v101 :: v_dual_and_b32 v101, 0x80000000, v15
	v_dual_cndmask_b32 v51, v102, v51 :: v_dual_lshlrev_b32 v50, 20, v50
	s_delay_alu instid0(VALU_DEP_1) | instskip(NEXT) | instid1(VALU_DEP_1)
	v_lshl_add_u32 v51, v51, 23, 0x3b800000
	v_or3_b32 v50, v101, v51, v50
.LBB6_14184:                            ;   in Loop: Header=BB6_13744 Depth=3
	s_or_b32 exec_lo, exec_lo, s34
	s_mov_b32 s14, 0
	s_mov_b32 s35, exec_lo
                                        ; implicit-def: $sgpr34
	v_cmpx_lt_i16_e32 0x7f, v48
	s_xor_b32 s35, exec_lo, s35
	s_cbranch_execnz .LBB6_14450
; %bb.14185:                            ;   in Loop: Header=BB6_13744 Depth=3
	s_or_saveexec_b32 s35, s35
	v_mov_b32_e32 v51, s34
	s_xor_b32 exec_lo, exec_lo, s35
	s_cbranch_execnz .LBB6_14453
.LBB6_14186:                            ;   in Loop: Header=BB6_13744 Depth=3
	s_or_b32 exec_lo, exec_lo, s35
	s_and_saveexec_b32 s34, s14
	s_cbranch_execz .LBB6_14188
.LBB6_14187:                            ;   in Loop: Header=BB6_13744 Depth=3
	v_bfe_u32 v51, v11, 24, 3
	v_bfe_u32 v112, v11, 27, 4
	s_delay_alu instid0(VALU_DEP_2) | instskip(NEXT) | instid1(VALU_DEP_2)
	v_clz_i32_u32_e32 v101, v51
	v_cmp_eq_u32_e32 vcc_lo, 0, v112
	s_delay_alu instid0(VALU_DEP_2) | instskip(NEXT) | instid1(VALU_DEP_1)
	v_min_u32_e32 v101, 32, v101
	v_subrev_nc_u32_e32 v102, 28, v101
	v_sub_nc_u32_e32 v101, 29, v101
	s_delay_alu instid0(VALU_DEP_1) | instskip(NEXT) | instid1(VALU_DEP_1)
	v_dual_cndmask_b32 v101, v112, v101 :: v_dual_lshlrev_b32 v102, v102, v48
	v_and_b32_e32 v102, 7, v102
	s_delay_alu instid0(VALU_DEP_2) | instskip(NEXT) | instid1(VALU_DEP_2)
	v_lshl_add_u32 v101, v101, 23, 0x3b800000
	v_dual_cndmask_b32 v51, v51, v102 :: v_dual_and_b32 v102, 0x80000000, v11
	s_delay_alu instid0(VALU_DEP_1) | instskip(NEXT) | instid1(VALU_DEP_1)
	v_lshlrev_b32_e32 v51, 20, v51
	v_or3_b32 v51, v102, v101, v51
.LBB6_14188:                            ;   in Loop: Header=BB6_13744 Depth=3
	s_or_b32 exec_lo, exec_lo, s34
	s_delay_alu instid0(VALU_DEP_1) | instskip(SKIP_1) | instid1(VALU_DEP_1)
	v_dual_max_f32 v51, v51, v51 :: v_dual_max_f32 v50, v50, v50
	s_mov_b32 s14, 0
	v_max_f32_e32 v50, v50, v51
	s_branch .LBB6_14190
.LBB6_14189:                            ;   in Loop: Header=BB6_13744 Depth=3
	s_mov_b32 s14, -1
                                        ; implicit-def: $vgpr50
.LBB6_14190:                            ;   in Loop: Header=BB6_13744 Depth=3
	s_delay_alu instid0(SALU_CYCLE_1)
	s_and_b32 vcc_lo, exec_lo, s14
	s_cbranch_vccz .LBB6_14200
; %bb.14191:                            ;   in Loop: Header=BB6_13744 Depth=3
	s_mov_b32 s14, 0
	s_mov_b32 s35, exec_lo
                                        ; implicit-def: $sgpr34
	v_cmpx_lt_i16_e32 0x7f, v49
	s_xor_b32 s35, exec_lo, s35
	s_cbranch_execnz .LBB6_14454
; %bb.14192:                            ;   in Loop: Header=BB6_13744 Depth=3
	s_or_saveexec_b32 s35, s35
	v_mov_b32_e32 v50, s34
	s_xor_b32 exec_lo, exec_lo, s35
	s_cbranch_execnz .LBB6_14457
.LBB6_14193:                            ;   in Loop: Header=BB6_13744 Depth=3
	s_or_b32 exec_lo, exec_lo, s35
	s_and_saveexec_b32 s34, s14
	s_cbranch_execz .LBB6_14195
.LBB6_14194:                            ;   in Loop: Header=BB6_13744 Depth=3
	v_bfe_u32 v50, v15, 24, 3
	s_delay_alu instid0(VALU_DEP_1) | instskip(NEXT) | instid1(VALU_DEP_1)
	v_clz_i32_u32_e32 v51, v50
	v_min_u32_e32 v51, 32, v51
	s_delay_alu instid0(VALU_DEP_1) | instskip(SKIP_1) | instid1(VALU_DEP_2)
	v_subrev_nc_u32_e32 v101, 28, v51
	v_sub_nc_u32_e32 v51, 29, v51
	v_lshlrev_b32_e32 v49, v101, v49
	v_bfe_u32 v101, v15, 27, 4
	v_and_b32_e32 v15, 0x80000000, v15
	s_delay_alu instid0(VALU_DEP_3) | instskip(NEXT) | instid1(VALU_DEP_3)
	v_and_b32_e32 v49, 7, v49
	v_cmp_eq_u32_e32 vcc_lo, 0, v101
	v_cndmask_b32_e32 v51, v101, v51, vcc_lo
	s_delay_alu instid0(VALU_DEP_3) | instskip(NEXT) | instid1(VALU_DEP_2)
	v_cndmask_b32_e32 v49, v50, v49, vcc_lo
	v_lshl_add_u32 v50, v51, 23, 0x3b800000
	s_delay_alu instid0(VALU_DEP_2) | instskip(NEXT) | instid1(VALU_DEP_1)
	v_lshlrev_b32_e32 v49, 20, v49
	v_or3_b32 v50, v15, v50, v49
.LBB6_14195:                            ;   in Loop: Header=BB6_13744 Depth=3
	s_or_b32 exec_lo, exec_lo, s34
	s_mov_b32 s14, 0
	s_mov_b32 s35, exec_lo
                                        ; implicit-def: $sgpr34
	v_cmpx_lt_i16_e32 0x7f, v48
	s_xor_b32 s35, exec_lo, s35
	s_cbranch_execnz .LBB6_14458
; %bb.14196:                            ;   in Loop: Header=BB6_13744 Depth=3
	s_or_saveexec_b32 s35, s35
	v_mov_b32_e32 v15, s34
	s_xor_b32 exec_lo, exec_lo, s35
	s_cbranch_execnz .LBB6_14461
.LBB6_14197:                            ;   in Loop: Header=BB6_13744 Depth=3
	s_or_b32 exec_lo, exec_lo, s35
	s_and_saveexec_b32 s34, s14
	s_cbranch_execz .LBB6_14199
.LBB6_14198:                            ;   in Loop: Header=BB6_13744 Depth=3
	v_bfe_u32 v15, v11, 24, 3
	s_delay_alu instid0(VALU_DEP_1) | instskip(NEXT) | instid1(VALU_DEP_1)
	v_clz_i32_u32_e32 v49, v15
	v_min_u32_e32 v49, 32, v49
	s_delay_alu instid0(VALU_DEP_1) | instskip(SKIP_1) | instid1(VALU_DEP_2)
	v_subrev_nc_u32_e32 v51, 28, v49
	v_sub_nc_u32_e32 v49, 29, v49
	v_lshlrev_b32_e32 v48, v51, v48
	v_bfe_u32 v51, v11, 27, 4
	v_and_b32_e32 v11, 0x80000000, v11
	s_delay_alu instid0(VALU_DEP_2) | instskip(NEXT) | instid1(VALU_DEP_4)
	v_cmp_eq_u32_e32 vcc_lo, 0, v51
	v_dual_cndmask_b32 v49, v51, v49 :: v_dual_and_b32 v48, 7, v48
	s_delay_alu instid0(VALU_DEP_1) | instskip(NEXT) | instid1(VALU_DEP_2)
	v_cndmask_b32_e32 v15, v15, v48, vcc_lo
	v_lshl_add_u32 v48, v49, 23, 0x3b800000
	s_delay_alu instid0(VALU_DEP_2) | instskip(NEXT) | instid1(VALU_DEP_1)
	v_lshlrev_b32_e32 v15, 20, v15
	v_or3_b32 v15, v11, v48, v15
.LBB6_14199:                            ;   in Loop: Header=BB6_13744 Depth=3
	s_or_b32 exec_lo, exec_lo, s34
	s_delay_alu instid0(VALU_DEP_1) | instskip(SKIP_1) | instid1(VALU_DEP_1)
	v_max_f32_e32 v11, v15, v15
	v_max_f32_e32 v15, v50, v50
	v_min_f32_e32 v50, v15, v11
.LBB6_14200:                            ;   in Loop: Header=BB6_13744 Depth=3
	s_delay_alu instid0(VALU_DEP_1) | instskip(NEXT) | instid1(VALU_DEP_1)
	v_and_b32_e32 v11, 0x7f800000, v50
	v_cmp_ne_u32_e32 vcc_lo, 0x7f800000, v11
	v_mov_b32_e32 v11, 0x8000
	s_and_saveexec_b32 s34, vcc_lo
	s_cbranch_execz .LBB6_13743
; %bb.14201:                            ;   in Loop: Header=BB6_13744 Depth=3
	v_mov_b32_e32 v11, 0
	s_mov_b32 s35, exec_lo
	v_cmpx_ne_u32_e32 0, v50
	s_cbranch_execz .LBB6_13742
; %bb.14202:                            ;   in Loop: Header=BB6_13744 Depth=3
	v_bfe_u32 v11, v50, 23, 8
	s_delay_alu instid0(VALU_DEP_1) | instskip(SKIP_1) | instid1(VALU_DEP_2)
	v_sub_nc_u32_e32 v48, 0x78, v11
	v_cmp_gt_u32_e32 vcc_lo, 0x79, v11
	v_dual_cndmask_b32 v48, 0, v48 :: v_dual_and_b32 v15, 0x7fffff, v50
	s_delay_alu instid0(VALU_DEP_1) | instskip(SKIP_2) | instid1(VALU_DEP_4)
	v_or_b32_e32 v49, 0x800000, v15
	v_cmp_eq_u32_e32 vcc_lo, 0, v11
	v_add_nc_u32_e32 v11, 0xffffff89, v11
	v_cndmask_b32_e64 v48, v48, 0x77, vcc_lo
	s_delay_alu instid0(VALU_DEP_4) | instskip(NEXT) | instid1(VALU_DEP_3)
	v_cndmask_b32_e32 v15, v49, v15, vcc_lo
	v_cndmask_b32_e64 v11, v11, 0xffffff8a, vcc_lo
	s_delay_alu instid0(VALU_DEP_3) | instskip(NEXT) | instid1(VALU_DEP_3)
	v_lshl_add_u32 v49, 0x100000, v48, -1
	v_lshrrev_b32_e32 v51, v48, v15
	v_lshlrev_b32_e64 v102, v48, 0x80000
	s_delay_alu instid0(VALU_DEP_4) | instskip(NEXT) | instid1(VALU_DEP_4)
	v_add_nc_u32_e32 v48, v48, v11
	v_and_b32_e32 v15, v49, v15
	s_delay_alu instid0(VALU_DEP_4) | instskip(NEXT) | instid1(VALU_DEP_2)
	v_bfe_u32 v101, v51, 20, 1
	v_cmp_eq_u32_e64 s14, v15, v102
	s_delay_alu instid0(VALU_DEP_2) | instskip(NEXT) | instid1(VALU_DEP_1)
	v_add_nc_u32_e32 v49, -1, v101
	v_cndmask_b32_e64 v15, 0, v49, s14
	v_lshrrev_b32_e32 v49, 23, v51
	s_mov_b32 s14, exec_lo
	s_delay_alu instid0(VALU_DEP_2) | instskip(NEXT) | instid1(VALU_DEP_2)
	v_add_nc_u32_e32 v15, v15, v51
	v_xor_b32_e32 v49, 1, v49
	s_delay_alu instid0(VALU_DEP_2) | instskip(NEXT) | instid1(VALU_DEP_1)
	v_and_b32_e32 v11, 0xfffff, v15
	v_add_nc_u32_e32 v15, v11, v51
                                        ; implicit-def: $vgpr11
	s_delay_alu instid0(VALU_DEP_3)
	v_cmpx_ne_u32_e64 v48, v49
	s_xor_b32 s14, exec_lo, s14
; %bb.14203:                            ;   in Loop: Header=BB6_13744 Depth=3
	s_delay_alu instid0(VALU_DEP_2) | instskip(SKIP_2) | instid1(VALU_DEP_2)
	v_cmp_lt_u32_e32 vcc_lo, 0xffffff, v15
	v_sub_nc_u32_e32 v11, v48, v49
	v_cndmask_b32_e64 v48, 0, 1, vcc_lo
	v_add_co_ci_u32_e32 v11, vcc_lo, 0, v11, vcc_lo
	s_delay_alu instid0(VALU_DEP_2)
	v_lshrrev_b32_e32 v15, v48, v15
; %bb.14204:                            ;   in Loop: Header=BB6_13744 Depth=3
	s_and_not1_saveexec_b32 s14, s14
	s_cbranch_execz .LBB6_13741
; %bb.14205:                            ;   in Loop: Header=BB6_13744 Depth=3
	s_delay_alu instid0(VALU_DEP_1)
	v_bfe_u32 v11, v15, 23, 1
	s_branch .LBB6_13741
.LBB6_14206:                            ;   in Loop: Header=BB6_13744 Depth=3
	s_mov_b32 s14, -1
	s_mov_b32 s36, exec_lo
                                        ; implicit-def: $sgpr34
	v_cmpx_eq_u16_e32 0x80, v32
; %bb.14207:                            ;   in Loop: Header=BB6_13744 Depth=3
	s_mov_b32 s34, 0x7f800001
	s_xor_b32 s14, exec_lo, -1
; %bb.14208:                            ;   in Loop: Header=BB6_13744 Depth=3
	s_or_b32 exec_lo, exec_lo, s36
	s_delay_alu instid0(SALU_CYCLE_1)
	s_and_b32 s14, s14, exec_lo
                                        ; implicit-def: $vgpr32
	s_or_saveexec_b32 s35, s35
	v_mov_b32_e32 v27, s34
	s_xor_b32 exec_lo, exec_lo, s35
	s_cbranch_execz .LBB6_13747
.LBB6_14209:                            ;   in Loop: Header=BB6_13744 Depth=3
	v_cmp_ne_u16_e32 vcc_lo, 0, v32
	v_mov_b32_e32 v27, 0
	s_and_not1_b32 s14, s14, exec_lo
	s_and_b32 vcc_lo, vcc_lo, exec_lo
	s_delay_alu instid0(SALU_CYCLE_1)
	s_or_b32 s14, s14, vcc_lo
	s_or_b32 exec_lo, exec_lo, s35
	s_and_saveexec_b32 s34, s14
	s_cbranch_execnz .LBB6_13748
	s_branch .LBB6_13749
.LBB6_14210:                            ;   in Loop: Header=BB6_13744 Depth=3
	s_mov_b32 s14, -1
	s_mov_b32 s36, exec_lo
                                        ; implicit-def: $sgpr34
	v_cmpx_eq_u16_e32 0x80, v33
; %bb.14211:                            ;   in Loop: Header=BB6_13744 Depth=3
	s_mov_b32 s34, 0x7f800001
	s_xor_b32 s14, exec_lo, -1
; %bb.14212:                            ;   in Loop: Header=BB6_13744 Depth=3
	s_or_b32 exec_lo, exec_lo, s36
	s_delay_alu instid0(SALU_CYCLE_1)
	s_and_b32 s14, s14, exec_lo
                                        ; implicit-def: $vgpr33
	s_or_saveexec_b32 s35, s35
	v_mov_b32_e32 v32, s34
	s_xor_b32 exec_lo, exec_lo, s35
	s_cbranch_execz .LBB6_13751
.LBB6_14213:                            ;   in Loop: Header=BB6_13744 Depth=3
	v_cmp_ne_u16_e32 vcc_lo, 0, v33
	v_mov_b32_e32 v32, 0
	s_and_not1_b32 s14, s14, exec_lo
	s_and_b32 vcc_lo, vcc_lo, exec_lo
	s_delay_alu instid0(SALU_CYCLE_1)
	s_or_b32 s14, s14, vcc_lo
	s_or_b32 exec_lo, exec_lo, s35
	s_and_saveexec_b32 s34, s14
	s_cbranch_execnz .LBB6_13752
	s_branch .LBB6_13753
.LBB6_14214:                            ;   in Loop: Header=BB6_13744 Depth=3
	s_mov_b32 s14, -1
	s_mov_b32 s36, exec_lo
                                        ; implicit-def: $sgpr34
	v_cmpx_eq_u16_e32 0x80, v32
; %bb.14215:                            ;   in Loop: Header=BB6_13744 Depth=3
	s_mov_b32 s34, 0x7f800001
	s_xor_b32 s14, exec_lo, -1
; %bb.14216:                            ;   in Loop: Header=BB6_13744 Depth=3
	s_or_b32 exec_lo, exec_lo, s36
	s_delay_alu instid0(SALU_CYCLE_1)
	s_and_b32 s14, s14, exec_lo
                                        ; implicit-def: $vgpr32
	s_or_saveexec_b32 s35, s35
	v_mov_b32_e32 v27, s34
	s_xor_b32 exec_lo, exec_lo, s35
	s_cbranch_execz .LBB6_13758
.LBB6_14217:                            ;   in Loop: Header=BB6_13744 Depth=3
	v_cmp_ne_u16_e32 vcc_lo, 0, v32
	v_mov_b32_e32 v27, 0
	s_and_not1_b32 s14, s14, exec_lo
	s_and_b32 vcc_lo, vcc_lo, exec_lo
	s_delay_alu instid0(SALU_CYCLE_1)
	s_or_b32 s14, s14, vcc_lo
	s_or_b32 exec_lo, exec_lo, s35
	s_and_saveexec_b32 s34, s14
	s_cbranch_execnz .LBB6_13759
	s_branch .LBB6_13760
.LBB6_14218:                            ;   in Loop: Header=BB6_13744 Depth=3
	s_mov_b32 s14, -1
	s_mov_b32 s36, exec_lo
                                        ; implicit-def: $sgpr34
	v_cmpx_eq_u16_e32 0x80, v33
; %bb.14219:                            ;   in Loop: Header=BB6_13744 Depth=3
	s_mov_b32 s34, 0x7f800001
	s_xor_b32 s14, exec_lo, -1
; %bb.14220:                            ;   in Loop: Header=BB6_13744 Depth=3
	s_or_b32 exec_lo, exec_lo, s36
	s_delay_alu instid0(SALU_CYCLE_1)
	s_and_b32 s14, s14, exec_lo
                                        ; implicit-def: $vgpr33
	s_or_saveexec_b32 s35, s35
	v_mov_b32_e32 v32, s34
	s_xor_b32 exec_lo, exec_lo, s35
	s_cbranch_execz .LBB6_13762
.LBB6_14221:                            ;   in Loop: Header=BB6_13744 Depth=3
	v_cmp_ne_u16_e32 vcc_lo, 0, v33
	v_mov_b32_e32 v32, 0
	s_and_not1_b32 s14, s14, exec_lo
	s_and_b32 vcc_lo, vcc_lo, exec_lo
	s_delay_alu instid0(SALU_CYCLE_1)
	s_or_b32 s14, s14, vcc_lo
	s_or_b32 exec_lo, exec_lo, s35
	s_and_saveexec_b32 s34, s14
	s_cbranch_execnz .LBB6_13763
	s_branch .LBB6_13764
.LBB6_14222:                            ;   in Loop: Header=BB6_13744 Depth=3
	s_mov_b32 s14, -1
	s_mov_b32 s36, exec_lo
                                        ; implicit-def: $sgpr34
	v_cmpx_eq_u16_e32 0x80, v33
; %bb.14223:                            ;   in Loop: Header=BB6_13744 Depth=3
	s_mov_b32 s34, 0x7f800001
	s_xor_b32 s14, exec_lo, -1
; %bb.14224:                            ;   in Loop: Header=BB6_13744 Depth=3
	s_or_b32 exec_lo, exec_lo, s36
	s_delay_alu instid0(SALU_CYCLE_1)
	s_and_b32 s14, s14, exec_lo
	s_or_saveexec_b32 s35, s35
	v_mov_b32_e32 v34, s34
	s_xor_b32 exec_lo, exec_lo, s35
	s_cbranch_execz .LBB6_13776
.LBB6_14225:                            ;   in Loop: Header=BB6_13744 Depth=3
	v_cmp_ne_u16_e32 vcc_lo, 0, v33
	v_mov_b32_e32 v34, 0
	s_and_not1_b32 s14, s14, exec_lo
	s_and_b32 vcc_lo, vcc_lo, exec_lo
	s_delay_alu instid0(SALU_CYCLE_1)
	s_or_b32 s14, s14, vcc_lo
	s_or_b32 exec_lo, exec_lo, s35
	s_and_saveexec_b32 s34, s14
	s_cbranch_execnz .LBB6_13777
	s_branch .LBB6_13778
.LBB6_14226:                            ;   in Loop: Header=BB6_13744 Depth=3
	s_mov_b32 s14, -1
	s_mov_b32 s36, exec_lo
                                        ; implicit-def: $sgpr34
	v_cmpx_eq_u16_e32 0x80, v32
; %bb.14227:                            ;   in Loop: Header=BB6_13744 Depth=3
	s_mov_b32 s34, 0x7f800001
	s_xor_b32 s14, exec_lo, -1
; %bb.14228:                            ;   in Loop: Header=BB6_13744 Depth=3
	s_or_b32 exec_lo, exec_lo, s36
	s_delay_alu instid0(SALU_CYCLE_1)
	s_and_b32 s14, s14, exec_lo
	s_or_saveexec_b32 s35, s35
	v_mov_b32_e32 v35, s34
	s_xor_b32 exec_lo, exec_lo, s35
	s_cbranch_execz .LBB6_13780
.LBB6_14229:                            ;   in Loop: Header=BB6_13744 Depth=3
	v_cmp_ne_u16_e32 vcc_lo, 0, v32
	v_mov_b32_e32 v35, 0
	s_and_not1_b32 s14, s14, exec_lo
	s_and_b32 vcc_lo, vcc_lo, exec_lo
	s_delay_alu instid0(SALU_CYCLE_1)
	s_or_b32 s14, s14, vcc_lo
	s_or_b32 exec_lo, exec_lo, s35
	s_and_saveexec_b32 s34, s14
	s_cbranch_execnz .LBB6_13781
	s_branch .LBB6_13782
.LBB6_14230:                            ;   in Loop: Header=BB6_13744 Depth=3
	s_mov_b32 s14, -1
	s_mov_b32 s36, exec_lo
                                        ; implicit-def: $sgpr34
	v_cmpx_eq_u16_e32 0x80, v33
; %bb.14231:                            ;   in Loop: Header=BB6_13744 Depth=3
	s_mov_b32 s34, 0x7f800001
	s_xor_b32 s14, exec_lo, -1
; %bb.14232:                            ;   in Loop: Header=BB6_13744 Depth=3
	s_or_b32 exec_lo, exec_lo, s36
	s_delay_alu instid0(SALU_CYCLE_1)
	s_and_b32 s14, s14, exec_lo
	s_or_saveexec_b32 s35, s35
	v_mov_b32_e32 v34, s34
	s_xor_b32 exec_lo, exec_lo, s35
	s_cbranch_execz .LBB6_13787
.LBB6_14233:                            ;   in Loop: Header=BB6_13744 Depth=3
	v_cmp_ne_u16_e32 vcc_lo, 0, v33
	v_mov_b32_e32 v34, 0
	s_and_not1_b32 s14, s14, exec_lo
	s_and_b32 vcc_lo, vcc_lo, exec_lo
	s_delay_alu instid0(SALU_CYCLE_1)
	s_or_b32 s14, s14, vcc_lo
	s_or_b32 exec_lo, exec_lo, s35
	s_and_saveexec_b32 s34, s14
	s_cbranch_execnz .LBB6_13788
	s_branch .LBB6_13789
.LBB6_14234:                            ;   in Loop: Header=BB6_13744 Depth=3
	s_mov_b32 s14, -1
	s_mov_b32 s36, exec_lo
                                        ; implicit-def: $sgpr34
	v_cmpx_eq_u16_e32 0x80, v32
; %bb.14235:                            ;   in Loop: Header=BB6_13744 Depth=3
	s_mov_b32 s34, 0x7f800001
	s_xor_b32 s14, exec_lo, -1
; %bb.14236:                            ;   in Loop: Header=BB6_13744 Depth=3
	s_or_b32 exec_lo, exec_lo, s36
	s_delay_alu instid0(SALU_CYCLE_1)
	s_and_b32 s14, s14, exec_lo
	s_or_saveexec_b32 s35, s35
	v_mov_b32_e32 v33, s34
	s_xor_b32 exec_lo, exec_lo, s35
	s_cbranch_execz .LBB6_13791
.LBB6_14237:                            ;   in Loop: Header=BB6_13744 Depth=3
	v_cmp_ne_u16_e32 vcc_lo, 0, v32
	v_mov_b32_e32 v33, 0
	s_and_not1_b32 s14, s14, exec_lo
	s_and_b32 vcc_lo, vcc_lo, exec_lo
	s_delay_alu instid0(SALU_CYCLE_1)
	s_or_b32 s14, s14, vcc_lo
	s_or_b32 exec_lo, exec_lo, s35
	s_and_saveexec_b32 s34, s14
	s_cbranch_execnz .LBB6_13792
	s_branch .LBB6_13793
.LBB6_14238:                            ;   in Loop: Header=BB6_13744 Depth=3
	s_mov_b32 s14, -1
	s_mov_b32 s36, exec_lo
                                        ; implicit-def: $sgpr34
	v_cmpx_eq_u16_e32 0x80, v36
; %bb.14239:                            ;   in Loop: Header=BB6_13744 Depth=3
	s_mov_b32 s34, 0x7f800001
	s_xor_b32 s14, exec_lo, -1
; %bb.14240:                            ;   in Loop: Header=BB6_13744 Depth=3
	s_or_b32 exec_lo, exec_lo, s36
	s_delay_alu instid0(SALU_CYCLE_1)
	s_and_b32 s14, s14, exec_lo
                                        ; implicit-def: $vgpr36
	s_or_saveexec_b32 s35, s35
	v_mov_b32_e32 v35, s34
	s_xor_b32 exec_lo, exec_lo, s35
	s_cbranch_execz .LBB6_13805
.LBB6_14241:                            ;   in Loop: Header=BB6_13744 Depth=3
	v_cmp_ne_u16_e32 vcc_lo, 0, v36
	v_mov_b32_e32 v35, 0
	s_and_not1_b32 s14, s14, exec_lo
	s_and_b32 vcc_lo, vcc_lo, exec_lo
	s_delay_alu instid0(SALU_CYCLE_1)
	s_or_b32 s14, s14, vcc_lo
	s_or_b32 exec_lo, exec_lo, s35
	s_and_saveexec_b32 s34, s14
	s_cbranch_execnz .LBB6_13806
	s_branch .LBB6_13807
.LBB6_14242:                            ;   in Loop: Header=BB6_13744 Depth=3
	s_mov_b32 s14, -1
	s_mov_b32 s36, exec_lo
                                        ; implicit-def: $sgpr34
	v_cmpx_eq_u16_e32 0x80, v37
; %bb.14243:                            ;   in Loop: Header=BB6_13744 Depth=3
	s_mov_b32 s34, 0x7f800001
	s_xor_b32 s14, exec_lo, -1
; %bb.14244:                            ;   in Loop: Header=BB6_13744 Depth=3
	s_or_b32 exec_lo, exec_lo, s36
	s_delay_alu instid0(SALU_CYCLE_1)
	s_and_b32 s14, s14, exec_lo
                                        ; implicit-def: $vgpr37
	s_or_saveexec_b32 s35, s35
	v_mov_b32_e32 v36, s34
	s_xor_b32 exec_lo, exec_lo, s35
	s_cbranch_execz .LBB6_13809
.LBB6_14245:                            ;   in Loop: Header=BB6_13744 Depth=3
	v_cmp_ne_u16_e32 vcc_lo, 0, v37
	v_mov_b32_e32 v36, 0
	s_and_not1_b32 s14, s14, exec_lo
	s_and_b32 vcc_lo, vcc_lo, exec_lo
	s_delay_alu instid0(SALU_CYCLE_1)
	s_or_b32 s14, s14, vcc_lo
	s_or_b32 exec_lo, exec_lo, s35
	s_and_saveexec_b32 s34, s14
	s_cbranch_execnz .LBB6_13810
	s_branch .LBB6_13811
.LBB6_14246:                            ;   in Loop: Header=BB6_13744 Depth=3
	s_mov_b32 s14, -1
	s_mov_b32 s36, exec_lo
                                        ; implicit-def: $sgpr34
	v_cmpx_eq_u16_e32 0x80, v36
; %bb.14247:                            ;   in Loop: Header=BB6_13744 Depth=3
	s_mov_b32 s34, 0x7f800001
	s_xor_b32 s14, exec_lo, -1
; %bb.14248:                            ;   in Loop: Header=BB6_13744 Depth=3
	s_or_b32 exec_lo, exec_lo, s36
	s_delay_alu instid0(SALU_CYCLE_1)
	s_and_b32 s14, s14, exec_lo
                                        ; implicit-def: $vgpr36
	s_or_saveexec_b32 s35, s35
	v_mov_b32_e32 v35, s34
	s_xor_b32 exec_lo, exec_lo, s35
	s_cbranch_execz .LBB6_13816
.LBB6_14249:                            ;   in Loop: Header=BB6_13744 Depth=3
	v_cmp_ne_u16_e32 vcc_lo, 0, v36
	v_mov_b32_e32 v35, 0
	s_and_not1_b32 s14, s14, exec_lo
	s_and_b32 vcc_lo, vcc_lo, exec_lo
	s_delay_alu instid0(SALU_CYCLE_1)
	s_or_b32 s14, s14, vcc_lo
	s_or_b32 exec_lo, exec_lo, s35
	s_and_saveexec_b32 s34, s14
	s_cbranch_execnz .LBB6_13817
	s_branch .LBB6_13818
.LBB6_14250:                            ;   in Loop: Header=BB6_13744 Depth=3
	s_mov_b32 s14, -1
	s_mov_b32 s36, exec_lo
                                        ; implicit-def: $sgpr34
	v_cmpx_eq_u16_e32 0x80, v36
; %bb.14251:                            ;   in Loop: Header=BB6_13744 Depth=3
	s_mov_b32 s34, 0x7f800001
	s_xor_b32 s14, exec_lo, -1
; %bb.14252:                            ;   in Loop: Header=BB6_13744 Depth=3
	s_or_b32 exec_lo, exec_lo, s36
	s_delay_alu instid0(SALU_CYCLE_1)
	s_and_b32 s14, s14, exec_lo
                                        ; implicit-def: $vgpr36
	s_or_saveexec_b32 s35, s35
	v_mov_b32_e32 v34, s34
	s_xor_b32 exec_lo, exec_lo, s35
	s_cbranch_execz .LBB6_13820
.LBB6_14253:                            ;   in Loop: Header=BB6_13744 Depth=3
	v_cmp_ne_u16_e32 vcc_lo, 0, v36
	v_mov_b32_e32 v34, 0
	s_and_not1_b32 s14, s14, exec_lo
	s_and_b32 vcc_lo, vcc_lo, exec_lo
	s_delay_alu instid0(SALU_CYCLE_1)
	s_or_b32 s14, s14, vcc_lo
	s_or_b32 exec_lo, exec_lo, s35
	s_and_saveexec_b32 s34, s14
	s_cbranch_execnz .LBB6_13821
	s_branch .LBB6_13822
.LBB6_14254:                            ;   in Loop: Header=BB6_13744 Depth=3
	s_mov_b32 s14, -1
	s_mov_b32 s36, exec_lo
                                        ; implicit-def: $sgpr34
	v_cmpx_eq_u16_e32 0x80, v35
; %bb.14255:                            ;   in Loop: Header=BB6_13744 Depth=3
	s_mov_b32 s34, 0x7f800001
	s_xor_b32 s14, exec_lo, -1
; %bb.14256:                            ;   in Loop: Header=BB6_13744 Depth=3
	s_or_b32 exec_lo, exec_lo, s36
	s_delay_alu instid0(SALU_CYCLE_1)
	s_and_b32 s14, s14, exec_lo
	s_or_saveexec_b32 s35, s35
	v_mov_b32_e32 v36, s34
	s_xor_b32 exec_lo, exec_lo, s35
	s_cbranch_execz .LBB6_13834
.LBB6_14257:                            ;   in Loop: Header=BB6_13744 Depth=3
	v_cmp_ne_u16_e32 vcc_lo, 0, v35
	v_mov_b32_e32 v36, 0
	s_and_not1_b32 s14, s14, exec_lo
	s_and_b32 vcc_lo, vcc_lo, exec_lo
	s_delay_alu instid0(SALU_CYCLE_1)
	s_or_b32 s14, s14, vcc_lo
	s_or_b32 exec_lo, exec_lo, s35
	s_and_saveexec_b32 s34, s14
	s_cbranch_execnz .LBB6_13835
	s_branch .LBB6_13836
.LBB6_14258:                            ;   in Loop: Header=BB6_13744 Depth=3
	s_mov_b32 s14, -1
	s_mov_b32 s36, exec_lo
                                        ; implicit-def: $sgpr34
	v_cmpx_eq_u16_e32 0x80, v34
; %bb.14259:                            ;   in Loop: Header=BB6_13744 Depth=3
	s_mov_b32 s34, 0x7f800001
	s_xor_b32 s14, exec_lo, -1
; %bb.14260:                            ;   in Loop: Header=BB6_13744 Depth=3
	s_or_b32 exec_lo, exec_lo, s36
	s_delay_alu instid0(SALU_CYCLE_1)
	s_and_b32 s14, s14, exec_lo
	s_or_saveexec_b32 s35, s35
	v_mov_b32_e32 v37, s34
	s_xor_b32 exec_lo, exec_lo, s35
	s_cbranch_execz .LBB6_13838
.LBB6_14261:                            ;   in Loop: Header=BB6_13744 Depth=3
	v_cmp_ne_u16_e32 vcc_lo, 0, v34
	v_mov_b32_e32 v37, 0
	s_and_not1_b32 s14, s14, exec_lo
	s_and_b32 vcc_lo, vcc_lo, exec_lo
	s_delay_alu instid0(SALU_CYCLE_1)
	s_or_b32 s14, s14, vcc_lo
	s_or_b32 exec_lo, exec_lo, s35
	s_and_saveexec_b32 s34, s14
	s_cbranch_execnz .LBB6_13839
	s_branch .LBB6_13840
.LBB6_14262:                            ;   in Loop: Header=BB6_13744 Depth=3
	s_mov_b32 s14, -1
	s_mov_b32 s36, exec_lo
                                        ; implicit-def: $sgpr34
	v_cmpx_eq_u16_e32 0x80, v35
; %bb.14263:                            ;   in Loop: Header=BB6_13744 Depth=3
	s_mov_b32 s34, 0x7f800001
	s_xor_b32 s14, exec_lo, -1
; %bb.14264:                            ;   in Loop: Header=BB6_13744 Depth=3
	s_or_b32 exec_lo, exec_lo, s36
	s_delay_alu instid0(SALU_CYCLE_1)
	s_and_b32 s14, s14, exec_lo
	s_or_saveexec_b32 s35, s35
	v_mov_b32_e32 v36, s34
	s_xor_b32 exec_lo, exec_lo, s35
	s_cbranch_execz .LBB6_13845
.LBB6_14265:                            ;   in Loop: Header=BB6_13744 Depth=3
	v_cmp_ne_u16_e32 vcc_lo, 0, v35
	v_mov_b32_e32 v36, 0
	s_and_not1_b32 s14, s14, exec_lo
	s_and_b32 vcc_lo, vcc_lo, exec_lo
	s_delay_alu instid0(SALU_CYCLE_1)
	s_or_b32 s14, s14, vcc_lo
	s_or_b32 exec_lo, exec_lo, s35
	s_and_saveexec_b32 s34, s14
	s_cbranch_execnz .LBB6_13846
	s_branch .LBB6_13847
.LBB6_14266:                            ;   in Loop: Header=BB6_13744 Depth=3
	s_mov_b32 s14, -1
	s_mov_b32 s36, exec_lo
                                        ; implicit-def: $sgpr34
	v_cmpx_eq_u16_e32 0x80, v34
; %bb.14267:                            ;   in Loop: Header=BB6_13744 Depth=3
	s_mov_b32 s34, 0x7f800001
	s_xor_b32 s14, exec_lo, -1
; %bb.14268:                            ;   in Loop: Header=BB6_13744 Depth=3
	s_or_b32 exec_lo, exec_lo, s36
	s_delay_alu instid0(SALU_CYCLE_1)
	s_and_b32 s14, s14, exec_lo
	s_or_saveexec_b32 s35, s35
	v_mov_b32_e32 v12, s34
	s_xor_b32 exec_lo, exec_lo, s35
	s_cbranch_execz .LBB6_13849
.LBB6_14269:                            ;   in Loop: Header=BB6_13744 Depth=3
	v_cmp_ne_u16_e32 vcc_lo, 0, v34
	v_mov_b32_e32 v12, 0
	s_and_not1_b32 s14, s14, exec_lo
	s_and_b32 vcc_lo, vcc_lo, exec_lo
	s_delay_alu instid0(SALU_CYCLE_1)
	s_or_b32 s14, s14, vcc_lo
	s_or_b32 exec_lo, exec_lo, s35
	s_and_saveexec_b32 s34, s14
	s_cbranch_execnz .LBB6_13850
	s_branch .LBB6_13851
.LBB6_14270:                            ;   in Loop: Header=BB6_13744 Depth=3
	s_mov_b32 s14, -1
	s_mov_b32 s36, exec_lo
                                        ; implicit-def: $sgpr34
	v_cmpx_eq_u16_e32 0x80, v34
; %bb.14271:                            ;   in Loop: Header=BB6_13744 Depth=3
	s_mov_b32 s34, 0x7f800001
	s_xor_b32 s14, exec_lo, -1
; %bb.14272:                            ;   in Loop: Header=BB6_13744 Depth=3
	s_or_b32 exec_lo, exec_lo, s36
	s_delay_alu instid0(SALU_CYCLE_1)
	s_and_b32 s14, s14, exec_lo
                                        ; implicit-def: $vgpr34
	s_or_saveexec_b32 s35, s35
	v_mov_b32_e32 v12, s34
	s_xor_b32 exec_lo, exec_lo, s35
	s_cbranch_execz .LBB6_13863
.LBB6_14273:                            ;   in Loop: Header=BB6_13744 Depth=3
	v_cmp_ne_u16_e32 vcc_lo, 0, v34
	v_mov_b32_e32 v12, 0
	s_and_not1_b32 s14, s14, exec_lo
	s_and_b32 vcc_lo, vcc_lo, exec_lo
	s_delay_alu instid0(SALU_CYCLE_1)
	s_or_b32 s14, s14, vcc_lo
	s_or_b32 exec_lo, exec_lo, s35
	s_and_saveexec_b32 s34, s14
	s_cbranch_execnz .LBB6_13864
	s_branch .LBB6_13865
.LBB6_14274:                            ;   in Loop: Header=BB6_13744 Depth=3
	s_mov_b32 s14, -1
	s_mov_b32 s36, exec_lo
                                        ; implicit-def: $sgpr34
	v_cmpx_eq_u16_e32 0x80, v35
; %bb.14275:                            ;   in Loop: Header=BB6_13744 Depth=3
	s_mov_b32 s34, 0x7f800001
	s_xor_b32 s14, exec_lo, -1
; %bb.14276:                            ;   in Loop: Header=BB6_13744 Depth=3
	s_or_b32 exec_lo, exec_lo, s36
	s_delay_alu instid0(SALU_CYCLE_1)
	s_and_b32 s14, s14, exec_lo
                                        ; implicit-def: $vgpr35
	s_or_saveexec_b32 s35, s35
	v_mov_b32_e32 v34, s34
	s_xor_b32 exec_lo, exec_lo, s35
	s_cbranch_execz .LBB6_13867
.LBB6_14277:                            ;   in Loop: Header=BB6_13744 Depth=3
	v_cmp_ne_u16_e32 vcc_lo, 0, v35
	v_mov_b32_e32 v34, 0
	s_and_not1_b32 s14, s14, exec_lo
	s_and_b32 vcc_lo, vcc_lo, exec_lo
	s_delay_alu instid0(SALU_CYCLE_1)
	s_or_b32 s14, s14, vcc_lo
	s_or_b32 exec_lo, exec_lo, s35
	s_and_saveexec_b32 s34, s14
	s_cbranch_execnz .LBB6_13868
	s_branch .LBB6_13869
.LBB6_14278:                            ;   in Loop: Header=BB6_13744 Depth=3
	s_mov_b32 s14, -1
	s_mov_b32 s36, exec_lo
                                        ; implicit-def: $sgpr34
	v_cmpx_eq_u16_e32 0x80, v34
; %bb.14279:                            ;   in Loop: Header=BB6_13744 Depth=3
	s_mov_b32 s34, 0x7f800001
	s_xor_b32 s14, exec_lo, -1
; %bb.14280:                            ;   in Loop: Header=BB6_13744 Depth=3
	s_or_b32 exec_lo, exec_lo, s36
	s_delay_alu instid0(SALU_CYCLE_1)
	s_and_b32 s14, s14, exec_lo
                                        ; implicit-def: $vgpr34
	s_or_saveexec_b32 s35, s35
	v_mov_b32_e32 v12, s34
	s_xor_b32 exec_lo, exec_lo, s35
	s_cbranch_execz .LBB6_13874
.LBB6_14281:                            ;   in Loop: Header=BB6_13744 Depth=3
	v_cmp_ne_u16_e32 vcc_lo, 0, v34
	v_mov_b32_e32 v12, 0
	s_and_not1_b32 s14, s14, exec_lo
	s_and_b32 vcc_lo, vcc_lo, exec_lo
	s_delay_alu instid0(SALU_CYCLE_1)
	s_or_b32 s14, s14, vcc_lo
	s_or_b32 exec_lo, exec_lo, s35
	s_and_saveexec_b32 s34, s14
	s_cbranch_execnz .LBB6_13875
	s_branch .LBB6_13876
.LBB6_14282:                            ;   in Loop: Header=BB6_13744 Depth=3
	s_mov_b32 s14, -1
	s_mov_b32 s36, exec_lo
                                        ; implicit-def: $sgpr34
	v_cmpx_eq_u16_e32 0x80, v35
; %bb.14283:                            ;   in Loop: Header=BB6_13744 Depth=3
	s_mov_b32 s34, 0x7f800001
	s_xor_b32 s14, exec_lo, -1
; %bb.14284:                            ;   in Loop: Header=BB6_13744 Depth=3
	s_or_b32 exec_lo, exec_lo, s36
	s_delay_alu instid0(SALU_CYCLE_1)
	s_and_b32 s14, s14, exec_lo
                                        ; implicit-def: $vgpr35
	s_or_saveexec_b32 s35, s35
	v_mov_b32_e32 v34, s34
	s_xor_b32 exec_lo, exec_lo, s35
	s_cbranch_execz .LBB6_13878
.LBB6_14285:                            ;   in Loop: Header=BB6_13744 Depth=3
	v_cmp_ne_u16_e32 vcc_lo, 0, v35
	v_mov_b32_e32 v34, 0
	s_and_not1_b32 s14, s14, exec_lo
	s_and_b32 vcc_lo, vcc_lo, exec_lo
	s_delay_alu instid0(SALU_CYCLE_1)
	s_or_b32 s14, s14, vcc_lo
	s_or_b32 exec_lo, exec_lo, s35
	s_and_saveexec_b32 s34, s14
	s_cbranch_execnz .LBB6_13879
	s_branch .LBB6_13880
.LBB6_14286:                            ;   in Loop: Header=BB6_13744 Depth=3
	s_mov_b32 s14, -1
	s_mov_b32 s36, exec_lo
                                        ; implicit-def: $sgpr34
	v_cmpx_eq_u16_e32 0x80, v35
; %bb.14287:                            ;   in Loop: Header=BB6_13744 Depth=3
	s_mov_b32 s34, 0x7f800001
	s_xor_b32 s14, exec_lo, -1
; %bb.14288:                            ;   in Loop: Header=BB6_13744 Depth=3
	s_or_b32 exec_lo, exec_lo, s36
	s_delay_alu instid0(SALU_CYCLE_1)
	s_and_b32 s14, s14, exec_lo
	s_or_saveexec_b32 s35, s35
	v_mov_b32_e32 v36, s34
	s_xor_b32 exec_lo, exec_lo, s35
	s_cbranch_execz .LBB6_13892
.LBB6_14289:                            ;   in Loop: Header=BB6_13744 Depth=3
	v_cmp_ne_u16_e32 vcc_lo, 0, v35
	v_mov_b32_e32 v36, 0
	s_and_not1_b32 s14, s14, exec_lo
	s_and_b32 vcc_lo, vcc_lo, exec_lo
	s_delay_alu instid0(SALU_CYCLE_1)
	s_or_b32 s14, s14, vcc_lo
	s_or_b32 exec_lo, exec_lo, s35
	s_and_saveexec_b32 s34, s14
	s_cbranch_execnz .LBB6_13893
	s_branch .LBB6_13894
.LBB6_14290:                            ;   in Loop: Header=BB6_13744 Depth=3
	s_mov_b32 s14, -1
	s_mov_b32 s36, exec_lo
                                        ; implicit-def: $sgpr34
	v_cmpx_eq_u16_e32 0x80, v34
; %bb.14291:                            ;   in Loop: Header=BB6_13744 Depth=3
	s_mov_b32 s34, 0x7f800001
	s_xor_b32 s14, exec_lo, -1
; %bb.14292:                            ;   in Loop: Header=BB6_13744 Depth=3
	s_or_b32 exec_lo, exec_lo, s36
	s_delay_alu instid0(SALU_CYCLE_1)
	s_and_b32 s14, s14, exec_lo
	s_or_saveexec_b32 s35, s35
	v_mov_b32_e32 v37, s34
	s_xor_b32 exec_lo, exec_lo, s35
	s_cbranch_execz .LBB6_13896
.LBB6_14293:                            ;   in Loop: Header=BB6_13744 Depth=3
	v_cmp_ne_u16_e32 vcc_lo, 0, v34
	v_mov_b32_e32 v37, 0
	s_and_not1_b32 s14, s14, exec_lo
	s_and_b32 vcc_lo, vcc_lo, exec_lo
	s_delay_alu instid0(SALU_CYCLE_1)
	s_or_b32 s14, s14, vcc_lo
	s_or_b32 exec_lo, exec_lo, s35
	s_and_saveexec_b32 s34, s14
	s_cbranch_execnz .LBB6_13897
	s_branch .LBB6_13898
.LBB6_14294:                            ;   in Loop: Header=BB6_13744 Depth=3
	s_mov_b32 s14, -1
	s_mov_b32 s36, exec_lo
                                        ; implicit-def: $sgpr34
	v_cmpx_eq_u16_e32 0x80, v35
; %bb.14295:                            ;   in Loop: Header=BB6_13744 Depth=3
	s_mov_b32 s34, 0x7f800001
	s_xor_b32 s14, exec_lo, -1
; %bb.14296:                            ;   in Loop: Header=BB6_13744 Depth=3
	s_or_b32 exec_lo, exec_lo, s36
	s_delay_alu instid0(SALU_CYCLE_1)
	s_and_b32 s14, s14, exec_lo
	s_or_saveexec_b32 s35, s35
	v_mov_b32_e32 v36, s34
	s_xor_b32 exec_lo, exec_lo, s35
	s_cbranch_execz .LBB6_13903
.LBB6_14297:                            ;   in Loop: Header=BB6_13744 Depth=3
	v_cmp_ne_u16_e32 vcc_lo, 0, v35
	v_mov_b32_e32 v36, 0
	s_and_not1_b32 s14, s14, exec_lo
	s_and_b32 vcc_lo, vcc_lo, exec_lo
	s_delay_alu instid0(SALU_CYCLE_1)
	s_or_b32 s14, s14, vcc_lo
	s_or_b32 exec_lo, exec_lo, s35
	s_and_saveexec_b32 s34, s14
	s_cbranch_execnz .LBB6_13904
	s_branch .LBB6_13905
.LBB6_14298:                            ;   in Loop: Header=BB6_13744 Depth=3
	s_mov_b32 s14, -1
	s_mov_b32 s36, exec_lo
                                        ; implicit-def: $sgpr34
	v_cmpx_eq_u16_e32 0x80, v34
; %bb.14299:                            ;   in Loop: Header=BB6_13744 Depth=3
	s_mov_b32 s34, 0x7f800001
	s_xor_b32 s14, exec_lo, -1
; %bb.14300:                            ;   in Loop: Header=BB6_13744 Depth=3
	s_or_b32 exec_lo, exec_lo, s36
	s_delay_alu instid0(SALU_CYCLE_1)
	s_and_b32 s14, s14, exec_lo
	s_or_saveexec_b32 s35, s35
	v_mov_b32_e32 v35, s34
	s_xor_b32 exec_lo, exec_lo, s35
	s_cbranch_execz .LBB6_13907
.LBB6_14301:                            ;   in Loop: Header=BB6_13744 Depth=3
	v_cmp_ne_u16_e32 vcc_lo, 0, v34
	v_mov_b32_e32 v35, 0
	s_and_not1_b32 s14, s14, exec_lo
	s_and_b32 vcc_lo, vcc_lo, exec_lo
	s_delay_alu instid0(SALU_CYCLE_1)
	s_or_b32 s14, s14, vcc_lo
	s_or_b32 exec_lo, exec_lo, s35
	s_and_saveexec_b32 s34, s14
	s_cbranch_execnz .LBB6_13908
	s_branch .LBB6_13909
.LBB6_14302:                            ;   in Loop: Header=BB6_13744 Depth=3
	s_mov_b32 s14, -1
	s_mov_b32 s36, exec_lo
                                        ; implicit-def: $sgpr34
	v_cmpx_eq_u16_e32 0x80, v38
; %bb.14303:                            ;   in Loop: Header=BB6_13744 Depth=3
	s_mov_b32 s34, 0x7f800001
	s_xor_b32 s14, exec_lo, -1
; %bb.14304:                            ;   in Loop: Header=BB6_13744 Depth=3
	s_or_b32 exec_lo, exec_lo, s36
	s_delay_alu instid0(SALU_CYCLE_1)
	s_and_b32 s14, s14, exec_lo
                                        ; implicit-def: $vgpr38
	s_or_saveexec_b32 s35, s35
	v_mov_b32_e32 v37, s34
	s_xor_b32 exec_lo, exec_lo, s35
	s_cbranch_execz .LBB6_13921
.LBB6_14305:                            ;   in Loop: Header=BB6_13744 Depth=3
	v_cmp_ne_u16_e32 vcc_lo, 0, v38
	v_mov_b32_e32 v37, 0
	s_and_not1_b32 s14, s14, exec_lo
	s_and_b32 vcc_lo, vcc_lo, exec_lo
	s_delay_alu instid0(SALU_CYCLE_1)
	s_or_b32 s14, s14, vcc_lo
	s_or_b32 exec_lo, exec_lo, s35
	s_and_saveexec_b32 s34, s14
	s_cbranch_execnz .LBB6_13922
	s_branch .LBB6_13923
.LBB6_14306:                            ;   in Loop: Header=BB6_13744 Depth=3
	s_mov_b32 s14, -1
	s_mov_b32 s36, exec_lo
                                        ; implicit-def: $sgpr34
	v_cmpx_eq_u16_e32 0x80, v39
; %bb.14307:                            ;   in Loop: Header=BB6_13744 Depth=3
	s_mov_b32 s34, 0x7f800001
	s_xor_b32 s14, exec_lo, -1
; %bb.14308:                            ;   in Loop: Header=BB6_13744 Depth=3
	s_or_b32 exec_lo, exec_lo, s36
	s_delay_alu instid0(SALU_CYCLE_1)
	s_and_b32 s14, s14, exec_lo
                                        ; implicit-def: $vgpr39
	s_or_saveexec_b32 s35, s35
	v_mov_b32_e32 v38, s34
	s_xor_b32 exec_lo, exec_lo, s35
	s_cbranch_execz .LBB6_13925
.LBB6_14309:                            ;   in Loop: Header=BB6_13744 Depth=3
	v_cmp_ne_u16_e32 vcc_lo, 0, v39
	v_mov_b32_e32 v38, 0
	s_and_not1_b32 s14, s14, exec_lo
	s_and_b32 vcc_lo, vcc_lo, exec_lo
	s_delay_alu instid0(SALU_CYCLE_1)
	s_or_b32 s14, s14, vcc_lo
	s_or_b32 exec_lo, exec_lo, s35
	s_and_saveexec_b32 s34, s14
	s_cbranch_execnz .LBB6_13926
	s_branch .LBB6_13927
.LBB6_14310:                            ;   in Loop: Header=BB6_13744 Depth=3
	s_mov_b32 s14, -1
	s_mov_b32 s36, exec_lo
                                        ; implicit-def: $sgpr34
	v_cmpx_eq_u16_e32 0x80, v38
; %bb.14311:                            ;   in Loop: Header=BB6_13744 Depth=3
	s_mov_b32 s34, 0x7f800001
	s_xor_b32 s14, exec_lo, -1
; %bb.14312:                            ;   in Loop: Header=BB6_13744 Depth=3
	s_or_b32 exec_lo, exec_lo, s36
	s_delay_alu instid0(SALU_CYCLE_1)
	s_and_b32 s14, s14, exec_lo
                                        ; implicit-def: $vgpr38
	s_or_saveexec_b32 s35, s35
	v_mov_b32_e32 v37, s34
	s_xor_b32 exec_lo, exec_lo, s35
	s_cbranch_execz .LBB6_13932
.LBB6_14313:                            ;   in Loop: Header=BB6_13744 Depth=3
	v_cmp_ne_u16_e32 vcc_lo, 0, v38
	v_mov_b32_e32 v37, 0
	s_and_not1_b32 s14, s14, exec_lo
	s_and_b32 vcc_lo, vcc_lo, exec_lo
	s_delay_alu instid0(SALU_CYCLE_1)
	s_or_b32 s14, s14, vcc_lo
	s_or_b32 exec_lo, exec_lo, s35
	s_and_saveexec_b32 s34, s14
	s_cbranch_execnz .LBB6_13933
	s_branch .LBB6_13934
.LBB6_14314:                            ;   in Loop: Header=BB6_13744 Depth=3
	s_mov_b32 s14, -1
	s_mov_b32 s36, exec_lo
                                        ; implicit-def: $sgpr34
	v_cmpx_eq_u16_e32 0x80, v38
; %bb.14315:                            ;   in Loop: Header=BB6_13744 Depth=3
	s_mov_b32 s34, 0x7f800001
	s_xor_b32 s14, exec_lo, -1
; %bb.14316:                            ;   in Loop: Header=BB6_13744 Depth=3
	s_or_b32 exec_lo, exec_lo, s36
	s_delay_alu instid0(SALU_CYCLE_1)
	s_and_b32 s14, s14, exec_lo
                                        ; implicit-def: $vgpr38
	s_or_saveexec_b32 s35, s35
	v_mov_b32_e32 v36, s34
	s_xor_b32 exec_lo, exec_lo, s35
	s_cbranch_execz .LBB6_13936
.LBB6_14317:                            ;   in Loop: Header=BB6_13744 Depth=3
	v_cmp_ne_u16_e32 vcc_lo, 0, v38
	v_mov_b32_e32 v36, 0
	s_and_not1_b32 s14, s14, exec_lo
	s_and_b32 vcc_lo, vcc_lo, exec_lo
	s_delay_alu instid0(SALU_CYCLE_1)
	s_or_b32 s14, s14, vcc_lo
	s_or_b32 exec_lo, exec_lo, s35
	s_and_saveexec_b32 s34, s14
	s_cbranch_execnz .LBB6_13937
	s_branch .LBB6_13938
.LBB6_14318:                            ;   in Loop: Header=BB6_13744 Depth=3
	s_mov_b32 s14, -1
	s_mov_b32 s36, exec_lo
                                        ; implicit-def: $sgpr34
	v_cmpx_eq_u16_e32 0x80, v37
; %bb.14319:                            ;   in Loop: Header=BB6_13744 Depth=3
	s_mov_b32 s34, 0x7f800001
	s_xor_b32 s14, exec_lo, -1
; %bb.14320:                            ;   in Loop: Header=BB6_13744 Depth=3
	s_or_b32 exec_lo, exec_lo, s36
	s_delay_alu instid0(SALU_CYCLE_1)
	s_and_b32 s14, s14, exec_lo
	s_or_saveexec_b32 s35, s35
	v_mov_b32_e32 v38, s34
	s_xor_b32 exec_lo, exec_lo, s35
	s_cbranch_execz .LBB6_13950
.LBB6_14321:                            ;   in Loop: Header=BB6_13744 Depth=3
	v_cmp_ne_u16_e32 vcc_lo, 0, v37
	v_mov_b32_e32 v38, 0
	s_and_not1_b32 s14, s14, exec_lo
	s_and_b32 vcc_lo, vcc_lo, exec_lo
	s_delay_alu instid0(SALU_CYCLE_1)
	s_or_b32 s14, s14, vcc_lo
	s_or_b32 exec_lo, exec_lo, s35
	s_and_saveexec_b32 s34, s14
	s_cbranch_execnz .LBB6_13951
	s_branch .LBB6_13952
.LBB6_14322:                            ;   in Loop: Header=BB6_13744 Depth=3
	s_mov_b32 s14, -1
	s_mov_b32 s36, exec_lo
                                        ; implicit-def: $sgpr34
	v_cmpx_eq_u16_e32 0x80, v36
; %bb.14323:                            ;   in Loop: Header=BB6_13744 Depth=3
	s_mov_b32 s34, 0x7f800001
	s_xor_b32 s14, exec_lo, -1
; %bb.14324:                            ;   in Loop: Header=BB6_13744 Depth=3
	s_or_b32 exec_lo, exec_lo, s36
	s_delay_alu instid0(SALU_CYCLE_1)
	s_and_b32 s14, s14, exec_lo
	s_or_saveexec_b32 s35, s35
	v_mov_b32_e32 v39, s34
	s_xor_b32 exec_lo, exec_lo, s35
	s_cbranch_execz .LBB6_13954
.LBB6_14325:                            ;   in Loop: Header=BB6_13744 Depth=3
	v_cmp_ne_u16_e32 vcc_lo, 0, v36
	v_mov_b32_e32 v39, 0
	s_and_not1_b32 s14, s14, exec_lo
	s_and_b32 vcc_lo, vcc_lo, exec_lo
	s_delay_alu instid0(SALU_CYCLE_1)
	s_or_b32 s14, s14, vcc_lo
	s_or_b32 exec_lo, exec_lo, s35
	s_and_saveexec_b32 s34, s14
	s_cbranch_execnz .LBB6_13955
	s_branch .LBB6_13956
.LBB6_14326:                            ;   in Loop: Header=BB6_13744 Depth=3
	s_mov_b32 s14, -1
	s_mov_b32 s36, exec_lo
                                        ; implicit-def: $sgpr34
	v_cmpx_eq_u16_e32 0x80, v37
; %bb.14327:                            ;   in Loop: Header=BB6_13744 Depth=3
	s_mov_b32 s34, 0x7f800001
	s_xor_b32 s14, exec_lo, -1
; %bb.14328:                            ;   in Loop: Header=BB6_13744 Depth=3
	s_or_b32 exec_lo, exec_lo, s36
	s_delay_alu instid0(SALU_CYCLE_1)
	s_and_b32 s14, s14, exec_lo
	s_or_saveexec_b32 s35, s35
	v_mov_b32_e32 v38, s34
	s_xor_b32 exec_lo, exec_lo, s35
	s_cbranch_execz .LBB6_13961
.LBB6_14329:                            ;   in Loop: Header=BB6_13744 Depth=3
	v_cmp_ne_u16_e32 vcc_lo, 0, v37
	v_mov_b32_e32 v38, 0
	s_and_not1_b32 s14, s14, exec_lo
	s_and_b32 vcc_lo, vcc_lo, exec_lo
	s_delay_alu instid0(SALU_CYCLE_1)
	s_or_b32 s14, s14, vcc_lo
	s_or_b32 exec_lo, exec_lo, s35
	s_and_saveexec_b32 s34, s14
	s_cbranch_execnz .LBB6_13962
	s_branch .LBB6_13963
.LBB6_14330:                            ;   in Loop: Header=BB6_13744 Depth=3
	s_mov_b32 s14, -1
	s_mov_b32 s36, exec_lo
                                        ; implicit-def: $sgpr34
	v_cmpx_eq_u16_e32 0x80, v36
; %bb.14331:                            ;   in Loop: Header=BB6_13744 Depth=3
	s_mov_b32 s34, 0x7f800001
	s_xor_b32 s14, exec_lo, -1
; %bb.14332:                            ;   in Loop: Header=BB6_13744 Depth=3
	s_or_b32 exec_lo, exec_lo, s36
	s_delay_alu instid0(SALU_CYCLE_1)
	s_and_b32 s14, s14, exec_lo
	s_or_saveexec_b32 s35, s35
	v_mov_b32_e32 v13, s34
	s_xor_b32 exec_lo, exec_lo, s35
	s_cbranch_execz .LBB6_13965
.LBB6_14333:                            ;   in Loop: Header=BB6_13744 Depth=3
	v_cmp_ne_u16_e32 vcc_lo, 0, v36
	v_mov_b32_e32 v13, 0
	s_and_not1_b32 s14, s14, exec_lo
	s_and_b32 vcc_lo, vcc_lo, exec_lo
	s_delay_alu instid0(SALU_CYCLE_1)
	s_or_b32 s14, s14, vcc_lo
	s_or_b32 exec_lo, exec_lo, s35
	s_and_saveexec_b32 s34, s14
	s_cbranch_execnz .LBB6_13966
	s_branch .LBB6_13967
.LBB6_14334:                            ;   in Loop: Header=BB6_13744 Depth=3
	s_mov_b32 s14, -1
	s_mov_b32 s36, exec_lo
                                        ; implicit-def: $sgpr34
	v_cmpx_eq_u16_e32 0x80, v36
; %bb.14335:                            ;   in Loop: Header=BB6_13744 Depth=3
	s_mov_b32 s34, 0x7f800001
	s_xor_b32 s14, exec_lo, -1
; %bb.14336:                            ;   in Loop: Header=BB6_13744 Depth=3
	s_or_b32 exec_lo, exec_lo, s36
	s_delay_alu instid0(SALU_CYCLE_1)
	s_and_b32 s14, s14, exec_lo
                                        ; implicit-def: $vgpr36
	s_or_saveexec_b32 s35, s35
	v_mov_b32_e32 v13, s34
	s_xor_b32 exec_lo, exec_lo, s35
	s_cbranch_execz .LBB6_13979
.LBB6_14337:                            ;   in Loop: Header=BB6_13744 Depth=3
	v_cmp_ne_u16_e32 vcc_lo, 0, v36
	v_mov_b32_e32 v13, 0
	s_and_not1_b32 s14, s14, exec_lo
	s_and_b32 vcc_lo, vcc_lo, exec_lo
	s_delay_alu instid0(SALU_CYCLE_1)
	s_or_b32 s14, s14, vcc_lo
	s_or_b32 exec_lo, exec_lo, s35
	s_and_saveexec_b32 s34, s14
	s_cbranch_execnz .LBB6_13980
	s_branch .LBB6_13981
.LBB6_14338:                            ;   in Loop: Header=BB6_13744 Depth=3
	s_mov_b32 s14, -1
	s_mov_b32 s36, exec_lo
                                        ; implicit-def: $sgpr34
	v_cmpx_eq_u16_e32 0x80, v37
; %bb.14339:                            ;   in Loop: Header=BB6_13744 Depth=3
	s_mov_b32 s34, 0x7f800001
	s_xor_b32 s14, exec_lo, -1
; %bb.14340:                            ;   in Loop: Header=BB6_13744 Depth=3
	s_or_b32 exec_lo, exec_lo, s36
	s_delay_alu instid0(SALU_CYCLE_1)
	s_and_b32 s14, s14, exec_lo
                                        ; implicit-def: $vgpr37
	s_or_saveexec_b32 s35, s35
	v_mov_b32_e32 v36, s34
	s_xor_b32 exec_lo, exec_lo, s35
	s_cbranch_execz .LBB6_13983
.LBB6_14341:                            ;   in Loop: Header=BB6_13744 Depth=3
	v_cmp_ne_u16_e32 vcc_lo, 0, v37
	v_mov_b32_e32 v36, 0
	s_and_not1_b32 s14, s14, exec_lo
	s_and_b32 vcc_lo, vcc_lo, exec_lo
	s_delay_alu instid0(SALU_CYCLE_1)
	s_or_b32 s14, s14, vcc_lo
	s_or_b32 exec_lo, exec_lo, s35
	s_and_saveexec_b32 s34, s14
	s_cbranch_execnz .LBB6_13984
	s_branch .LBB6_13985
.LBB6_14342:                            ;   in Loop: Header=BB6_13744 Depth=3
	s_mov_b32 s14, -1
	s_mov_b32 s36, exec_lo
                                        ; implicit-def: $sgpr34
	v_cmpx_eq_u16_e32 0x80, v36
; %bb.14343:                            ;   in Loop: Header=BB6_13744 Depth=3
	s_mov_b32 s34, 0x7f800001
	s_xor_b32 s14, exec_lo, -1
; %bb.14344:                            ;   in Loop: Header=BB6_13744 Depth=3
	s_or_b32 exec_lo, exec_lo, s36
	s_delay_alu instid0(SALU_CYCLE_1)
	s_and_b32 s14, s14, exec_lo
                                        ; implicit-def: $vgpr36
	s_or_saveexec_b32 s35, s35
	v_mov_b32_e32 v13, s34
	s_xor_b32 exec_lo, exec_lo, s35
	s_cbranch_execz .LBB6_13990
.LBB6_14345:                            ;   in Loop: Header=BB6_13744 Depth=3
	v_cmp_ne_u16_e32 vcc_lo, 0, v36
	v_mov_b32_e32 v13, 0
	s_and_not1_b32 s14, s14, exec_lo
	s_and_b32 vcc_lo, vcc_lo, exec_lo
	s_delay_alu instid0(SALU_CYCLE_1)
	s_or_b32 s14, s14, vcc_lo
	s_or_b32 exec_lo, exec_lo, s35
	s_and_saveexec_b32 s34, s14
	s_cbranch_execnz .LBB6_13991
	s_branch .LBB6_13992
.LBB6_14346:                            ;   in Loop: Header=BB6_13744 Depth=3
	s_mov_b32 s14, -1
	s_mov_b32 s36, exec_lo
                                        ; implicit-def: $sgpr34
	v_cmpx_eq_u16_e32 0x80, v37
; %bb.14347:                            ;   in Loop: Header=BB6_13744 Depth=3
	s_mov_b32 s34, 0x7f800001
	s_xor_b32 s14, exec_lo, -1
; %bb.14348:                            ;   in Loop: Header=BB6_13744 Depth=3
	s_or_b32 exec_lo, exec_lo, s36
	s_delay_alu instid0(SALU_CYCLE_1)
	s_and_b32 s14, s14, exec_lo
                                        ; implicit-def: $vgpr37
	s_or_saveexec_b32 s35, s35
	v_mov_b32_e32 v36, s34
	s_xor_b32 exec_lo, exec_lo, s35
	s_cbranch_execz .LBB6_13994
.LBB6_14349:                            ;   in Loop: Header=BB6_13744 Depth=3
	v_cmp_ne_u16_e32 vcc_lo, 0, v37
	v_mov_b32_e32 v36, 0
	s_and_not1_b32 s14, s14, exec_lo
	s_and_b32 vcc_lo, vcc_lo, exec_lo
	s_delay_alu instid0(SALU_CYCLE_1)
	s_or_b32 s14, s14, vcc_lo
	s_or_b32 exec_lo, exec_lo, s35
	s_and_saveexec_b32 s34, s14
	s_cbranch_execnz .LBB6_13995
	s_branch .LBB6_13996
.LBB6_14350:                            ;   in Loop: Header=BB6_13744 Depth=3
	s_mov_b32 s14, -1
	s_mov_b32 s36, exec_lo
                                        ; implicit-def: $sgpr34
	v_cmpx_eq_u16_e32 0x80, v37
; %bb.14351:                            ;   in Loop: Header=BB6_13744 Depth=3
	s_mov_b32 s34, 0x7f800001
	s_xor_b32 s14, exec_lo, -1
; %bb.14352:                            ;   in Loop: Header=BB6_13744 Depth=3
	s_or_b32 exec_lo, exec_lo, s36
	s_delay_alu instid0(SALU_CYCLE_1)
	s_and_b32 s14, s14, exec_lo
	s_or_saveexec_b32 s35, s35
	v_mov_b32_e32 v38, s34
	s_xor_b32 exec_lo, exec_lo, s35
	s_cbranch_execz .LBB6_14008
.LBB6_14353:                            ;   in Loop: Header=BB6_13744 Depth=3
	v_cmp_ne_u16_e32 vcc_lo, 0, v37
	v_mov_b32_e32 v38, 0
	s_and_not1_b32 s14, s14, exec_lo
	s_and_b32 vcc_lo, vcc_lo, exec_lo
	s_delay_alu instid0(SALU_CYCLE_1)
	s_or_b32 s14, s14, vcc_lo
	s_or_b32 exec_lo, exec_lo, s35
	s_and_saveexec_b32 s34, s14
	s_cbranch_execnz .LBB6_14009
	s_branch .LBB6_14010
.LBB6_14354:                            ;   in Loop: Header=BB6_13744 Depth=3
	s_mov_b32 s14, -1
	s_mov_b32 s36, exec_lo
                                        ; implicit-def: $sgpr34
	v_cmpx_eq_u16_e32 0x80, v36
; %bb.14355:                            ;   in Loop: Header=BB6_13744 Depth=3
	s_mov_b32 s34, 0x7f800001
	s_xor_b32 s14, exec_lo, -1
; %bb.14356:                            ;   in Loop: Header=BB6_13744 Depth=3
	s_or_b32 exec_lo, exec_lo, s36
	s_delay_alu instid0(SALU_CYCLE_1)
	s_and_b32 s14, s14, exec_lo
	s_or_saveexec_b32 s35, s35
	v_mov_b32_e32 v39, s34
	s_xor_b32 exec_lo, exec_lo, s35
	s_cbranch_execz .LBB6_14012
.LBB6_14357:                            ;   in Loop: Header=BB6_13744 Depth=3
	v_cmp_ne_u16_e32 vcc_lo, 0, v36
	v_mov_b32_e32 v39, 0
	s_and_not1_b32 s14, s14, exec_lo
	s_and_b32 vcc_lo, vcc_lo, exec_lo
	s_delay_alu instid0(SALU_CYCLE_1)
	s_or_b32 s14, s14, vcc_lo
	s_or_b32 exec_lo, exec_lo, s35
	s_and_saveexec_b32 s34, s14
	s_cbranch_execnz .LBB6_14013
	s_branch .LBB6_14014
.LBB6_14358:                            ;   in Loop: Header=BB6_13744 Depth=3
	s_mov_b32 s14, -1
	s_mov_b32 s36, exec_lo
                                        ; implicit-def: $sgpr34
	v_cmpx_eq_u16_e32 0x80, v37
; %bb.14359:                            ;   in Loop: Header=BB6_13744 Depth=3
	s_mov_b32 s34, 0x7f800001
	s_xor_b32 s14, exec_lo, -1
; %bb.14360:                            ;   in Loop: Header=BB6_13744 Depth=3
	s_or_b32 exec_lo, exec_lo, s36
	s_delay_alu instid0(SALU_CYCLE_1)
	s_and_b32 s14, s14, exec_lo
	s_or_saveexec_b32 s35, s35
	v_mov_b32_e32 v38, s34
	s_xor_b32 exec_lo, exec_lo, s35
	s_cbranch_execz .LBB6_14019
.LBB6_14361:                            ;   in Loop: Header=BB6_13744 Depth=3
	v_cmp_ne_u16_e32 vcc_lo, 0, v37
	v_mov_b32_e32 v38, 0
	s_and_not1_b32 s14, s14, exec_lo
	s_and_b32 vcc_lo, vcc_lo, exec_lo
	s_delay_alu instid0(SALU_CYCLE_1)
	s_or_b32 s14, s14, vcc_lo
	s_or_b32 exec_lo, exec_lo, s35
	s_and_saveexec_b32 s34, s14
	s_cbranch_execnz .LBB6_14020
	s_branch .LBB6_14021
.LBB6_14362:                            ;   in Loop: Header=BB6_13744 Depth=3
	s_mov_b32 s14, -1
	s_mov_b32 s36, exec_lo
                                        ; implicit-def: $sgpr34
	v_cmpx_eq_u16_e32 0x80, v36
; %bb.14363:                            ;   in Loop: Header=BB6_13744 Depth=3
	s_mov_b32 s34, 0x7f800001
	s_xor_b32 s14, exec_lo, -1
; %bb.14364:                            ;   in Loop: Header=BB6_13744 Depth=3
	s_or_b32 exec_lo, exec_lo, s36
	s_delay_alu instid0(SALU_CYCLE_1)
	s_and_b32 s14, s14, exec_lo
	s_or_saveexec_b32 s35, s35
	v_mov_b32_e32 v37, s34
	s_xor_b32 exec_lo, exec_lo, s35
	s_cbranch_execz .LBB6_14023
.LBB6_14365:                            ;   in Loop: Header=BB6_13744 Depth=3
	v_cmp_ne_u16_e32 vcc_lo, 0, v36
	v_mov_b32_e32 v37, 0
	s_and_not1_b32 s14, s14, exec_lo
	s_and_b32 vcc_lo, vcc_lo, exec_lo
	s_delay_alu instid0(SALU_CYCLE_1)
	s_or_b32 s14, s14, vcc_lo
	s_or_b32 exec_lo, exec_lo, s35
	s_and_saveexec_b32 s34, s14
	s_cbranch_execnz .LBB6_14024
	s_branch .LBB6_14025
.LBB6_14366:                            ;   in Loop: Header=BB6_13744 Depth=3
	s_mov_b32 s14, -1
	s_mov_b32 s36, exec_lo
                                        ; implicit-def: $sgpr34
	v_cmpx_eq_u16_e32 0x80, v48
; %bb.14367:                            ;   in Loop: Header=BB6_13744 Depth=3
	s_mov_b32 s34, 0x7f800001
	s_xor_b32 s14, exec_lo, -1
; %bb.14368:                            ;   in Loop: Header=BB6_13744 Depth=3
	s_or_b32 exec_lo, exec_lo, s36
	s_delay_alu instid0(SALU_CYCLE_1)
	s_and_b32 s14, s14, exec_lo
                                        ; implicit-def: $vgpr48
	s_or_saveexec_b32 s35, s35
	v_mov_b32_e32 v39, s34
	s_xor_b32 exec_lo, exec_lo, s35
	s_cbranch_execz .LBB6_14037
.LBB6_14369:                            ;   in Loop: Header=BB6_13744 Depth=3
	v_cmp_ne_u16_e32 vcc_lo, 0, v48
	v_mov_b32_e32 v39, 0
	s_and_not1_b32 s14, s14, exec_lo
	s_and_b32 vcc_lo, vcc_lo, exec_lo
	s_delay_alu instid0(SALU_CYCLE_1)
	s_or_b32 s14, s14, vcc_lo
	s_or_b32 exec_lo, exec_lo, s35
	s_and_saveexec_b32 s34, s14
	s_cbranch_execnz .LBB6_14038
	s_branch .LBB6_14039
.LBB6_14370:                            ;   in Loop: Header=BB6_13744 Depth=3
	s_mov_b32 s14, -1
	s_mov_b32 s36, exec_lo
                                        ; implicit-def: $sgpr34
	v_cmpx_eq_u16_e32 0x80, v49
; %bb.14371:                            ;   in Loop: Header=BB6_13744 Depth=3
	s_mov_b32 s34, 0x7f800001
	s_xor_b32 s14, exec_lo, -1
; %bb.14372:                            ;   in Loop: Header=BB6_13744 Depth=3
	s_or_b32 exec_lo, exec_lo, s36
	s_delay_alu instid0(SALU_CYCLE_1)
	s_and_b32 s14, s14, exec_lo
                                        ; implicit-def: $vgpr49
	s_or_saveexec_b32 s35, s35
	v_mov_b32_e32 v48, s34
	s_xor_b32 exec_lo, exec_lo, s35
	s_cbranch_execz .LBB6_14041
.LBB6_14373:                            ;   in Loop: Header=BB6_13744 Depth=3
	v_cmp_ne_u16_e32 vcc_lo, 0, v49
	v_mov_b32_e32 v48, 0
	s_and_not1_b32 s14, s14, exec_lo
	s_and_b32 vcc_lo, vcc_lo, exec_lo
	s_delay_alu instid0(SALU_CYCLE_1)
	s_or_b32 s14, s14, vcc_lo
	s_or_b32 exec_lo, exec_lo, s35
	s_and_saveexec_b32 s34, s14
	s_cbranch_execnz .LBB6_14042
	s_branch .LBB6_14043
.LBB6_14374:                            ;   in Loop: Header=BB6_13744 Depth=3
	s_mov_b32 s14, -1
	s_mov_b32 s36, exec_lo
                                        ; implicit-def: $sgpr34
	v_cmpx_eq_u16_e32 0x80, v48
; %bb.14375:                            ;   in Loop: Header=BB6_13744 Depth=3
	s_mov_b32 s34, 0x7f800001
	s_xor_b32 s14, exec_lo, -1
; %bb.14376:                            ;   in Loop: Header=BB6_13744 Depth=3
	s_or_b32 exec_lo, exec_lo, s36
	s_delay_alu instid0(SALU_CYCLE_1)
	s_and_b32 s14, s14, exec_lo
                                        ; implicit-def: $vgpr48
	s_or_saveexec_b32 s35, s35
	v_mov_b32_e32 v39, s34
	s_xor_b32 exec_lo, exec_lo, s35
	s_cbranch_execz .LBB6_14048
.LBB6_14377:                            ;   in Loop: Header=BB6_13744 Depth=3
	v_cmp_ne_u16_e32 vcc_lo, 0, v48
	v_mov_b32_e32 v39, 0
	s_and_not1_b32 s14, s14, exec_lo
	s_and_b32 vcc_lo, vcc_lo, exec_lo
	s_delay_alu instid0(SALU_CYCLE_1)
	s_or_b32 s14, s14, vcc_lo
	s_or_b32 exec_lo, exec_lo, s35
	s_and_saveexec_b32 s34, s14
	s_cbranch_execnz .LBB6_14049
	s_branch .LBB6_14050
.LBB6_14378:                            ;   in Loop: Header=BB6_13744 Depth=3
	s_mov_b32 s14, -1
	s_mov_b32 s36, exec_lo
                                        ; implicit-def: $sgpr34
	v_cmpx_eq_u16_e32 0x80, v48
; %bb.14379:                            ;   in Loop: Header=BB6_13744 Depth=3
	s_mov_b32 s34, 0x7f800001
	s_xor_b32 s14, exec_lo, -1
; %bb.14380:                            ;   in Loop: Header=BB6_13744 Depth=3
	s_or_b32 exec_lo, exec_lo, s36
	s_delay_alu instid0(SALU_CYCLE_1)
	s_and_b32 s14, s14, exec_lo
                                        ; implicit-def: $vgpr48
	s_or_saveexec_b32 s35, s35
	v_mov_b32_e32 v38, s34
	s_xor_b32 exec_lo, exec_lo, s35
	s_cbranch_execz .LBB6_14052
.LBB6_14381:                            ;   in Loop: Header=BB6_13744 Depth=3
	v_cmp_ne_u16_e32 vcc_lo, 0, v48
	v_mov_b32_e32 v38, 0
	s_and_not1_b32 s14, s14, exec_lo
	s_and_b32 vcc_lo, vcc_lo, exec_lo
	s_delay_alu instid0(SALU_CYCLE_1)
	s_or_b32 s14, s14, vcc_lo
	s_or_b32 exec_lo, exec_lo, s35
	s_and_saveexec_b32 s34, s14
	s_cbranch_execnz .LBB6_14053
	s_branch .LBB6_14054
.LBB6_14382:                            ;   in Loop: Header=BB6_13744 Depth=3
	s_mov_b32 s14, -1
	s_mov_b32 s36, exec_lo
                                        ; implicit-def: $sgpr34
	v_cmpx_eq_u16_e32 0x80, v39
; %bb.14383:                            ;   in Loop: Header=BB6_13744 Depth=3
	s_mov_b32 s34, 0x7f800001
	s_xor_b32 s14, exec_lo, -1
; %bb.14384:                            ;   in Loop: Header=BB6_13744 Depth=3
	s_or_b32 exec_lo, exec_lo, s36
	s_delay_alu instid0(SALU_CYCLE_1)
	s_and_b32 s14, s14, exec_lo
	s_or_saveexec_b32 s35, s35
	v_mov_b32_e32 v48, s34
	s_xor_b32 exec_lo, exec_lo, s35
	s_cbranch_execz .LBB6_14066
.LBB6_14385:                            ;   in Loop: Header=BB6_13744 Depth=3
	v_cmp_ne_u16_e32 vcc_lo, 0, v39
	v_mov_b32_e32 v48, 0
	s_and_not1_b32 s14, s14, exec_lo
	s_and_b32 vcc_lo, vcc_lo, exec_lo
	s_delay_alu instid0(SALU_CYCLE_1)
	s_or_b32 s14, s14, vcc_lo
	s_or_b32 exec_lo, exec_lo, s35
	s_and_saveexec_b32 s34, s14
	s_cbranch_execnz .LBB6_14067
	s_branch .LBB6_14068
.LBB6_14386:                            ;   in Loop: Header=BB6_13744 Depth=3
	s_mov_b32 s14, -1
	s_mov_b32 s36, exec_lo
                                        ; implicit-def: $sgpr34
	v_cmpx_eq_u16_e32 0x80, v38
; %bb.14387:                            ;   in Loop: Header=BB6_13744 Depth=3
	s_mov_b32 s34, 0x7f800001
	s_xor_b32 s14, exec_lo, -1
; %bb.14388:                            ;   in Loop: Header=BB6_13744 Depth=3
	s_or_b32 exec_lo, exec_lo, s36
	s_delay_alu instid0(SALU_CYCLE_1)
	s_and_b32 s14, s14, exec_lo
	s_or_saveexec_b32 s35, s35
	v_mov_b32_e32 v49, s34
	s_xor_b32 exec_lo, exec_lo, s35
	s_cbranch_execz .LBB6_14070
.LBB6_14389:                            ;   in Loop: Header=BB6_13744 Depth=3
	v_cmp_ne_u16_e32 vcc_lo, 0, v38
	v_mov_b32_e32 v49, 0
	s_and_not1_b32 s14, s14, exec_lo
	s_and_b32 vcc_lo, vcc_lo, exec_lo
	s_delay_alu instid0(SALU_CYCLE_1)
	s_or_b32 s14, s14, vcc_lo
	s_or_b32 exec_lo, exec_lo, s35
	s_and_saveexec_b32 s34, s14
	s_cbranch_execnz .LBB6_14071
	s_branch .LBB6_14072
.LBB6_14390:                            ;   in Loop: Header=BB6_13744 Depth=3
	s_mov_b32 s14, -1
	s_mov_b32 s36, exec_lo
                                        ; implicit-def: $sgpr34
	v_cmpx_eq_u16_e32 0x80, v39
; %bb.14391:                            ;   in Loop: Header=BB6_13744 Depth=3
	s_mov_b32 s34, 0x7f800001
	s_xor_b32 s14, exec_lo, -1
; %bb.14392:                            ;   in Loop: Header=BB6_13744 Depth=3
	s_or_b32 exec_lo, exec_lo, s36
	s_delay_alu instid0(SALU_CYCLE_1)
	s_and_b32 s14, s14, exec_lo
	s_or_saveexec_b32 s35, s35
	v_mov_b32_e32 v48, s34
	s_xor_b32 exec_lo, exec_lo, s35
	s_cbranch_execz .LBB6_14077
.LBB6_14393:                            ;   in Loop: Header=BB6_13744 Depth=3
	v_cmp_ne_u16_e32 vcc_lo, 0, v39
	v_mov_b32_e32 v48, 0
	s_and_not1_b32 s14, s14, exec_lo
	s_and_b32 vcc_lo, vcc_lo, exec_lo
	s_delay_alu instid0(SALU_CYCLE_1)
	s_or_b32 s14, s14, vcc_lo
	s_or_b32 exec_lo, exec_lo, s35
	s_and_saveexec_b32 s34, s14
	s_cbranch_execnz .LBB6_14078
	s_branch .LBB6_14079
.LBB6_14394:                            ;   in Loop: Header=BB6_13744 Depth=3
	s_mov_b32 s14, -1
	s_mov_b32 s36, exec_lo
                                        ; implicit-def: $sgpr34
	v_cmpx_eq_u16_e32 0x80, v38
; %bb.14395:                            ;   in Loop: Header=BB6_13744 Depth=3
	s_mov_b32 s34, 0x7f800001
	s_xor_b32 s14, exec_lo, -1
; %bb.14396:                            ;   in Loop: Header=BB6_13744 Depth=3
	s_or_b32 exec_lo, exec_lo, s36
	s_delay_alu instid0(SALU_CYCLE_1)
	s_and_b32 s14, s14, exec_lo
	s_or_saveexec_b32 s35, s35
	v_mov_b32_e32 v14, s34
	s_xor_b32 exec_lo, exec_lo, s35
	s_cbranch_execz .LBB6_14081
.LBB6_14397:                            ;   in Loop: Header=BB6_13744 Depth=3
	v_cmp_ne_u16_e32 vcc_lo, 0, v38
	v_mov_b32_e32 v14, 0
	s_and_not1_b32 s14, s14, exec_lo
	s_and_b32 vcc_lo, vcc_lo, exec_lo
	s_delay_alu instid0(SALU_CYCLE_1)
	s_or_b32 s14, s14, vcc_lo
	s_or_b32 exec_lo, exec_lo, s35
	s_and_saveexec_b32 s34, s14
	s_cbranch_execnz .LBB6_14082
	s_branch .LBB6_14083
.LBB6_14398:                            ;   in Loop: Header=BB6_13744 Depth=3
	s_mov_b32 s14, -1
	s_mov_b32 s36, exec_lo
                                        ; implicit-def: $sgpr34
	v_cmpx_eq_u16_e32 0x80, v38
; %bb.14399:                            ;   in Loop: Header=BB6_13744 Depth=3
	s_mov_b32 s34, 0x7f800001
	s_xor_b32 s14, exec_lo, -1
; %bb.14400:                            ;   in Loop: Header=BB6_13744 Depth=3
	s_or_b32 exec_lo, exec_lo, s36
	s_delay_alu instid0(SALU_CYCLE_1)
	s_and_b32 s14, s14, exec_lo
                                        ; implicit-def: $vgpr38
	s_or_saveexec_b32 s35, s35
	v_mov_b32_e32 v14, s34
	s_xor_b32 exec_lo, exec_lo, s35
	s_cbranch_execz .LBB6_14095
.LBB6_14401:                            ;   in Loop: Header=BB6_13744 Depth=3
	v_cmp_ne_u16_e32 vcc_lo, 0, v38
	v_mov_b32_e32 v14, 0
	s_and_not1_b32 s14, s14, exec_lo
	s_and_b32 vcc_lo, vcc_lo, exec_lo
	s_delay_alu instid0(SALU_CYCLE_1)
	s_or_b32 s14, s14, vcc_lo
	s_or_b32 exec_lo, exec_lo, s35
	s_and_saveexec_b32 s34, s14
	s_cbranch_execnz .LBB6_14096
	s_branch .LBB6_14097
.LBB6_14402:                            ;   in Loop: Header=BB6_13744 Depth=3
	s_mov_b32 s14, -1
	s_mov_b32 s36, exec_lo
                                        ; implicit-def: $sgpr34
	v_cmpx_eq_u16_e32 0x80, v39
; %bb.14403:                            ;   in Loop: Header=BB6_13744 Depth=3
	s_mov_b32 s34, 0x7f800001
	s_xor_b32 s14, exec_lo, -1
; %bb.14404:                            ;   in Loop: Header=BB6_13744 Depth=3
	s_or_b32 exec_lo, exec_lo, s36
	s_delay_alu instid0(SALU_CYCLE_1)
	s_and_b32 s14, s14, exec_lo
                                        ; implicit-def: $vgpr39
	s_or_saveexec_b32 s35, s35
	v_mov_b32_e32 v38, s34
	s_xor_b32 exec_lo, exec_lo, s35
	s_cbranch_execz .LBB6_14099
.LBB6_14405:                            ;   in Loop: Header=BB6_13744 Depth=3
	v_cmp_ne_u16_e32 vcc_lo, 0, v39
	v_mov_b32_e32 v38, 0
	s_and_not1_b32 s14, s14, exec_lo
	s_and_b32 vcc_lo, vcc_lo, exec_lo
	s_delay_alu instid0(SALU_CYCLE_1)
	s_or_b32 s14, s14, vcc_lo
	s_or_b32 exec_lo, exec_lo, s35
	s_and_saveexec_b32 s34, s14
	s_cbranch_execnz .LBB6_14100
	s_branch .LBB6_14101
.LBB6_14406:                            ;   in Loop: Header=BB6_13744 Depth=3
	s_mov_b32 s14, -1
	s_mov_b32 s36, exec_lo
                                        ; implicit-def: $sgpr34
	v_cmpx_eq_u16_e32 0x80, v38
; %bb.14407:                            ;   in Loop: Header=BB6_13744 Depth=3
	s_mov_b32 s34, 0x7f800001
	s_xor_b32 s14, exec_lo, -1
; %bb.14408:                            ;   in Loop: Header=BB6_13744 Depth=3
	s_or_b32 exec_lo, exec_lo, s36
	s_delay_alu instid0(SALU_CYCLE_1)
	s_and_b32 s14, s14, exec_lo
                                        ; implicit-def: $vgpr38
	s_or_saveexec_b32 s35, s35
	v_mov_b32_e32 v14, s34
	s_xor_b32 exec_lo, exec_lo, s35
	s_cbranch_execz .LBB6_14106
.LBB6_14409:                            ;   in Loop: Header=BB6_13744 Depth=3
	v_cmp_ne_u16_e32 vcc_lo, 0, v38
	v_mov_b32_e32 v14, 0
	s_and_not1_b32 s14, s14, exec_lo
	s_and_b32 vcc_lo, vcc_lo, exec_lo
	s_delay_alu instid0(SALU_CYCLE_1)
	s_or_b32 s14, s14, vcc_lo
	s_or_b32 exec_lo, exec_lo, s35
	s_and_saveexec_b32 s34, s14
	s_cbranch_execnz .LBB6_14107
	s_branch .LBB6_14108
.LBB6_14410:                            ;   in Loop: Header=BB6_13744 Depth=3
	s_mov_b32 s14, -1
	s_mov_b32 s36, exec_lo
                                        ; implicit-def: $sgpr34
	v_cmpx_eq_u16_e32 0x80, v39
; %bb.14411:                            ;   in Loop: Header=BB6_13744 Depth=3
	s_mov_b32 s34, 0x7f800001
	s_xor_b32 s14, exec_lo, -1
; %bb.14412:                            ;   in Loop: Header=BB6_13744 Depth=3
	s_or_b32 exec_lo, exec_lo, s36
	s_delay_alu instid0(SALU_CYCLE_1)
	s_and_b32 s14, s14, exec_lo
                                        ; implicit-def: $vgpr39
	s_or_saveexec_b32 s35, s35
	v_mov_b32_e32 v38, s34
	s_xor_b32 exec_lo, exec_lo, s35
	s_cbranch_execz .LBB6_14110
.LBB6_14413:                            ;   in Loop: Header=BB6_13744 Depth=3
	v_cmp_ne_u16_e32 vcc_lo, 0, v39
	v_mov_b32_e32 v38, 0
	s_and_not1_b32 s14, s14, exec_lo
	s_and_b32 vcc_lo, vcc_lo, exec_lo
	s_delay_alu instid0(SALU_CYCLE_1)
	s_or_b32 s14, s14, vcc_lo
	s_or_b32 exec_lo, exec_lo, s35
	s_and_saveexec_b32 s34, s14
	s_cbranch_execnz .LBB6_14111
	s_branch .LBB6_14112
.LBB6_14414:                            ;   in Loop: Header=BB6_13744 Depth=3
	s_mov_b32 s14, -1
	s_mov_b32 s36, exec_lo
                                        ; implicit-def: $sgpr34
	v_cmpx_eq_u16_e32 0x80, v39
; %bb.14415:                            ;   in Loop: Header=BB6_13744 Depth=3
	s_mov_b32 s34, 0x7f800001
	s_xor_b32 s14, exec_lo, -1
; %bb.14416:                            ;   in Loop: Header=BB6_13744 Depth=3
	s_or_b32 exec_lo, exec_lo, s36
	s_delay_alu instid0(SALU_CYCLE_1)
	s_and_b32 s14, s14, exec_lo
	s_or_saveexec_b32 s35, s35
	v_mov_b32_e32 v48, s34
	s_xor_b32 exec_lo, exec_lo, s35
	s_cbranch_execz .LBB6_14124
.LBB6_14417:                            ;   in Loop: Header=BB6_13744 Depth=3
	v_cmp_ne_u16_e32 vcc_lo, 0, v39
	v_mov_b32_e32 v48, 0
	s_and_not1_b32 s14, s14, exec_lo
	s_and_b32 vcc_lo, vcc_lo, exec_lo
	s_delay_alu instid0(SALU_CYCLE_1)
	s_or_b32 s14, s14, vcc_lo
	s_or_b32 exec_lo, exec_lo, s35
	s_and_saveexec_b32 s34, s14
	s_cbranch_execnz .LBB6_14125
	s_branch .LBB6_14126
.LBB6_14418:                            ;   in Loop: Header=BB6_13744 Depth=3
	s_mov_b32 s14, -1
	s_mov_b32 s36, exec_lo
                                        ; implicit-def: $sgpr34
	v_cmpx_eq_u16_e32 0x80, v38
; %bb.14419:                            ;   in Loop: Header=BB6_13744 Depth=3
	s_mov_b32 s34, 0x7f800001
	s_xor_b32 s14, exec_lo, -1
; %bb.14420:                            ;   in Loop: Header=BB6_13744 Depth=3
	s_or_b32 exec_lo, exec_lo, s36
	s_delay_alu instid0(SALU_CYCLE_1)
	s_and_b32 s14, s14, exec_lo
	s_or_saveexec_b32 s35, s35
	v_mov_b32_e32 v49, s34
	s_xor_b32 exec_lo, exec_lo, s35
	s_cbranch_execz .LBB6_14128
.LBB6_14421:                            ;   in Loop: Header=BB6_13744 Depth=3
	v_cmp_ne_u16_e32 vcc_lo, 0, v38
	v_mov_b32_e32 v49, 0
	s_and_not1_b32 s14, s14, exec_lo
	s_and_b32 vcc_lo, vcc_lo, exec_lo
	s_delay_alu instid0(SALU_CYCLE_1)
	s_or_b32 s14, s14, vcc_lo
	s_or_b32 exec_lo, exec_lo, s35
	s_and_saveexec_b32 s34, s14
	s_cbranch_execnz .LBB6_14129
	s_branch .LBB6_14130
.LBB6_14422:                            ;   in Loop: Header=BB6_13744 Depth=3
	s_mov_b32 s14, -1
	s_mov_b32 s36, exec_lo
                                        ; implicit-def: $sgpr34
	v_cmpx_eq_u16_e32 0x80, v39
; %bb.14423:                            ;   in Loop: Header=BB6_13744 Depth=3
	s_mov_b32 s34, 0x7f800001
	s_xor_b32 s14, exec_lo, -1
; %bb.14424:                            ;   in Loop: Header=BB6_13744 Depth=3
	s_or_b32 exec_lo, exec_lo, s36
	s_delay_alu instid0(SALU_CYCLE_1)
	s_and_b32 s14, s14, exec_lo
	s_or_saveexec_b32 s35, s35
	v_mov_b32_e32 v48, s34
	s_xor_b32 exec_lo, exec_lo, s35
	s_cbranch_execz .LBB6_14135
.LBB6_14425:                            ;   in Loop: Header=BB6_13744 Depth=3
	v_cmp_ne_u16_e32 vcc_lo, 0, v39
	v_mov_b32_e32 v48, 0
	s_and_not1_b32 s14, s14, exec_lo
	s_and_b32 vcc_lo, vcc_lo, exec_lo
	s_delay_alu instid0(SALU_CYCLE_1)
	s_or_b32 s14, s14, vcc_lo
	s_or_b32 exec_lo, exec_lo, s35
	s_and_saveexec_b32 s34, s14
	s_cbranch_execnz .LBB6_14136
	s_branch .LBB6_14137
.LBB6_14426:                            ;   in Loop: Header=BB6_13744 Depth=3
	s_mov_b32 s14, -1
	s_mov_b32 s36, exec_lo
                                        ; implicit-def: $sgpr34
	v_cmpx_eq_u16_e32 0x80, v38
; %bb.14427:                            ;   in Loop: Header=BB6_13744 Depth=3
	s_mov_b32 s34, 0x7f800001
	s_xor_b32 s14, exec_lo, -1
; %bb.14428:                            ;   in Loop: Header=BB6_13744 Depth=3
	s_or_b32 exec_lo, exec_lo, s36
	s_delay_alu instid0(SALU_CYCLE_1)
	s_and_b32 s14, s14, exec_lo
	s_or_saveexec_b32 s35, s35
	v_mov_b32_e32 v39, s34
	s_xor_b32 exec_lo, exec_lo, s35
	s_cbranch_execz .LBB6_14139
.LBB6_14429:                            ;   in Loop: Header=BB6_13744 Depth=3
	v_cmp_ne_u16_e32 vcc_lo, 0, v38
	v_mov_b32_e32 v39, 0
	s_and_not1_b32 s14, s14, exec_lo
	s_and_b32 vcc_lo, vcc_lo, exec_lo
	s_delay_alu instid0(SALU_CYCLE_1)
	s_or_b32 s14, s14, vcc_lo
	s_or_b32 exec_lo, exec_lo, s35
	s_and_saveexec_b32 s34, s14
	s_cbranch_execnz .LBB6_14140
	s_branch .LBB6_14141
.LBB6_14430:                            ;   in Loop: Header=BB6_13744 Depth=3
	s_mov_b32 s14, -1
	s_mov_b32 s36, exec_lo
                                        ; implicit-def: $sgpr34
	v_cmpx_eq_u16_e32 0x80, v50
; %bb.14431:                            ;   in Loop: Header=BB6_13744 Depth=3
	s_mov_b32 s34, 0x7f800001
	s_xor_b32 s14, exec_lo, -1
; %bb.14432:                            ;   in Loop: Header=BB6_13744 Depth=3
	s_or_b32 exec_lo, exec_lo, s36
	s_delay_alu instid0(SALU_CYCLE_1)
	s_and_b32 s14, s14, exec_lo
                                        ; implicit-def: $vgpr50
	s_or_saveexec_b32 s35, s35
	v_mov_b32_e32 v49, s34
	s_xor_b32 exec_lo, exec_lo, s35
	s_cbranch_execz .LBB6_14153
.LBB6_14433:                            ;   in Loop: Header=BB6_13744 Depth=3
	v_cmp_ne_u16_e32 vcc_lo, 0, v50
	v_mov_b32_e32 v49, 0
	s_and_not1_b32 s14, s14, exec_lo
	s_and_b32 vcc_lo, vcc_lo, exec_lo
	s_delay_alu instid0(SALU_CYCLE_1)
	s_or_b32 s14, s14, vcc_lo
	s_or_b32 exec_lo, exec_lo, s35
	s_and_saveexec_b32 s34, s14
	s_cbranch_execnz .LBB6_14154
	s_branch .LBB6_14155
.LBB6_14434:                            ;   in Loop: Header=BB6_13744 Depth=3
	s_mov_b32 s14, -1
	s_mov_b32 s36, exec_lo
                                        ; implicit-def: $sgpr34
	v_cmpx_eq_u16_e32 0x80, v51
; %bb.14435:                            ;   in Loop: Header=BB6_13744 Depth=3
	s_mov_b32 s34, 0x7f800001
	s_xor_b32 s14, exec_lo, -1
; %bb.14436:                            ;   in Loop: Header=BB6_13744 Depth=3
	s_or_b32 exec_lo, exec_lo, s36
	s_delay_alu instid0(SALU_CYCLE_1)
	s_and_b32 s14, s14, exec_lo
                                        ; implicit-def: $vgpr51
	s_or_saveexec_b32 s35, s35
	v_mov_b32_e32 v50, s34
	s_xor_b32 exec_lo, exec_lo, s35
	s_cbranch_execz .LBB6_14157
.LBB6_14437:                            ;   in Loop: Header=BB6_13744 Depth=3
	v_cmp_ne_u16_e32 vcc_lo, 0, v51
	v_mov_b32_e32 v50, 0
	s_and_not1_b32 s14, s14, exec_lo
	s_and_b32 vcc_lo, vcc_lo, exec_lo
	s_delay_alu instid0(SALU_CYCLE_1)
	s_or_b32 s14, s14, vcc_lo
	s_or_b32 exec_lo, exec_lo, s35
	s_and_saveexec_b32 s34, s14
	s_cbranch_execnz .LBB6_14158
	s_branch .LBB6_14159
.LBB6_14438:                            ;   in Loop: Header=BB6_13744 Depth=3
	s_mov_b32 s14, -1
	s_mov_b32 s36, exec_lo
                                        ; implicit-def: $sgpr34
	v_cmpx_eq_u16_e32 0x80, v50
; %bb.14439:                            ;   in Loop: Header=BB6_13744 Depth=3
	s_mov_b32 s34, 0x7f800001
	s_xor_b32 s14, exec_lo, -1
; %bb.14440:                            ;   in Loop: Header=BB6_13744 Depth=3
	s_or_b32 exec_lo, exec_lo, s36
	s_delay_alu instid0(SALU_CYCLE_1)
	s_and_b32 s14, s14, exec_lo
                                        ; implicit-def: $vgpr50
	s_or_saveexec_b32 s35, s35
	v_mov_b32_e32 v49, s34
	s_xor_b32 exec_lo, exec_lo, s35
	s_cbranch_execz .LBB6_14164
.LBB6_14441:                            ;   in Loop: Header=BB6_13744 Depth=3
	v_cmp_ne_u16_e32 vcc_lo, 0, v50
	v_mov_b32_e32 v49, 0
	s_and_not1_b32 s14, s14, exec_lo
	s_and_b32 vcc_lo, vcc_lo, exec_lo
	s_delay_alu instid0(SALU_CYCLE_1)
	s_or_b32 s14, s14, vcc_lo
	s_or_b32 exec_lo, exec_lo, s35
	s_and_saveexec_b32 s34, s14
	s_cbranch_execnz .LBB6_14165
	s_branch .LBB6_14166
.LBB6_14442:                            ;   in Loop: Header=BB6_13744 Depth=3
	s_mov_b32 s14, -1
	s_mov_b32 s36, exec_lo
                                        ; implicit-def: $sgpr34
	v_cmpx_eq_u16_e32 0x80, v50
; %bb.14443:                            ;   in Loop: Header=BB6_13744 Depth=3
	s_mov_b32 s34, 0x7f800001
	s_xor_b32 s14, exec_lo, -1
; %bb.14444:                            ;   in Loop: Header=BB6_13744 Depth=3
	s_or_b32 exec_lo, exec_lo, s36
	s_delay_alu instid0(SALU_CYCLE_1)
	s_and_b32 s14, s14, exec_lo
                                        ; implicit-def: $vgpr50
	s_or_saveexec_b32 s35, s35
	v_mov_b32_e32 v48, s34
	s_xor_b32 exec_lo, exec_lo, s35
	s_cbranch_execz .LBB6_14168
.LBB6_14445:                            ;   in Loop: Header=BB6_13744 Depth=3
	v_cmp_ne_u16_e32 vcc_lo, 0, v50
	v_mov_b32_e32 v48, 0
	s_and_not1_b32 s14, s14, exec_lo
	s_and_b32 vcc_lo, vcc_lo, exec_lo
	s_delay_alu instid0(SALU_CYCLE_1)
	s_or_b32 s14, s14, vcc_lo
	s_or_b32 exec_lo, exec_lo, s35
	s_and_saveexec_b32 s34, s14
	s_cbranch_execnz .LBB6_14169
	s_branch .LBB6_14170
.LBB6_14446:                            ;   in Loop: Header=BB6_13744 Depth=3
	s_mov_b32 s14, -1
	s_mov_b32 s36, exec_lo
                                        ; implicit-def: $sgpr34
	v_cmpx_eq_u16_e32 0x80, v49
; %bb.14447:                            ;   in Loop: Header=BB6_13744 Depth=3
	s_mov_b32 s34, 0x7f800001
	s_xor_b32 s14, exec_lo, -1
; %bb.14448:                            ;   in Loop: Header=BB6_13744 Depth=3
	s_or_b32 exec_lo, exec_lo, s36
	s_delay_alu instid0(SALU_CYCLE_1)
	s_and_b32 s14, s14, exec_lo
	s_or_saveexec_b32 s35, s35
	v_mov_b32_e32 v50, s34
	s_xor_b32 exec_lo, exec_lo, s35
	s_cbranch_execz .LBB6_14182
.LBB6_14449:                            ;   in Loop: Header=BB6_13744 Depth=3
	v_cmp_ne_u16_e32 vcc_lo, 0, v49
	v_mov_b32_e32 v50, 0
	s_and_not1_b32 s14, s14, exec_lo
	s_and_b32 vcc_lo, vcc_lo, exec_lo
	s_delay_alu instid0(SALU_CYCLE_1)
	s_or_b32 s14, s14, vcc_lo
	s_or_b32 exec_lo, exec_lo, s35
	s_and_saveexec_b32 s34, s14
	s_cbranch_execnz .LBB6_14183
	s_branch .LBB6_14184
.LBB6_14450:                            ;   in Loop: Header=BB6_13744 Depth=3
	s_mov_b32 s14, -1
	s_mov_b32 s36, exec_lo
                                        ; implicit-def: $sgpr34
	v_cmpx_eq_u16_e32 0x80, v48
; %bb.14451:                            ;   in Loop: Header=BB6_13744 Depth=3
	s_mov_b32 s34, 0x7f800001
	s_xor_b32 s14, exec_lo, -1
; %bb.14452:                            ;   in Loop: Header=BB6_13744 Depth=3
	s_or_b32 exec_lo, exec_lo, s36
	s_delay_alu instid0(SALU_CYCLE_1)
	s_and_b32 s14, s14, exec_lo
	s_or_saveexec_b32 s35, s35
	v_mov_b32_e32 v51, s34
	s_xor_b32 exec_lo, exec_lo, s35
	s_cbranch_execz .LBB6_14186
.LBB6_14453:                            ;   in Loop: Header=BB6_13744 Depth=3
	v_cmp_ne_u16_e32 vcc_lo, 0, v48
	v_mov_b32_e32 v51, 0
	s_and_not1_b32 s14, s14, exec_lo
	s_and_b32 vcc_lo, vcc_lo, exec_lo
	s_delay_alu instid0(SALU_CYCLE_1)
	s_or_b32 s14, s14, vcc_lo
	s_or_b32 exec_lo, exec_lo, s35
	s_and_saveexec_b32 s34, s14
	s_cbranch_execnz .LBB6_14187
	s_branch .LBB6_14188
.LBB6_14454:                            ;   in Loop: Header=BB6_13744 Depth=3
	s_mov_b32 s14, -1
	s_mov_b32 s36, exec_lo
                                        ; implicit-def: $sgpr34
	v_cmpx_eq_u16_e32 0x80, v49
; %bb.14455:                            ;   in Loop: Header=BB6_13744 Depth=3
	s_mov_b32 s34, 0x7f800001
	s_xor_b32 s14, exec_lo, -1
; %bb.14456:                            ;   in Loop: Header=BB6_13744 Depth=3
	s_or_b32 exec_lo, exec_lo, s36
	s_delay_alu instid0(SALU_CYCLE_1)
	s_and_b32 s14, s14, exec_lo
	s_or_saveexec_b32 s35, s35
	v_mov_b32_e32 v50, s34
	s_xor_b32 exec_lo, exec_lo, s35
	s_cbranch_execz .LBB6_14193
.LBB6_14457:                            ;   in Loop: Header=BB6_13744 Depth=3
	v_cmp_ne_u16_e32 vcc_lo, 0, v49
	v_mov_b32_e32 v50, 0
	s_and_not1_b32 s14, s14, exec_lo
	s_and_b32 vcc_lo, vcc_lo, exec_lo
	s_delay_alu instid0(SALU_CYCLE_1)
	s_or_b32 s14, s14, vcc_lo
	s_or_b32 exec_lo, exec_lo, s35
	s_and_saveexec_b32 s34, s14
	s_cbranch_execnz .LBB6_14194
	s_branch .LBB6_14195
.LBB6_14458:                            ;   in Loop: Header=BB6_13744 Depth=3
	s_mov_b32 s14, -1
	s_mov_b32 s36, exec_lo
                                        ; implicit-def: $sgpr34
	v_cmpx_eq_u16_e32 0x80, v48
; %bb.14459:                            ;   in Loop: Header=BB6_13744 Depth=3
	s_mov_b32 s34, 0x7f800001
	s_xor_b32 s14, exec_lo, -1
; %bb.14460:                            ;   in Loop: Header=BB6_13744 Depth=3
	s_or_b32 exec_lo, exec_lo, s36
	s_delay_alu instid0(SALU_CYCLE_1)
	s_and_b32 s14, s14, exec_lo
	s_or_saveexec_b32 s35, s35
	v_mov_b32_e32 v15, s34
	s_xor_b32 exec_lo, exec_lo, s35
	s_cbranch_execz .LBB6_14197
.LBB6_14461:                            ;   in Loop: Header=BB6_13744 Depth=3
	v_cmp_ne_u16_e32 vcc_lo, 0, v48
	v_mov_b32_e32 v15, 0
	s_and_not1_b32 s14, s14, exec_lo
	s_and_b32 vcc_lo, vcc_lo, exec_lo
	s_delay_alu instid0(SALU_CYCLE_1)
	s_or_b32 s14, s14, vcc_lo
	s_or_b32 exec_lo, exec_lo, s35
	s_and_saveexec_b32 s34, s14
	s_cbranch_execnz .LBB6_14198
	s_branch .LBB6_14199
.LBB6_14462:                            ;   in Loop: Header=BB6_5644 Depth=2
	s_or_b32 exec_lo, exec_lo, s17
.LBB6_14463:                            ;   in Loop: Header=BB6_5644 Depth=2
	s_delay_alu instid0(SALU_CYCLE_1) | instskip(SKIP_3) | instid1(VALU_DEP_1)
	s_or_b32 exec_lo, exec_lo, s16
	v_dual_mov_b32 v14, 0 :: v_dual_and_b32 v9, 15, v182
	s_mov_b32 s14, 0
	s_mov_b32 s16, exec_lo
                                        ; implicit-def: $vgpr16
                                        ; implicit-def: $vgpr8
	v_cndmask_b32_e64 v15, v24, v9, s13
	s_delay_alu instid0(VALU_DEP_1)
	v_cmpx_ne_u32_e32 0, v15
	s_cbranch_execz .LBB6_14465
; %bb.14464:                            ;   in Loop: Header=BB6_5644 Depth=2
	v_cmp_lt_i32_e32 vcc_lo, 0, v25
	v_sub_nc_u32_e32 v9, v24, v9
	s_mov_b32 s14, exec_lo
	v_cndmask_b32_e32 v8, 0, v129, vcc_lo
	s_delay_alu instid0(VALU_DEP_2) | instskip(NEXT) | instid1(VALU_DEP_2)
	v_cndmask_b32_e64 v9, 0, v9, s13
	v_sub_nc_u32_e32 v8, v8, v25
	s_delay_alu instid0(VALU_DEP_2) | instskip(NEXT) | instid1(VALU_DEP_2)
	v_add3_u32 v14, v2, v22, v9
	v_lshl_add_u32 v16, v8, 5, v23
	s_delay_alu instid0(VALU_DEP_1) | instskip(NEXT) | instid1(VALU_DEP_1)
	v_ashrrev_i32_e32 v8, 31, v16
	v_lshrrev_b32_e32 v8, 27, v8
	s_delay_alu instid0(VALU_DEP_1) | instskip(NEXT) | instid1(VALU_DEP_1)
	v_add_nc_u32_e32 v8, v16, v8
	v_ashrrev_i32_e32 v8, 5, v8
.LBB6_14465:                            ;   in Loop: Header=BB6_5644 Depth=2
	s_or_b32 exec_lo, exec_lo, s16
	s_delay_alu instid0(SALU_CYCLE_1)
	s_and_b32 s13, s14, exec_lo
.LBB6_14466:                            ;   in Loop: Header=BB6_5644 Depth=2
	s_or_b32 exec_lo, exec_lo, s15
.LBB6_14467:                            ;   in Loop: Header=BB6_5644 Depth=2
	s_and_saveexec_b32 s14, s13
	s_cbranch_execz .LBB6_15964
; %bb.14468:                            ;   in Loop: Header=BB6_5644 Depth=2
	v_ashrrev_i32_e32 v2, 31, v15
	s_mov_b32 s15, exec_lo
	s_delay_alu instid0(VALU_DEP_1) | instskip(NEXT) | instid1(VALU_DEP_1)
	v_lshrrev_b32_e32 v2, 22, v2
	v_add_nc_u32_e32 v2, v15, v2
	s_delay_alu instid0(VALU_DEP_1) | instskip(NEXT) | instid1(VALU_DEP_1)
	v_ashrrev_i32_e32 v17, 10, v2
	v_sub_nc_u32_e32 v2, v17, v8
	s_delay_alu instid0(VALU_DEP_1)
	v_cmpx_lt_i32_e32 0, v2
	s_cbranch_execz .LBB6_15913
; %bb.14469:                            ;   in Loop: Header=BB6_5644 Depth=2
	s_cbranch_execnz .LBB6_17020
; %bb.14470:                            ;   in Loop: Header=BB6_5644 Depth=2
	v_ashrrev_i32_e32 v9, 31, v16
	ds_load_b64 v[18:19], v0
	v_lshlrev_b32_e32 v8, 10, v8
	s_bitcmp1_b32 s30, 0
	s_mov_b32 s17, 0
	v_lshrrev_b32_e32 v9, 27, v9
	s_cselect_b32 s16, -1, 0
	s_delay_alu instid0(VALU_DEP_1) | instskip(NEXT) | instid1(VALU_DEP_1)
	v_add_nc_u32_e32 v9, v16, v9
	v_and_b32_e32 v13, 0xffffffe0, v9
	ds_load_b128 v[9:12], v0
	v_sub_nc_u32_e32 v13, v16, v13
	s_waitcnt lgkmcnt(1)
	v_add_co_u32 v18, vcc_lo, 0x3e0, v18
	v_add_co_ci_u32_e32 v19, vcc_lo, 0, v19, vcc_lo
	s_delay_alu instid0(VALU_DEP_3) | instskip(NEXT) | instid1(VALU_DEP_1)
	v_add3_u32 v13, v14, v13, v8
	v_ashrrev_i32_e32 v20, 31, v13
	s_waitcnt lgkmcnt(0)
	v_add_co_u32 v8, vcc_lo, v9, v13
	s_delay_alu instid0(VALU_DEP_2)
	v_add_co_ci_u32_e32 v9, vcc_lo, v10, v20, vcc_lo
	v_add_co_u32 v10, vcc_lo, v11, v13
	v_add_co_ci_u32_e32 v11, vcc_lo, v12, v20, vcc_lo
	v_add_co_u32 v12, vcc_lo, v18, v13
	v_add_co_ci_u32_e32 v13, vcc_lo, v19, v20, vcc_lo
	s_branch .LBB6_14474
.LBB6_14471:                            ;   in Loop: Header=BB6_14474 Depth=3
	s_or_b32 exec_lo, exec_lo, s13
	s_delay_alu instid0(VALU_DEP_1) | instskip(NEXT) | instid1(VALU_DEP_2)
	v_lshrrev_b32_e32 v19, 20, v19
	v_cmp_gt_i32_e32 vcc_lo, 16, v18
	v_lshrrev_b32_e32 v22, 24, v22
	v_min_i32_e32 v25, 15, v18
	s_delay_alu instid0(VALU_DEP_2) | instskip(NEXT) | instid1(VALU_DEP_1)
	v_dual_cndmask_b32 v19, 7, v19 :: v_dual_and_b32 v22, 0x80, v22
	v_or_b32_e32 v18, v18, v19
	v_and_b32_e32 v32, 7, v19
	s_delay_alu instid0(VALU_DEP_2) | instskip(SKIP_1) | instid1(VALU_DEP_1)
	v_cmp_ne_u32_e32 vcc_lo, 0, v18
	v_lshlrev_b32_e32 v25, 3, v25
	v_or3_b32 v19, v25, v22, v32
	s_delay_alu instid0(VALU_DEP_1)
	v_cndmask_b32_e32 v18, 0, v19, vcc_lo
.LBB6_14472:                            ;   in Loop: Header=BB6_14474 Depth=3
	s_or_b32 exec_lo, exec_lo, s34
.LBB6_14473:                            ;   in Loop: Header=BB6_14474 Depth=3
	s_delay_alu instid0(SALU_CYCLE_1)
	s_or_b32 exec_lo, exec_lo, s31
	v_add_co_u32 v73, vcc_lo, 0xfffffc20, v12
	v_add_co_ci_u32_e32 v74, vcc_lo, -1, v13, vcc_lo
	v_add_co_u32 v19, vcc_lo, 0xfffffc40, v12
	v_sub_nc_u32_e32 v2, v2, v129
	flat_store_b8 v[73:74], v20 glc slc dlc
	v_add_co_ci_u32_e32 v20, vcc_lo, -1, v13, vcc_lo
	v_add_co_u32 v73, vcc_lo, 0xfffffc60, v12
	v_add_co_ci_u32_e32 v74, vcc_lo, -1, v13, vcc_lo
	v_add_co_u32 v75, vcc_lo, 0xfffffc80, v12
	v_add_co_ci_u32_e32 v76, vcc_lo, -1, v13, vcc_lo
	v_add_co_u32 v77, vcc_lo, 0xfffffca0, v12
	v_add_co_ci_u32_e32 v78, vcc_lo, -1, v13, vcc_lo
	v_add_co_u32 v88, vcc_lo, 0xfffffcc0, v12
	v_add_co_ci_u32_e32 v89, vcc_lo, -1, v13, vcc_lo
	flat_store_b8 v[19:20], v23 glc slc dlc
	flat_store_b8 v[73:74], v26 glc slc dlc
	flat_store_b8 v[75:76], v33 glc slc dlc
	flat_store_b8 v[77:78], v36 glc slc dlc
	flat_store_b8 v[88:89], v39 glc slc dlc
	v_add_co_u32 v19, vcc_lo, 0xfffffce0, v12
	v_add_co_ci_u32_e32 v20, vcc_lo, -1, v13, vcc_lo
	v_add_co_u32 v22, vcc_lo, 0xfffffd00, v12
	v_add_co_ci_u32_e32 v23, vcc_lo, -1, v13, vcc_lo
	v_add_co_u32 v25, vcc_lo, 0xfffffd20, v12
	v_add_co_ci_u32_e32 v26, vcc_lo, -1, v13, vcc_lo
	v_add_co_u32 v32, vcc_lo, 0xfffffd40, v12
	v_add_co_ci_u32_e32 v33, vcc_lo, -1, v13, vcc_lo
	v_add_co_u32 v35, vcc_lo, 0xfffffd60, v12
	v_add_co_ci_u32_e32 v36, vcc_lo, -1, v13, vcc_lo
	flat_store_b8 v[19:20], v50 glc slc dlc
	flat_store_b8 v[22:23], v102 glc slc dlc
	flat_store_b8 v[25:26], v114 glc slc dlc
	flat_store_b8 v[32:33], v117 glc slc dlc
	flat_store_b8 v[35:36], v41 glc slc dlc
	v_add_co_u32 v19, vcc_lo, 0xfffffd80, v12
	;; [unrolled: 15-line block ×5, first 2 shown]
	v_add_co_ci_u32_e32 v20, vcc_lo, -1, v13, vcc_lo
	v_add_co_u32 v22, vcc_lo, 0xffffff80, v12
	v_add_co_ci_u32_e32 v23, vcc_lo, -1, v13, vcc_lo
	v_add_co_u32 v25, vcc_lo, 0xffffffa0, v12
	;; [unrolled: 2-line block ×5, first 2 shown]
	v_add_co_ci_u32_e32 v9, vcc_lo, v9, v160, vcc_lo
	v_add_co_u32 v10, vcc_lo, v10, v151
	v_add_co_ci_u32_e32 v11, vcc_lo, v11, v160, vcc_lo
	flat_store_b8 v[19:20], v37 glc slc dlc
	flat_store_b8 v[22:23], v34 glc slc dlc
	;; [unrolled: 1-line block ×6, first 2 shown]
	v_cmp_gt_i32_e32 vcc_lo, 1, v2
	v_add_co_u32 v12, s13, v12, v151
	s_delay_alu instid0(VALU_DEP_1) | instskip(SKIP_1) | instid1(SALU_CYCLE_1)
	v_add_co_ci_u32_e64 v13, s13, v13, v160, s13
	s_or_b32 s17, vcc_lo, s17
	s_and_not1_b32 exec_lo, exec_lo, s17
	s_cbranch_execz .LBB6_15912
.LBB6_14474:                            ;   Parent Loop BB6_51 Depth=1
                                        ;     Parent Loop BB6_5644 Depth=2
                                        ; =>    This Inner Loop Header: Depth=3
	s_clause 0x1f
	flat_load_u8 v104, v[8:9] slc dlc
	flat_load_u8 v95, v[8:9] offset:32 slc dlc
	flat_load_u8 v94, v[8:9] offset:64 slc dlc
	;; [unrolled: 1-line block ×31, first 2 shown]
	s_clause 0x1f
	flat_load_u8 v20, v[10:11] slc dlc
	flat_load_u8 v23, v[10:11] offset:32 slc dlc
	flat_load_u8 v26, v[10:11] offset:64 slc dlc
	;; [unrolled: 1-line block ×31, first 2 shown]
	s_and_b32 vcc_lo, exec_lo, s16
	s_cbranch_vccz .LBB6_14484
; %bb.14475:                            ;   in Loop: Header=BB6_14474 Depth=3
	s_waitcnt vmcnt(62) lgkmcnt(62)
	v_and_b32_e32 v106, 0xff, v104
	s_mov_b32 s13, 0
	s_mov_b32 s34, exec_lo
                                        ; implicit-def: $sgpr31
	s_delay_alu instid0(VALU_DEP_1)
	v_cmpx_lt_i16_e32 0x7f, v106
	s_xor_b32 s34, exec_lo, s34
	s_cbranch_execnz .LBB6_15400
; %bb.14476:                            ;   in Loop: Header=BB6_14474 Depth=3
	s_or_saveexec_b32 s34, s34
	v_mov_b32_e32 v105, s31
	s_xor_b32 exec_lo, exec_lo, s34
	s_cbranch_execnz .LBB6_15403
.LBB6_14477:                            ;   in Loop: Header=BB6_14474 Depth=3
	s_or_b32 exec_lo, exec_lo, s34
	s_and_saveexec_b32 s31, s13
	s_cbranch_execz .LBB6_14479
.LBB6_14478:                            ;   in Loop: Header=BB6_14474 Depth=3
	v_lshrrev_b16 v108, 3, v104
	v_lshlrev_b32_e32 v109, 24, v104
	s_delay_alu instid0(VALU_DEP_2) | instskip(NEXT) | instid1(VALU_DEP_1)
	v_and_b32_e32 v108, 15, v108
	v_cmp_eq_u32_e32 vcc_lo, 0, v108
	v_and_b32_e32 v105, 7, v104
	s_delay_alu instid0(VALU_DEP_1) | instskip(NEXT) | instid1(VALU_DEP_1)
	v_clz_i32_u32_e32 v106, v105
	v_min_u32_e32 v106, 32, v106
	s_delay_alu instid0(VALU_DEP_1) | instskip(SKIP_1) | instid1(VALU_DEP_1)
	v_subrev_nc_u32_e32 v107, 28, v106
	v_sub_nc_u32_e32 v106, 29, v106
	v_dual_cndmask_b32 v106, v108, v106 :: v_dual_lshlrev_b32 v107, v107, v104
	s_delay_alu instid0(VALU_DEP_1) | instskip(NEXT) | instid1(VALU_DEP_2)
	v_and_b32_e32 v107, 7, v107
	v_lshl_add_u32 v106, v106, 23, 0x3b800000
	s_delay_alu instid0(VALU_DEP_2) | instskip(SKIP_1) | instid1(VALU_DEP_2)
	v_cndmask_b32_e32 v105, v105, v107, vcc_lo
	v_and_b32_e32 v107, 0x80000000, v109
	v_lshlrev_b32_e32 v105, 20, v105
	s_delay_alu instid0(VALU_DEP_1)
	v_or3_b32 v105, v107, v106, v105
.LBB6_14479:                            ;   in Loop: Header=BB6_14474 Depth=3
	s_or_b32 exec_lo, exec_lo, s31
	s_waitcnt vmcnt(31) lgkmcnt(31)
	v_and_b32_e32 v107, 0xff, v20
	s_mov_b32 s13, 0
	s_mov_b32 s34, exec_lo
                                        ; implicit-def: $sgpr31
	s_delay_alu instid0(VALU_DEP_1)
	v_cmpx_lt_i16_e32 0x7f, v107
	s_xor_b32 s34, exec_lo, s34
	s_cbranch_execnz .LBB6_15404
; %bb.14480:                            ;   in Loop: Header=BB6_14474 Depth=3
	s_or_saveexec_b32 s34, s34
	v_mov_b32_e32 v106, s31
	s_xor_b32 exec_lo, exec_lo, s34
	s_cbranch_execnz .LBB6_15407
.LBB6_14481:                            ;   in Loop: Header=BB6_14474 Depth=3
	s_or_b32 exec_lo, exec_lo, s34
	s_and_saveexec_b32 s31, s13
	s_cbranch_execz .LBB6_14483
.LBB6_14482:                            ;   in Loop: Header=BB6_14474 Depth=3
	v_lshrrev_b16 v109, 3, v20
	v_lshlrev_b32_e32 v110, 24, v20
	s_delay_alu instid0(VALU_DEP_2) | instskip(NEXT) | instid1(VALU_DEP_1)
	v_and_b32_e32 v109, 15, v109
	v_cmp_eq_u32_e32 vcc_lo, 0, v109
	v_and_b32_e32 v106, 7, v20
	s_delay_alu instid0(VALU_DEP_1) | instskip(NEXT) | instid1(VALU_DEP_1)
	v_clz_i32_u32_e32 v107, v106
	v_min_u32_e32 v107, 32, v107
	s_delay_alu instid0(VALU_DEP_1) | instskip(SKIP_1) | instid1(VALU_DEP_1)
	v_subrev_nc_u32_e32 v108, 28, v107
	v_sub_nc_u32_e32 v107, 29, v107
	v_dual_cndmask_b32 v107, v109, v107 :: v_dual_lshlrev_b32 v108, v108, v20
	s_delay_alu instid0(VALU_DEP_1) | instskip(NEXT) | instid1(VALU_DEP_2)
	v_and_b32_e32 v108, 7, v108
	v_lshl_add_u32 v107, v107, 23, 0x3b800000
	s_delay_alu instid0(VALU_DEP_2) | instskip(SKIP_1) | instid1(VALU_DEP_2)
	v_cndmask_b32_e32 v106, v106, v108, vcc_lo
	v_and_b32_e32 v108, 0x80000000, v110
	v_lshlrev_b32_e32 v106, 20, v106
	s_delay_alu instid0(VALU_DEP_1)
	v_or3_b32 v106, v108, v107, v106
.LBB6_14483:                            ;   in Loop: Header=BB6_14474 Depth=3
	s_or_b32 exec_lo, exec_lo, s31
	s_delay_alu instid0(VALU_DEP_1) | instskip(SKIP_1) | instid1(VALU_DEP_1)
	v_dual_max_f32 v106, v106, v106 :: v_dual_max_f32 v105, v105, v105
	s_mov_b32 s13, 0
	v_max_f32_e32 v105, v105, v106
	s_branch .LBB6_14485
.LBB6_14484:                            ;   in Loop: Header=BB6_14474 Depth=3
	s_mov_b32 s13, -1
                                        ; implicit-def: $vgpr105
.LBB6_14485:                            ;   in Loop: Header=BB6_14474 Depth=3
	s_delay_alu instid0(SALU_CYCLE_1)
	s_and_b32 vcc_lo, exec_lo, s13
	s_cbranch_vccz .LBB6_14495
; %bb.14486:                            ;   in Loop: Header=BB6_14474 Depth=3
	s_waitcnt vmcnt(62) lgkmcnt(62)
	v_and_b32_e32 v106, 0xff, v104
	s_mov_b32 s13, 0
	s_mov_b32 s34, exec_lo
                                        ; implicit-def: $sgpr31
	s_delay_alu instid0(VALU_DEP_1)
	v_cmpx_lt_i16_e32 0x7f, v106
	s_xor_b32 s34, exec_lo, s34
	s_cbranch_execnz .LBB6_15408
; %bb.14487:                            ;   in Loop: Header=BB6_14474 Depth=3
	s_or_saveexec_b32 s34, s34
	v_mov_b32_e32 v105, s31
	s_xor_b32 exec_lo, exec_lo, s34
	s_cbranch_execnz .LBB6_15411
.LBB6_14488:                            ;   in Loop: Header=BB6_14474 Depth=3
	s_or_b32 exec_lo, exec_lo, s34
	s_and_saveexec_b32 s31, s13
	s_cbranch_execz .LBB6_14490
.LBB6_14489:                            ;   in Loop: Header=BB6_14474 Depth=3
	v_lshrrev_b16 v108, 3, v104
	s_delay_alu instid0(VALU_DEP_1) | instskip(NEXT) | instid1(VALU_DEP_1)
	v_and_b32_e32 v108, 15, v108
	v_cmp_eq_u32_e32 vcc_lo, 0, v108
	v_and_b32_e32 v105, 7, v104
	s_delay_alu instid0(VALU_DEP_1) | instskip(NEXT) | instid1(VALU_DEP_1)
	v_clz_i32_u32_e32 v106, v105
	v_min_u32_e32 v106, 32, v106
	s_delay_alu instid0(VALU_DEP_1) | instskip(SKIP_1) | instid1(VALU_DEP_1)
	v_subrev_nc_u32_e32 v107, 28, v106
	v_sub_nc_u32_e32 v106, 29, v106
	v_dual_cndmask_b32 v106, v108, v106 :: v_dual_lshlrev_b32 v107, v107, v104
	v_lshlrev_b32_e32 v104, 24, v104
	s_delay_alu instid0(VALU_DEP_2) | instskip(NEXT) | instid1(VALU_DEP_3)
	v_and_b32_e32 v107, 7, v107
	v_lshl_add_u32 v106, v106, 23, 0x3b800000
	s_delay_alu instid0(VALU_DEP_2) | instskip(NEXT) | instid1(VALU_DEP_1)
	v_dual_cndmask_b32 v105, v105, v107 :: v_dual_and_b32 v104, 0x80000000, v104
	v_lshlrev_b32_e32 v105, 20, v105
	s_delay_alu instid0(VALU_DEP_1)
	v_or3_b32 v105, v104, v106, v105
.LBB6_14490:                            ;   in Loop: Header=BB6_14474 Depth=3
	s_or_b32 exec_lo, exec_lo, s31
	s_waitcnt vmcnt(31) lgkmcnt(31)
	v_and_b32_e32 v106, 0xff, v20
	s_mov_b32 s13, 0
	s_mov_b32 s34, exec_lo
                                        ; implicit-def: $sgpr31
	s_delay_alu instid0(VALU_DEP_1)
	v_cmpx_lt_i16_e32 0x7f, v106
	s_xor_b32 s34, exec_lo, s34
	s_cbranch_execnz .LBB6_15412
; %bb.14491:                            ;   in Loop: Header=BB6_14474 Depth=3
	s_or_saveexec_b32 s34, s34
	v_mov_b32_e32 v104, s31
	s_xor_b32 exec_lo, exec_lo, s34
	s_cbranch_execnz .LBB6_15415
.LBB6_14492:                            ;   in Loop: Header=BB6_14474 Depth=3
	s_or_b32 exec_lo, exec_lo, s34
	s_and_saveexec_b32 s31, s13
	s_cbranch_execz .LBB6_14494
.LBB6_14493:                            ;   in Loop: Header=BB6_14474 Depth=3
	v_and_b32_e32 v104, 7, v20
	v_lshrrev_b16 v108, 3, v20
	s_delay_alu instid0(VALU_DEP_2) | instskip(NEXT) | instid1(VALU_DEP_2)
	v_clz_i32_u32_e32 v106, v104
	v_and_b32_e32 v108, 15, v108
	s_delay_alu instid0(VALU_DEP_2) | instskip(NEXT) | instid1(VALU_DEP_2)
	v_min_u32_e32 v106, 32, v106
	v_cmp_eq_u32_e32 vcc_lo, 0, v108
	s_delay_alu instid0(VALU_DEP_2) | instskip(SKIP_1) | instid1(VALU_DEP_1)
	v_subrev_nc_u32_e32 v107, 28, v106
	v_sub_nc_u32_e32 v106, 29, v106
	v_dual_cndmask_b32 v106, v108, v106 :: v_dual_lshlrev_b32 v107, v107, v20
	v_lshlrev_b32_e32 v20, 24, v20
	s_delay_alu instid0(VALU_DEP_2) | instskip(NEXT) | instid1(VALU_DEP_3)
	v_and_b32_e32 v107, 7, v107
	v_lshl_add_u32 v106, v106, 23, 0x3b800000
	s_delay_alu instid0(VALU_DEP_3) | instskip(NEXT) | instid1(VALU_DEP_3)
	v_and_b32_e32 v20, 0x80000000, v20
	v_cndmask_b32_e32 v104, v104, v107, vcc_lo
	s_delay_alu instid0(VALU_DEP_1) | instskip(NEXT) | instid1(VALU_DEP_1)
	v_lshlrev_b32_e32 v104, 20, v104
	v_or3_b32 v104, v20, v106, v104
.LBB6_14494:                            ;   in Loop: Header=BB6_14474 Depth=3
	s_or_b32 exec_lo, exec_lo, s31
	s_delay_alu instid0(VALU_DEP_1) | instskip(SKIP_1) | instid1(VALU_DEP_1)
	v_max_f32_e32 v20, v104, v104
	v_max_f32_e32 v104, v105, v105
	v_min_f32_e32 v105, v104, v20
.LBB6_14495:                            ;   in Loop: Header=BB6_14474 Depth=3
	s_waitcnt vmcnt(31) lgkmcnt(31)
	s_delay_alu instid0(VALU_DEP_1) | instskip(NEXT) | instid1(VALU_DEP_1)
	v_and_b32_e32 v20, 0x7f800000, v105
	v_cmp_ne_u32_e32 vcc_lo, 0x7f800000, v20
	v_mov_b32_e32 v20, 0x80
	s_and_saveexec_b32 s31, vcc_lo
	s_cbranch_execz .LBB6_14503
; %bb.14496:                            ;   in Loop: Header=BB6_14474 Depth=3
	v_mov_b32_e32 v20, 0
	s_mov_b32 s34, exec_lo
	v_cmpx_ne_u32_e32 0, v105
	s_cbranch_execz .LBB6_14502
; %bb.14497:                            ;   in Loop: Header=BB6_14474 Depth=3
	v_bfe_u32 v20, v105, 23, 8
	v_and_b32_e32 v104, 0x7fffff, v105
	s_delay_alu instid0(VALU_DEP_2) | instskip(SKIP_1) | instid1(VALU_DEP_3)
	v_sub_nc_u32_e32 v106, 0x78, v20
	v_cmp_gt_u32_e32 vcc_lo, 0x79, v20
	v_or_b32_e32 v107, 0x800000, v104
	s_delay_alu instid0(VALU_DEP_3) | instskip(SKIP_2) | instid1(VALU_DEP_3)
	v_cndmask_b32_e32 v106, 0, v106, vcc_lo
	v_cmp_eq_u32_e32 vcc_lo, 0, v20
	v_add_nc_u32_e32 v20, 0xffffff89, v20
	v_cndmask_b32_e64 v106, v106, 0x77, vcc_lo
	v_cndmask_b32_e32 v104, v107, v104, vcc_lo
	s_delay_alu instid0(VALU_DEP_3) | instskip(NEXT) | instid1(VALU_DEP_3)
	v_cndmask_b32_e64 v20, v20, 0xffffff8a, vcc_lo
	v_lshl_add_u32 v107, 0x100000, v106, -1
	s_delay_alu instid0(VALU_DEP_3) | instskip(SKIP_1) | instid1(VALU_DEP_4)
	v_lshrrev_b32_e32 v108, v106, v104
	v_lshlrev_b32_e64 v110, v106, 0x80000
	v_add_nc_u32_e32 v106, v106, v20
	s_delay_alu instid0(VALU_DEP_4) | instskip(NEXT) | instid1(VALU_DEP_4)
	v_and_b32_e32 v104, v107, v104
	v_bfe_u32 v109, v108, 20, 1
	s_delay_alu instid0(VALU_DEP_2) | instskip(NEXT) | instid1(VALU_DEP_2)
	v_cmp_eq_u32_e64 s13, v104, v110
	v_add_nc_u32_e32 v107, -1, v109
	s_delay_alu instid0(VALU_DEP_1) | instskip(SKIP_2) | instid1(VALU_DEP_2)
	v_cndmask_b32_e64 v104, 0, v107, s13
	v_lshrrev_b32_e32 v107, 23, v108
	s_mov_b32 s13, exec_lo
	v_add_nc_u32_e32 v104, v104, v108
	s_delay_alu instid0(VALU_DEP_2) | instskip(NEXT) | instid1(VALU_DEP_2)
	v_xor_b32_e32 v107, 1, v107
	v_and_b32_e32 v20, 0xfffff, v104
	s_delay_alu instid0(VALU_DEP_1) | instskip(NEXT) | instid1(VALU_DEP_3)
	v_add_nc_u32_e32 v104, v20, v108
                                        ; implicit-def: $vgpr20
	v_cmpx_ne_u32_e64 v106, v107
	s_xor_b32 s13, exec_lo, s13
; %bb.14498:                            ;   in Loop: Header=BB6_14474 Depth=3
	s_delay_alu instid0(VALU_DEP_2) | instskip(SKIP_2) | instid1(VALU_DEP_2)
	v_cmp_lt_u32_e32 vcc_lo, 0xffffff, v104
	v_sub_nc_u32_e32 v20, v106, v107
	v_cndmask_b32_e64 v106, 0, 1, vcc_lo
	v_add_co_ci_u32_e32 v20, vcc_lo, 0, v20, vcc_lo
	s_delay_alu instid0(VALU_DEP_2)
	v_lshrrev_b32_e32 v104, v106, v104
; %bb.14499:                            ;   in Loop: Header=BB6_14474 Depth=3
	s_and_not1_saveexec_b32 s13, s13
; %bb.14500:                            ;   in Loop: Header=BB6_14474 Depth=3
	s_delay_alu instid0(VALU_DEP_1)
	v_bfe_u32 v20, v104, 23, 1
; %bb.14501:                            ;   in Loop: Header=BB6_14474 Depth=3
	s_or_b32 exec_lo, exec_lo, s13
	v_lshrrev_b32_e32 v104, 20, v104
	s_delay_alu instid0(VALU_DEP_2) | instskip(SKIP_2) | instid1(VALU_DEP_2)
	v_cmp_gt_i32_e32 vcc_lo, 16, v20
	v_lshrrev_b32_e32 v105, 24, v105
	v_min_i32_e32 v106, 15, v20
	v_dual_cndmask_b32 v104, 7, v104 :: v_dual_and_b32 v105, 0x80, v105
	s_delay_alu instid0(VALU_DEP_2) | instskip(NEXT) | instid1(VALU_DEP_2)
	v_lshlrev_b32_e32 v106, 3, v106
	v_and_b32_e32 v107, 7, v104
	v_or_b32_e32 v20, v20, v104
	s_delay_alu instid0(VALU_DEP_2) | instskip(NEXT) | instid1(VALU_DEP_2)
	v_or3_b32 v104, v106, v105, v107
	v_cmp_ne_u32_e32 vcc_lo, 0, v20
	s_delay_alu instid0(VALU_DEP_2)
	v_cndmask_b32_e32 v20, 0, v104, vcc_lo
.LBB6_14502:                            ;   in Loop: Header=BB6_14474 Depth=3
	s_or_b32 exec_lo, exec_lo, s34
.LBB6_14503:                            ;   in Loop: Header=BB6_14474 Depth=3
	s_delay_alu instid0(SALU_CYCLE_1) | instskip(NEXT) | instid1(SALU_CYCLE_1)
	s_or_b32 exec_lo, exec_lo, s31
	s_and_not1_b32 vcc_lo, exec_lo, s16
	s_cbranch_vccnz .LBB6_14513
; %bb.14504:                            ;   in Loop: Header=BB6_14474 Depth=3
	v_and_b32_e32 v105, 0xff, v95
	s_mov_b32 s13, 0
	s_mov_b32 s34, exec_lo
                                        ; implicit-def: $sgpr31
	s_delay_alu instid0(VALU_DEP_1)
	v_cmpx_lt_i16_e32 0x7f, v105
	s_xor_b32 s34, exec_lo, s34
	s_cbranch_execnz .LBB6_15416
; %bb.14505:                            ;   in Loop: Header=BB6_14474 Depth=3
	s_or_saveexec_b32 s34, s34
	v_mov_b32_e32 v104, s31
	s_xor_b32 exec_lo, exec_lo, s34
	s_cbranch_execnz .LBB6_15419
.LBB6_14506:                            ;   in Loop: Header=BB6_14474 Depth=3
	s_or_b32 exec_lo, exec_lo, s34
	s_and_saveexec_b32 s31, s13
	s_cbranch_execz .LBB6_14508
.LBB6_14507:                            ;   in Loop: Header=BB6_14474 Depth=3
	v_lshrrev_b16 v107, 3, v95
	v_lshlrev_b32_e32 v108, 24, v95
	s_delay_alu instid0(VALU_DEP_2) | instskip(NEXT) | instid1(VALU_DEP_1)
	v_and_b32_e32 v107, 15, v107
	v_cmp_eq_u32_e32 vcc_lo, 0, v107
	v_and_b32_e32 v104, 7, v95
	s_delay_alu instid0(VALU_DEP_1) | instskip(NEXT) | instid1(VALU_DEP_1)
	v_clz_i32_u32_e32 v105, v104
	v_min_u32_e32 v105, 32, v105
	s_delay_alu instid0(VALU_DEP_1) | instskip(SKIP_1) | instid1(VALU_DEP_1)
	v_subrev_nc_u32_e32 v106, 28, v105
	v_sub_nc_u32_e32 v105, 29, v105
	v_dual_cndmask_b32 v105, v107, v105 :: v_dual_lshlrev_b32 v106, v106, v95
	s_delay_alu instid0(VALU_DEP_1) | instskip(NEXT) | instid1(VALU_DEP_2)
	v_and_b32_e32 v106, 7, v106
	v_lshl_add_u32 v105, v105, 23, 0x3b800000
	s_delay_alu instid0(VALU_DEP_2) | instskip(SKIP_1) | instid1(VALU_DEP_2)
	v_cndmask_b32_e32 v104, v104, v106, vcc_lo
	v_and_b32_e32 v106, 0x80000000, v108
	v_lshlrev_b32_e32 v104, 20, v104
	s_delay_alu instid0(VALU_DEP_1)
	v_or3_b32 v104, v106, v105, v104
.LBB6_14508:                            ;   in Loop: Header=BB6_14474 Depth=3
	s_or_b32 exec_lo, exec_lo, s31
	s_waitcnt vmcnt(30) lgkmcnt(30)
	v_and_b32_e32 v106, 0xff, v23
	s_mov_b32 s13, 0
	s_mov_b32 s34, exec_lo
                                        ; implicit-def: $sgpr31
	s_delay_alu instid0(VALU_DEP_1)
	v_cmpx_lt_i16_e32 0x7f, v106
	s_xor_b32 s34, exec_lo, s34
	s_cbranch_execnz .LBB6_15420
; %bb.14509:                            ;   in Loop: Header=BB6_14474 Depth=3
	s_or_saveexec_b32 s34, s34
	v_mov_b32_e32 v105, s31
	s_xor_b32 exec_lo, exec_lo, s34
	s_cbranch_execnz .LBB6_15423
.LBB6_14510:                            ;   in Loop: Header=BB6_14474 Depth=3
	s_or_b32 exec_lo, exec_lo, s34
	s_and_saveexec_b32 s31, s13
	s_cbranch_execz .LBB6_14512
.LBB6_14511:                            ;   in Loop: Header=BB6_14474 Depth=3
	v_lshrrev_b16 v108, 3, v23
	v_lshlrev_b32_e32 v109, 24, v23
	s_delay_alu instid0(VALU_DEP_2) | instskip(NEXT) | instid1(VALU_DEP_1)
	v_and_b32_e32 v108, 15, v108
	v_cmp_eq_u32_e32 vcc_lo, 0, v108
	v_and_b32_e32 v105, 7, v23
	s_delay_alu instid0(VALU_DEP_1) | instskip(NEXT) | instid1(VALU_DEP_1)
	v_clz_i32_u32_e32 v106, v105
	v_min_u32_e32 v106, 32, v106
	s_delay_alu instid0(VALU_DEP_1) | instskip(SKIP_1) | instid1(VALU_DEP_1)
	v_subrev_nc_u32_e32 v107, 28, v106
	v_sub_nc_u32_e32 v106, 29, v106
	v_dual_cndmask_b32 v106, v108, v106 :: v_dual_lshlrev_b32 v107, v107, v23
	s_delay_alu instid0(VALU_DEP_1) | instskip(NEXT) | instid1(VALU_DEP_2)
	v_and_b32_e32 v107, 7, v107
	v_lshl_add_u32 v106, v106, 23, 0x3b800000
	s_delay_alu instid0(VALU_DEP_2) | instskip(SKIP_1) | instid1(VALU_DEP_2)
	v_cndmask_b32_e32 v105, v105, v107, vcc_lo
	v_and_b32_e32 v107, 0x80000000, v109
	v_lshlrev_b32_e32 v105, 20, v105
	s_delay_alu instid0(VALU_DEP_1)
	v_or3_b32 v105, v107, v106, v105
.LBB6_14512:                            ;   in Loop: Header=BB6_14474 Depth=3
	s_or_b32 exec_lo, exec_lo, s31
	s_delay_alu instid0(VALU_DEP_1) | instskip(SKIP_1) | instid1(VALU_DEP_1)
	v_dual_max_f32 v105, v105, v105 :: v_dual_max_f32 v104, v104, v104
	s_mov_b32 s13, 0
	v_max_f32_e32 v104, v104, v105
	s_branch .LBB6_14514
.LBB6_14513:                            ;   in Loop: Header=BB6_14474 Depth=3
	s_mov_b32 s13, -1
                                        ; implicit-def: $vgpr104
.LBB6_14514:                            ;   in Loop: Header=BB6_14474 Depth=3
	s_delay_alu instid0(SALU_CYCLE_1)
	s_and_b32 vcc_lo, exec_lo, s13
	s_cbranch_vccz .LBB6_14524
; %bb.14515:                            ;   in Loop: Header=BB6_14474 Depth=3
	v_and_b32_e32 v105, 0xff, v95
	s_mov_b32 s13, 0
	s_mov_b32 s34, exec_lo
                                        ; implicit-def: $sgpr31
	s_delay_alu instid0(VALU_DEP_1)
	v_cmpx_lt_i16_e32 0x7f, v105
	s_xor_b32 s34, exec_lo, s34
	s_cbranch_execnz .LBB6_15424
; %bb.14516:                            ;   in Loop: Header=BB6_14474 Depth=3
	s_or_saveexec_b32 s34, s34
	v_mov_b32_e32 v104, s31
	s_xor_b32 exec_lo, exec_lo, s34
	s_cbranch_execnz .LBB6_15427
.LBB6_14517:                            ;   in Loop: Header=BB6_14474 Depth=3
	s_or_b32 exec_lo, exec_lo, s34
	s_and_saveexec_b32 s31, s13
	s_cbranch_execz .LBB6_14519
.LBB6_14518:                            ;   in Loop: Header=BB6_14474 Depth=3
	v_lshrrev_b16 v107, 3, v95
	s_delay_alu instid0(VALU_DEP_1) | instskip(NEXT) | instid1(VALU_DEP_1)
	v_and_b32_e32 v107, 15, v107
	v_cmp_eq_u32_e32 vcc_lo, 0, v107
	v_and_b32_e32 v104, 7, v95
	s_delay_alu instid0(VALU_DEP_1) | instskip(NEXT) | instid1(VALU_DEP_1)
	v_clz_i32_u32_e32 v105, v104
	v_min_u32_e32 v105, 32, v105
	s_delay_alu instid0(VALU_DEP_1) | instskip(SKIP_1) | instid1(VALU_DEP_1)
	v_subrev_nc_u32_e32 v106, 28, v105
	v_sub_nc_u32_e32 v105, 29, v105
	v_dual_cndmask_b32 v105, v107, v105 :: v_dual_lshlrev_b32 v106, v106, v95
	v_lshlrev_b32_e32 v95, 24, v95
	s_delay_alu instid0(VALU_DEP_2) | instskip(NEXT) | instid1(VALU_DEP_3)
	v_and_b32_e32 v106, 7, v106
	v_lshl_add_u32 v105, v105, 23, 0x3b800000
	s_delay_alu instid0(VALU_DEP_2) | instskip(NEXT) | instid1(VALU_DEP_1)
	v_dual_cndmask_b32 v104, v104, v106 :: v_dual_and_b32 v95, 0x80000000, v95
	v_lshlrev_b32_e32 v104, 20, v104
	s_delay_alu instid0(VALU_DEP_1)
	v_or3_b32 v104, v95, v105, v104
.LBB6_14519:                            ;   in Loop: Header=BB6_14474 Depth=3
	s_or_b32 exec_lo, exec_lo, s31
	s_waitcnt vmcnt(30) lgkmcnt(30)
	v_and_b32_e32 v105, 0xff, v23
	s_mov_b32 s13, 0
	s_mov_b32 s34, exec_lo
                                        ; implicit-def: $sgpr31
	s_delay_alu instid0(VALU_DEP_1)
	v_cmpx_lt_i16_e32 0x7f, v105
	s_xor_b32 s34, exec_lo, s34
	s_cbranch_execnz .LBB6_15428
; %bb.14520:                            ;   in Loop: Header=BB6_14474 Depth=3
	s_or_saveexec_b32 s34, s34
	v_mov_b32_e32 v95, s31
	s_xor_b32 exec_lo, exec_lo, s34
	s_cbranch_execnz .LBB6_15431
.LBB6_14521:                            ;   in Loop: Header=BB6_14474 Depth=3
	s_or_b32 exec_lo, exec_lo, s34
	s_and_saveexec_b32 s31, s13
	s_cbranch_execz .LBB6_14523
.LBB6_14522:                            ;   in Loop: Header=BB6_14474 Depth=3
	v_and_b32_e32 v95, 7, v23
	v_lshrrev_b16 v107, 3, v23
	s_delay_alu instid0(VALU_DEP_2) | instskip(NEXT) | instid1(VALU_DEP_2)
	v_clz_i32_u32_e32 v105, v95
	v_and_b32_e32 v107, 15, v107
	s_delay_alu instid0(VALU_DEP_2) | instskip(NEXT) | instid1(VALU_DEP_2)
	v_min_u32_e32 v105, 32, v105
	v_cmp_eq_u32_e32 vcc_lo, 0, v107
	s_delay_alu instid0(VALU_DEP_2) | instskip(SKIP_1) | instid1(VALU_DEP_1)
	v_subrev_nc_u32_e32 v106, 28, v105
	v_sub_nc_u32_e32 v105, 29, v105
	v_dual_cndmask_b32 v105, v107, v105 :: v_dual_lshlrev_b32 v106, v106, v23
	v_lshlrev_b32_e32 v23, 24, v23
	s_delay_alu instid0(VALU_DEP_2) | instskip(NEXT) | instid1(VALU_DEP_3)
	v_and_b32_e32 v106, 7, v106
	v_lshl_add_u32 v105, v105, 23, 0x3b800000
	s_delay_alu instid0(VALU_DEP_3) | instskip(NEXT) | instid1(VALU_DEP_3)
	v_and_b32_e32 v23, 0x80000000, v23
	v_cndmask_b32_e32 v95, v95, v106, vcc_lo
	s_delay_alu instid0(VALU_DEP_1) | instskip(NEXT) | instid1(VALU_DEP_1)
	v_lshlrev_b32_e32 v95, 20, v95
	v_or3_b32 v95, v23, v105, v95
.LBB6_14523:                            ;   in Loop: Header=BB6_14474 Depth=3
	s_or_b32 exec_lo, exec_lo, s31
	s_delay_alu instid0(VALU_DEP_1) | instskip(SKIP_1) | instid1(VALU_DEP_1)
	v_max_f32_e32 v23, v95, v95
	v_max_f32_e32 v95, v104, v104
	v_min_f32_e32 v104, v95, v23
.LBB6_14524:                            ;   in Loop: Header=BB6_14474 Depth=3
	s_waitcnt vmcnt(30) lgkmcnt(30)
	s_delay_alu instid0(VALU_DEP_1) | instskip(NEXT) | instid1(VALU_DEP_1)
	v_and_b32_e32 v23, 0x7f800000, v104
	v_cmp_ne_u32_e32 vcc_lo, 0x7f800000, v23
	v_mov_b32_e32 v23, 0x80
	s_and_saveexec_b32 s31, vcc_lo
	s_cbranch_execz .LBB6_14532
; %bb.14525:                            ;   in Loop: Header=BB6_14474 Depth=3
	v_mov_b32_e32 v23, 0
	s_mov_b32 s34, exec_lo
	v_cmpx_ne_u32_e32 0, v104
	s_cbranch_execz .LBB6_14531
; %bb.14526:                            ;   in Loop: Header=BB6_14474 Depth=3
	v_bfe_u32 v23, v104, 23, 8
	v_and_b32_e32 v95, 0x7fffff, v104
	s_delay_alu instid0(VALU_DEP_2) | instskip(SKIP_1) | instid1(VALU_DEP_3)
	v_sub_nc_u32_e32 v105, 0x78, v23
	v_cmp_gt_u32_e32 vcc_lo, 0x79, v23
	v_or_b32_e32 v106, 0x800000, v95
	s_delay_alu instid0(VALU_DEP_3) | instskip(SKIP_2) | instid1(VALU_DEP_3)
	v_cndmask_b32_e32 v105, 0, v105, vcc_lo
	v_cmp_eq_u32_e32 vcc_lo, 0, v23
	v_add_nc_u32_e32 v23, 0xffffff89, v23
	v_cndmask_b32_e64 v105, v105, 0x77, vcc_lo
	v_cndmask_b32_e32 v95, v106, v95, vcc_lo
	s_delay_alu instid0(VALU_DEP_3) | instskip(NEXT) | instid1(VALU_DEP_3)
	v_cndmask_b32_e64 v23, v23, 0xffffff8a, vcc_lo
	v_lshl_add_u32 v106, 0x100000, v105, -1
	s_delay_alu instid0(VALU_DEP_3) | instskip(SKIP_1) | instid1(VALU_DEP_4)
	v_lshrrev_b32_e32 v107, v105, v95
	v_lshlrev_b32_e64 v109, v105, 0x80000
	v_add_nc_u32_e32 v105, v105, v23
	s_delay_alu instid0(VALU_DEP_4) | instskip(NEXT) | instid1(VALU_DEP_4)
	v_and_b32_e32 v95, v106, v95
	v_bfe_u32 v108, v107, 20, 1
	s_delay_alu instid0(VALU_DEP_2) | instskip(NEXT) | instid1(VALU_DEP_2)
	v_cmp_eq_u32_e64 s13, v95, v109
	v_add_nc_u32_e32 v106, -1, v108
	s_delay_alu instid0(VALU_DEP_1) | instskip(SKIP_2) | instid1(VALU_DEP_2)
	v_cndmask_b32_e64 v95, 0, v106, s13
	v_lshrrev_b32_e32 v106, 23, v107
	s_mov_b32 s13, exec_lo
	v_add_nc_u32_e32 v95, v95, v107
	s_delay_alu instid0(VALU_DEP_2) | instskip(NEXT) | instid1(VALU_DEP_2)
	v_xor_b32_e32 v106, 1, v106
	v_and_b32_e32 v23, 0xfffff, v95
	s_delay_alu instid0(VALU_DEP_1) | instskip(NEXT) | instid1(VALU_DEP_3)
	v_add_nc_u32_e32 v95, v23, v107
                                        ; implicit-def: $vgpr23
	v_cmpx_ne_u32_e64 v105, v106
	s_xor_b32 s13, exec_lo, s13
; %bb.14527:                            ;   in Loop: Header=BB6_14474 Depth=3
	s_delay_alu instid0(VALU_DEP_2) | instskip(SKIP_2) | instid1(VALU_DEP_2)
	v_cmp_lt_u32_e32 vcc_lo, 0xffffff, v95
	v_sub_nc_u32_e32 v23, v105, v106
	v_cndmask_b32_e64 v105, 0, 1, vcc_lo
	v_add_co_ci_u32_e32 v23, vcc_lo, 0, v23, vcc_lo
	s_delay_alu instid0(VALU_DEP_2)
	v_lshrrev_b32_e32 v95, v105, v95
; %bb.14528:                            ;   in Loop: Header=BB6_14474 Depth=3
	s_and_not1_saveexec_b32 s13, s13
; %bb.14529:                            ;   in Loop: Header=BB6_14474 Depth=3
	s_delay_alu instid0(VALU_DEP_1)
	v_bfe_u32 v23, v95, 23, 1
; %bb.14530:                            ;   in Loop: Header=BB6_14474 Depth=3
	s_or_b32 exec_lo, exec_lo, s13
	v_lshrrev_b32_e32 v95, 20, v95
	s_delay_alu instid0(VALU_DEP_2) | instskip(SKIP_2) | instid1(VALU_DEP_2)
	v_cmp_gt_i32_e32 vcc_lo, 16, v23
	v_lshrrev_b32_e32 v104, 24, v104
	v_min_i32_e32 v105, 15, v23
	v_dual_cndmask_b32 v95, 7, v95 :: v_dual_and_b32 v104, 0x80, v104
	s_delay_alu instid0(VALU_DEP_2) | instskip(NEXT) | instid1(VALU_DEP_2)
	v_lshlrev_b32_e32 v105, 3, v105
	v_and_b32_e32 v106, 7, v95
	v_or_b32_e32 v23, v23, v95
	s_delay_alu instid0(VALU_DEP_2) | instskip(NEXT) | instid1(VALU_DEP_2)
	v_or3_b32 v95, v105, v104, v106
	v_cmp_ne_u32_e32 vcc_lo, 0, v23
	s_delay_alu instid0(VALU_DEP_2)
	v_cndmask_b32_e32 v23, 0, v95, vcc_lo
.LBB6_14531:                            ;   in Loop: Header=BB6_14474 Depth=3
	s_or_b32 exec_lo, exec_lo, s34
.LBB6_14532:                            ;   in Loop: Header=BB6_14474 Depth=3
	s_delay_alu instid0(SALU_CYCLE_1) | instskip(NEXT) | instid1(SALU_CYCLE_1)
	s_or_b32 exec_lo, exec_lo, s31
	s_and_not1_b32 vcc_lo, exec_lo, s16
	s_cbranch_vccnz .LBB6_14542
; %bb.14533:                            ;   in Loop: Header=BB6_14474 Depth=3
	v_and_b32_e32 v104, 0xff, v94
	s_mov_b32 s13, 0
	s_mov_b32 s34, exec_lo
                                        ; implicit-def: $sgpr31
	s_delay_alu instid0(VALU_DEP_1)
	v_cmpx_lt_i16_e32 0x7f, v104
	s_xor_b32 s34, exec_lo, s34
	s_cbranch_execnz .LBB6_15432
; %bb.14534:                            ;   in Loop: Header=BB6_14474 Depth=3
	s_or_saveexec_b32 s34, s34
	v_mov_b32_e32 v95, s31
	s_xor_b32 exec_lo, exec_lo, s34
	s_cbranch_execnz .LBB6_15435
.LBB6_14535:                            ;   in Loop: Header=BB6_14474 Depth=3
	s_or_b32 exec_lo, exec_lo, s34
	s_and_saveexec_b32 s31, s13
	s_cbranch_execz .LBB6_14537
.LBB6_14536:                            ;   in Loop: Header=BB6_14474 Depth=3
	v_lshrrev_b16 v106, 3, v94
	v_lshlrev_b32_e32 v107, 24, v94
	s_delay_alu instid0(VALU_DEP_2) | instskip(NEXT) | instid1(VALU_DEP_1)
	v_and_b32_e32 v106, 15, v106
	v_cmp_eq_u32_e32 vcc_lo, 0, v106
	v_and_b32_e32 v95, 7, v94
	s_delay_alu instid0(VALU_DEP_1) | instskip(NEXT) | instid1(VALU_DEP_1)
	v_clz_i32_u32_e32 v104, v95
	v_min_u32_e32 v104, 32, v104
	s_delay_alu instid0(VALU_DEP_1) | instskip(SKIP_1) | instid1(VALU_DEP_1)
	v_subrev_nc_u32_e32 v105, 28, v104
	v_sub_nc_u32_e32 v104, 29, v104
	v_dual_cndmask_b32 v104, v106, v104 :: v_dual_lshlrev_b32 v105, v105, v94
	s_delay_alu instid0(VALU_DEP_1) | instskip(NEXT) | instid1(VALU_DEP_2)
	v_and_b32_e32 v105, 7, v105
	v_lshl_add_u32 v104, v104, 23, 0x3b800000
	s_delay_alu instid0(VALU_DEP_2) | instskip(SKIP_1) | instid1(VALU_DEP_2)
	v_cndmask_b32_e32 v95, v95, v105, vcc_lo
	v_and_b32_e32 v105, 0x80000000, v107
	v_lshlrev_b32_e32 v95, 20, v95
	s_delay_alu instid0(VALU_DEP_1)
	v_or3_b32 v95, v105, v104, v95
.LBB6_14537:                            ;   in Loop: Header=BB6_14474 Depth=3
	s_or_b32 exec_lo, exec_lo, s31
	s_waitcnt vmcnt(29) lgkmcnt(29)
	v_and_b32_e32 v105, 0xff, v26
	s_mov_b32 s13, 0
	s_mov_b32 s34, exec_lo
                                        ; implicit-def: $sgpr31
	s_delay_alu instid0(VALU_DEP_1)
	v_cmpx_lt_i16_e32 0x7f, v105
	s_xor_b32 s34, exec_lo, s34
	s_cbranch_execnz .LBB6_15436
; %bb.14538:                            ;   in Loop: Header=BB6_14474 Depth=3
	s_or_saveexec_b32 s34, s34
	v_mov_b32_e32 v104, s31
	s_xor_b32 exec_lo, exec_lo, s34
	s_cbranch_execnz .LBB6_15439
.LBB6_14539:                            ;   in Loop: Header=BB6_14474 Depth=3
	s_or_b32 exec_lo, exec_lo, s34
	s_and_saveexec_b32 s31, s13
	s_cbranch_execz .LBB6_14541
.LBB6_14540:                            ;   in Loop: Header=BB6_14474 Depth=3
	v_lshrrev_b16 v107, 3, v26
	v_lshlrev_b32_e32 v108, 24, v26
	s_delay_alu instid0(VALU_DEP_2) | instskip(NEXT) | instid1(VALU_DEP_1)
	v_and_b32_e32 v107, 15, v107
	v_cmp_eq_u32_e32 vcc_lo, 0, v107
	v_and_b32_e32 v104, 7, v26
	s_delay_alu instid0(VALU_DEP_1) | instskip(NEXT) | instid1(VALU_DEP_1)
	v_clz_i32_u32_e32 v105, v104
	v_min_u32_e32 v105, 32, v105
	s_delay_alu instid0(VALU_DEP_1) | instskip(SKIP_1) | instid1(VALU_DEP_1)
	v_subrev_nc_u32_e32 v106, 28, v105
	v_sub_nc_u32_e32 v105, 29, v105
	v_dual_cndmask_b32 v105, v107, v105 :: v_dual_lshlrev_b32 v106, v106, v26
	s_delay_alu instid0(VALU_DEP_1) | instskip(NEXT) | instid1(VALU_DEP_2)
	v_and_b32_e32 v106, 7, v106
	v_lshl_add_u32 v105, v105, 23, 0x3b800000
	s_delay_alu instid0(VALU_DEP_2) | instskip(SKIP_1) | instid1(VALU_DEP_2)
	v_cndmask_b32_e32 v104, v104, v106, vcc_lo
	v_and_b32_e32 v106, 0x80000000, v108
	v_lshlrev_b32_e32 v104, 20, v104
	s_delay_alu instid0(VALU_DEP_1)
	v_or3_b32 v104, v106, v105, v104
.LBB6_14541:                            ;   in Loop: Header=BB6_14474 Depth=3
	s_or_b32 exec_lo, exec_lo, s31
	s_delay_alu instid0(VALU_DEP_1) | instskip(SKIP_1) | instid1(VALU_DEP_1)
	v_dual_max_f32 v104, v104, v104 :: v_dual_max_f32 v95, v95, v95
	s_mov_b32 s13, 0
	v_max_f32_e32 v95, v95, v104
	s_branch .LBB6_14543
.LBB6_14542:                            ;   in Loop: Header=BB6_14474 Depth=3
	s_mov_b32 s13, -1
                                        ; implicit-def: $vgpr95
.LBB6_14543:                            ;   in Loop: Header=BB6_14474 Depth=3
	s_delay_alu instid0(SALU_CYCLE_1)
	s_and_b32 vcc_lo, exec_lo, s13
	s_cbranch_vccz .LBB6_14553
; %bb.14544:                            ;   in Loop: Header=BB6_14474 Depth=3
	v_and_b32_e32 v104, 0xff, v94
	s_mov_b32 s13, 0
	s_mov_b32 s34, exec_lo
                                        ; implicit-def: $sgpr31
	s_delay_alu instid0(VALU_DEP_1)
	v_cmpx_lt_i16_e32 0x7f, v104
	s_xor_b32 s34, exec_lo, s34
	s_cbranch_execnz .LBB6_15440
; %bb.14545:                            ;   in Loop: Header=BB6_14474 Depth=3
	s_or_saveexec_b32 s34, s34
	v_mov_b32_e32 v95, s31
	s_xor_b32 exec_lo, exec_lo, s34
	s_cbranch_execnz .LBB6_15443
.LBB6_14546:                            ;   in Loop: Header=BB6_14474 Depth=3
	s_or_b32 exec_lo, exec_lo, s34
	s_and_saveexec_b32 s31, s13
	s_cbranch_execz .LBB6_14548
.LBB6_14547:                            ;   in Loop: Header=BB6_14474 Depth=3
	v_lshrrev_b16 v106, 3, v94
	s_delay_alu instid0(VALU_DEP_1) | instskip(NEXT) | instid1(VALU_DEP_1)
	v_and_b32_e32 v106, 15, v106
	v_cmp_eq_u32_e32 vcc_lo, 0, v106
	v_and_b32_e32 v95, 7, v94
	s_delay_alu instid0(VALU_DEP_1) | instskip(NEXT) | instid1(VALU_DEP_1)
	v_clz_i32_u32_e32 v104, v95
	v_min_u32_e32 v104, 32, v104
	s_delay_alu instid0(VALU_DEP_1) | instskip(SKIP_1) | instid1(VALU_DEP_1)
	v_subrev_nc_u32_e32 v105, 28, v104
	v_sub_nc_u32_e32 v104, 29, v104
	v_dual_cndmask_b32 v104, v106, v104 :: v_dual_lshlrev_b32 v105, v105, v94
	v_lshlrev_b32_e32 v94, 24, v94
	s_delay_alu instid0(VALU_DEP_2) | instskip(NEXT) | instid1(VALU_DEP_3)
	v_and_b32_e32 v105, 7, v105
	v_lshl_add_u32 v104, v104, 23, 0x3b800000
	s_delay_alu instid0(VALU_DEP_2) | instskip(NEXT) | instid1(VALU_DEP_1)
	v_dual_cndmask_b32 v95, v95, v105 :: v_dual_and_b32 v94, 0x80000000, v94
	v_lshlrev_b32_e32 v95, 20, v95
	s_delay_alu instid0(VALU_DEP_1)
	v_or3_b32 v95, v94, v104, v95
.LBB6_14548:                            ;   in Loop: Header=BB6_14474 Depth=3
	s_or_b32 exec_lo, exec_lo, s31
	s_waitcnt vmcnt(29) lgkmcnt(29)
	v_and_b32_e32 v104, 0xff, v26
	s_mov_b32 s13, 0
	s_mov_b32 s34, exec_lo
                                        ; implicit-def: $sgpr31
	s_delay_alu instid0(VALU_DEP_1)
	v_cmpx_lt_i16_e32 0x7f, v104
	s_xor_b32 s34, exec_lo, s34
	s_cbranch_execnz .LBB6_15444
; %bb.14549:                            ;   in Loop: Header=BB6_14474 Depth=3
	s_or_saveexec_b32 s34, s34
	v_mov_b32_e32 v94, s31
	s_xor_b32 exec_lo, exec_lo, s34
	s_cbranch_execnz .LBB6_15447
.LBB6_14550:                            ;   in Loop: Header=BB6_14474 Depth=3
	s_or_b32 exec_lo, exec_lo, s34
	s_and_saveexec_b32 s31, s13
	s_cbranch_execz .LBB6_14552
.LBB6_14551:                            ;   in Loop: Header=BB6_14474 Depth=3
	v_and_b32_e32 v94, 7, v26
	v_lshrrev_b16 v106, 3, v26
	s_delay_alu instid0(VALU_DEP_2) | instskip(NEXT) | instid1(VALU_DEP_2)
	v_clz_i32_u32_e32 v104, v94
	v_and_b32_e32 v106, 15, v106
	s_delay_alu instid0(VALU_DEP_2) | instskip(NEXT) | instid1(VALU_DEP_2)
	v_min_u32_e32 v104, 32, v104
	v_cmp_eq_u32_e32 vcc_lo, 0, v106
	s_delay_alu instid0(VALU_DEP_2) | instskip(SKIP_1) | instid1(VALU_DEP_1)
	v_subrev_nc_u32_e32 v105, 28, v104
	v_sub_nc_u32_e32 v104, 29, v104
	v_dual_cndmask_b32 v104, v106, v104 :: v_dual_lshlrev_b32 v105, v105, v26
	v_lshlrev_b32_e32 v26, 24, v26
	s_delay_alu instid0(VALU_DEP_2) | instskip(NEXT) | instid1(VALU_DEP_3)
	v_and_b32_e32 v105, 7, v105
	v_lshl_add_u32 v104, v104, 23, 0x3b800000
	s_delay_alu instid0(VALU_DEP_3) | instskip(NEXT) | instid1(VALU_DEP_3)
	v_and_b32_e32 v26, 0x80000000, v26
	v_cndmask_b32_e32 v94, v94, v105, vcc_lo
	s_delay_alu instid0(VALU_DEP_1) | instskip(NEXT) | instid1(VALU_DEP_1)
	v_lshlrev_b32_e32 v94, 20, v94
	v_or3_b32 v94, v26, v104, v94
.LBB6_14552:                            ;   in Loop: Header=BB6_14474 Depth=3
	s_or_b32 exec_lo, exec_lo, s31
	s_delay_alu instid0(VALU_DEP_1) | instskip(SKIP_1) | instid1(VALU_DEP_1)
	v_max_f32_e32 v26, v94, v94
	v_max_f32_e32 v94, v95, v95
	v_min_f32_e32 v95, v94, v26
.LBB6_14553:                            ;   in Loop: Header=BB6_14474 Depth=3
	s_waitcnt vmcnt(29) lgkmcnt(29)
	s_delay_alu instid0(VALU_DEP_1) | instskip(NEXT) | instid1(VALU_DEP_1)
	v_and_b32_e32 v26, 0x7f800000, v95
	v_cmp_ne_u32_e32 vcc_lo, 0x7f800000, v26
	v_mov_b32_e32 v26, 0x80
	s_and_saveexec_b32 s31, vcc_lo
	s_cbranch_execz .LBB6_14561
; %bb.14554:                            ;   in Loop: Header=BB6_14474 Depth=3
	v_mov_b32_e32 v26, 0
	s_mov_b32 s34, exec_lo
	v_cmpx_ne_u32_e32 0, v95
	s_cbranch_execz .LBB6_14560
; %bb.14555:                            ;   in Loop: Header=BB6_14474 Depth=3
	v_bfe_u32 v26, v95, 23, 8
	v_and_b32_e32 v94, 0x7fffff, v95
	s_delay_alu instid0(VALU_DEP_2) | instskip(SKIP_1) | instid1(VALU_DEP_3)
	v_sub_nc_u32_e32 v104, 0x78, v26
	v_cmp_gt_u32_e32 vcc_lo, 0x79, v26
	v_or_b32_e32 v105, 0x800000, v94
	s_delay_alu instid0(VALU_DEP_3) | instskip(SKIP_2) | instid1(VALU_DEP_3)
	v_cndmask_b32_e32 v104, 0, v104, vcc_lo
	v_cmp_eq_u32_e32 vcc_lo, 0, v26
	v_add_nc_u32_e32 v26, 0xffffff89, v26
	v_cndmask_b32_e64 v104, v104, 0x77, vcc_lo
	v_cndmask_b32_e32 v94, v105, v94, vcc_lo
	s_delay_alu instid0(VALU_DEP_3) | instskip(NEXT) | instid1(VALU_DEP_3)
	v_cndmask_b32_e64 v26, v26, 0xffffff8a, vcc_lo
	v_lshl_add_u32 v105, 0x100000, v104, -1
	s_delay_alu instid0(VALU_DEP_3) | instskip(SKIP_1) | instid1(VALU_DEP_4)
	v_lshrrev_b32_e32 v106, v104, v94
	v_lshlrev_b32_e64 v108, v104, 0x80000
	v_add_nc_u32_e32 v104, v104, v26
	s_delay_alu instid0(VALU_DEP_4) | instskip(NEXT) | instid1(VALU_DEP_4)
	v_and_b32_e32 v94, v105, v94
	v_bfe_u32 v107, v106, 20, 1
	s_delay_alu instid0(VALU_DEP_2) | instskip(NEXT) | instid1(VALU_DEP_2)
	v_cmp_eq_u32_e64 s13, v94, v108
	v_add_nc_u32_e32 v105, -1, v107
	s_delay_alu instid0(VALU_DEP_1) | instskip(SKIP_2) | instid1(VALU_DEP_2)
	v_cndmask_b32_e64 v94, 0, v105, s13
	v_lshrrev_b32_e32 v105, 23, v106
	s_mov_b32 s13, exec_lo
	v_add_nc_u32_e32 v94, v94, v106
	s_delay_alu instid0(VALU_DEP_2) | instskip(NEXT) | instid1(VALU_DEP_2)
	v_xor_b32_e32 v105, 1, v105
	v_and_b32_e32 v26, 0xfffff, v94
	s_delay_alu instid0(VALU_DEP_1) | instskip(NEXT) | instid1(VALU_DEP_3)
	v_add_nc_u32_e32 v94, v26, v106
                                        ; implicit-def: $vgpr26
	v_cmpx_ne_u32_e64 v104, v105
	s_xor_b32 s13, exec_lo, s13
; %bb.14556:                            ;   in Loop: Header=BB6_14474 Depth=3
	s_delay_alu instid0(VALU_DEP_2) | instskip(SKIP_2) | instid1(VALU_DEP_2)
	v_cmp_lt_u32_e32 vcc_lo, 0xffffff, v94
	v_sub_nc_u32_e32 v26, v104, v105
	v_cndmask_b32_e64 v104, 0, 1, vcc_lo
	v_add_co_ci_u32_e32 v26, vcc_lo, 0, v26, vcc_lo
	s_delay_alu instid0(VALU_DEP_2)
	v_lshrrev_b32_e32 v94, v104, v94
; %bb.14557:                            ;   in Loop: Header=BB6_14474 Depth=3
	s_and_not1_saveexec_b32 s13, s13
; %bb.14558:                            ;   in Loop: Header=BB6_14474 Depth=3
	s_delay_alu instid0(VALU_DEP_1)
	v_bfe_u32 v26, v94, 23, 1
; %bb.14559:                            ;   in Loop: Header=BB6_14474 Depth=3
	s_or_b32 exec_lo, exec_lo, s13
	v_lshrrev_b32_e32 v94, 20, v94
	s_delay_alu instid0(VALU_DEP_2) | instskip(SKIP_2) | instid1(VALU_DEP_2)
	v_cmp_gt_i32_e32 vcc_lo, 16, v26
	v_lshrrev_b32_e32 v95, 24, v95
	v_min_i32_e32 v104, 15, v26
	v_dual_cndmask_b32 v94, 7, v94 :: v_dual_and_b32 v95, 0x80, v95
	s_delay_alu instid0(VALU_DEP_2) | instskip(NEXT) | instid1(VALU_DEP_2)
	v_lshlrev_b32_e32 v104, 3, v104
	v_and_b32_e32 v105, 7, v94
	v_or_b32_e32 v26, v26, v94
	s_delay_alu instid0(VALU_DEP_2) | instskip(NEXT) | instid1(VALU_DEP_2)
	v_or3_b32 v94, v104, v95, v105
	v_cmp_ne_u32_e32 vcc_lo, 0, v26
	s_delay_alu instid0(VALU_DEP_2)
	v_cndmask_b32_e32 v26, 0, v94, vcc_lo
.LBB6_14560:                            ;   in Loop: Header=BB6_14474 Depth=3
	s_or_b32 exec_lo, exec_lo, s34
.LBB6_14561:                            ;   in Loop: Header=BB6_14474 Depth=3
	s_delay_alu instid0(SALU_CYCLE_1) | instskip(NEXT) | instid1(SALU_CYCLE_1)
	s_or_b32 exec_lo, exec_lo, s31
	s_and_not1_b32 vcc_lo, exec_lo, s16
	s_cbranch_vccnz .LBB6_14571
; %bb.14562:                            ;   in Loop: Header=BB6_14474 Depth=3
	v_and_b32_e32 v95, 0xff, v93
	s_mov_b32 s13, 0
	s_mov_b32 s34, exec_lo
                                        ; implicit-def: $sgpr31
	s_delay_alu instid0(VALU_DEP_1)
	v_cmpx_lt_i16_e32 0x7f, v95
	s_xor_b32 s34, exec_lo, s34
	s_cbranch_execnz .LBB6_15448
; %bb.14563:                            ;   in Loop: Header=BB6_14474 Depth=3
	s_or_saveexec_b32 s34, s34
	v_mov_b32_e32 v94, s31
	s_xor_b32 exec_lo, exec_lo, s34
	s_cbranch_execnz .LBB6_15451
.LBB6_14564:                            ;   in Loop: Header=BB6_14474 Depth=3
	s_or_b32 exec_lo, exec_lo, s34
	s_and_saveexec_b32 s31, s13
	s_cbranch_execz .LBB6_14566
.LBB6_14565:                            ;   in Loop: Header=BB6_14474 Depth=3
	v_lshrrev_b16 v105, 3, v93
	v_lshlrev_b32_e32 v106, 24, v93
	s_delay_alu instid0(VALU_DEP_2) | instskip(NEXT) | instid1(VALU_DEP_1)
	v_and_b32_e32 v105, 15, v105
	v_cmp_eq_u32_e32 vcc_lo, 0, v105
	v_and_b32_e32 v94, 7, v93
	s_delay_alu instid0(VALU_DEP_1) | instskip(NEXT) | instid1(VALU_DEP_1)
	v_clz_i32_u32_e32 v95, v94
	v_min_u32_e32 v95, 32, v95
	s_delay_alu instid0(VALU_DEP_1) | instskip(SKIP_1) | instid1(VALU_DEP_1)
	v_subrev_nc_u32_e32 v104, 28, v95
	v_sub_nc_u32_e32 v95, 29, v95
	v_dual_cndmask_b32 v95, v105, v95 :: v_dual_lshlrev_b32 v104, v104, v93
	s_delay_alu instid0(VALU_DEP_1) | instskip(NEXT) | instid1(VALU_DEP_2)
	v_and_b32_e32 v104, 7, v104
	v_lshl_add_u32 v95, v95, 23, 0x3b800000
	s_delay_alu instid0(VALU_DEP_2) | instskip(SKIP_1) | instid1(VALU_DEP_2)
	v_cndmask_b32_e32 v94, v94, v104, vcc_lo
	v_and_b32_e32 v104, 0x80000000, v106
	v_lshlrev_b32_e32 v94, 20, v94
	s_delay_alu instid0(VALU_DEP_1)
	v_or3_b32 v94, v104, v95, v94
.LBB6_14566:                            ;   in Loop: Header=BB6_14474 Depth=3
	s_or_b32 exec_lo, exec_lo, s31
	s_waitcnt vmcnt(28) lgkmcnt(28)
	v_and_b32_e32 v104, 0xff, v33
	s_mov_b32 s13, 0
	s_mov_b32 s34, exec_lo
                                        ; implicit-def: $sgpr31
	s_delay_alu instid0(VALU_DEP_1)
	v_cmpx_lt_i16_e32 0x7f, v104
	s_xor_b32 s34, exec_lo, s34
	s_cbranch_execnz .LBB6_15452
; %bb.14567:                            ;   in Loop: Header=BB6_14474 Depth=3
	s_or_saveexec_b32 s34, s34
	v_mov_b32_e32 v95, s31
	s_xor_b32 exec_lo, exec_lo, s34
	s_cbranch_execnz .LBB6_15455
.LBB6_14568:                            ;   in Loop: Header=BB6_14474 Depth=3
	s_or_b32 exec_lo, exec_lo, s34
	s_and_saveexec_b32 s31, s13
	s_cbranch_execz .LBB6_14570
.LBB6_14569:                            ;   in Loop: Header=BB6_14474 Depth=3
	v_lshrrev_b16 v106, 3, v33
	v_lshlrev_b32_e32 v107, 24, v33
	s_delay_alu instid0(VALU_DEP_2) | instskip(NEXT) | instid1(VALU_DEP_1)
	v_and_b32_e32 v106, 15, v106
	v_cmp_eq_u32_e32 vcc_lo, 0, v106
	v_and_b32_e32 v95, 7, v33
	s_delay_alu instid0(VALU_DEP_1) | instskip(NEXT) | instid1(VALU_DEP_1)
	v_clz_i32_u32_e32 v104, v95
	v_min_u32_e32 v104, 32, v104
	s_delay_alu instid0(VALU_DEP_1) | instskip(SKIP_1) | instid1(VALU_DEP_1)
	v_subrev_nc_u32_e32 v105, 28, v104
	v_sub_nc_u32_e32 v104, 29, v104
	v_dual_cndmask_b32 v104, v106, v104 :: v_dual_lshlrev_b32 v105, v105, v33
	s_delay_alu instid0(VALU_DEP_1) | instskip(NEXT) | instid1(VALU_DEP_2)
	v_and_b32_e32 v105, 7, v105
	v_lshl_add_u32 v104, v104, 23, 0x3b800000
	s_delay_alu instid0(VALU_DEP_2) | instskip(SKIP_1) | instid1(VALU_DEP_2)
	v_cndmask_b32_e32 v95, v95, v105, vcc_lo
	v_and_b32_e32 v105, 0x80000000, v107
	v_lshlrev_b32_e32 v95, 20, v95
	s_delay_alu instid0(VALU_DEP_1)
	v_or3_b32 v95, v105, v104, v95
.LBB6_14570:                            ;   in Loop: Header=BB6_14474 Depth=3
	s_or_b32 exec_lo, exec_lo, s31
	s_delay_alu instid0(VALU_DEP_1) | instskip(SKIP_1) | instid1(VALU_DEP_1)
	v_dual_max_f32 v95, v95, v95 :: v_dual_max_f32 v94, v94, v94
	s_mov_b32 s13, 0
	v_max_f32_e32 v94, v94, v95
	s_branch .LBB6_14572
.LBB6_14571:                            ;   in Loop: Header=BB6_14474 Depth=3
	s_mov_b32 s13, -1
                                        ; implicit-def: $vgpr94
.LBB6_14572:                            ;   in Loop: Header=BB6_14474 Depth=3
	s_delay_alu instid0(SALU_CYCLE_1)
	s_and_b32 vcc_lo, exec_lo, s13
	s_cbranch_vccz .LBB6_14582
; %bb.14573:                            ;   in Loop: Header=BB6_14474 Depth=3
	v_and_b32_e32 v95, 0xff, v93
	s_mov_b32 s13, 0
	s_mov_b32 s34, exec_lo
                                        ; implicit-def: $sgpr31
	s_delay_alu instid0(VALU_DEP_1)
	v_cmpx_lt_i16_e32 0x7f, v95
	s_xor_b32 s34, exec_lo, s34
	s_cbranch_execnz .LBB6_15456
; %bb.14574:                            ;   in Loop: Header=BB6_14474 Depth=3
	s_or_saveexec_b32 s34, s34
	v_mov_b32_e32 v94, s31
	s_xor_b32 exec_lo, exec_lo, s34
	s_cbranch_execnz .LBB6_15459
.LBB6_14575:                            ;   in Loop: Header=BB6_14474 Depth=3
	s_or_b32 exec_lo, exec_lo, s34
	s_and_saveexec_b32 s31, s13
	s_cbranch_execz .LBB6_14577
.LBB6_14576:                            ;   in Loop: Header=BB6_14474 Depth=3
	v_lshrrev_b16 v105, 3, v93
	s_delay_alu instid0(VALU_DEP_1) | instskip(NEXT) | instid1(VALU_DEP_1)
	v_and_b32_e32 v105, 15, v105
	v_cmp_eq_u32_e32 vcc_lo, 0, v105
	v_and_b32_e32 v94, 7, v93
	s_delay_alu instid0(VALU_DEP_1) | instskip(NEXT) | instid1(VALU_DEP_1)
	v_clz_i32_u32_e32 v95, v94
	v_min_u32_e32 v95, 32, v95
	s_delay_alu instid0(VALU_DEP_1) | instskip(SKIP_1) | instid1(VALU_DEP_1)
	v_subrev_nc_u32_e32 v104, 28, v95
	v_sub_nc_u32_e32 v95, 29, v95
	v_dual_cndmask_b32 v95, v105, v95 :: v_dual_lshlrev_b32 v104, v104, v93
	v_lshlrev_b32_e32 v93, 24, v93
	s_delay_alu instid0(VALU_DEP_2) | instskip(NEXT) | instid1(VALU_DEP_3)
	v_and_b32_e32 v104, 7, v104
	v_lshl_add_u32 v95, v95, 23, 0x3b800000
	s_delay_alu instid0(VALU_DEP_2) | instskip(NEXT) | instid1(VALU_DEP_1)
	v_dual_cndmask_b32 v94, v94, v104 :: v_dual_and_b32 v93, 0x80000000, v93
	v_lshlrev_b32_e32 v94, 20, v94
	s_delay_alu instid0(VALU_DEP_1)
	v_or3_b32 v94, v93, v95, v94
.LBB6_14577:                            ;   in Loop: Header=BB6_14474 Depth=3
	s_or_b32 exec_lo, exec_lo, s31
	s_waitcnt vmcnt(28) lgkmcnt(28)
	v_and_b32_e32 v95, 0xff, v33
	s_mov_b32 s13, 0
	s_mov_b32 s34, exec_lo
                                        ; implicit-def: $sgpr31
	s_delay_alu instid0(VALU_DEP_1)
	v_cmpx_lt_i16_e32 0x7f, v95
	s_xor_b32 s34, exec_lo, s34
	s_cbranch_execnz .LBB6_15460
; %bb.14578:                            ;   in Loop: Header=BB6_14474 Depth=3
	s_or_saveexec_b32 s34, s34
	v_mov_b32_e32 v93, s31
	s_xor_b32 exec_lo, exec_lo, s34
	s_cbranch_execnz .LBB6_15463
.LBB6_14579:                            ;   in Loop: Header=BB6_14474 Depth=3
	s_or_b32 exec_lo, exec_lo, s34
	s_and_saveexec_b32 s31, s13
	s_cbranch_execz .LBB6_14581
.LBB6_14580:                            ;   in Loop: Header=BB6_14474 Depth=3
	v_and_b32_e32 v93, 7, v33
	v_lshrrev_b16 v105, 3, v33
	s_delay_alu instid0(VALU_DEP_2) | instskip(NEXT) | instid1(VALU_DEP_2)
	v_clz_i32_u32_e32 v95, v93
	v_and_b32_e32 v105, 15, v105
	s_delay_alu instid0(VALU_DEP_2) | instskip(NEXT) | instid1(VALU_DEP_2)
	v_min_u32_e32 v95, 32, v95
	v_cmp_eq_u32_e32 vcc_lo, 0, v105
	s_delay_alu instid0(VALU_DEP_2) | instskip(SKIP_1) | instid1(VALU_DEP_1)
	v_subrev_nc_u32_e32 v104, 28, v95
	v_sub_nc_u32_e32 v95, 29, v95
	v_dual_cndmask_b32 v95, v105, v95 :: v_dual_lshlrev_b32 v104, v104, v33
	v_lshlrev_b32_e32 v33, 24, v33
	s_delay_alu instid0(VALU_DEP_2) | instskip(NEXT) | instid1(VALU_DEP_3)
	v_and_b32_e32 v104, 7, v104
	v_lshl_add_u32 v95, v95, 23, 0x3b800000
	s_delay_alu instid0(VALU_DEP_3) | instskip(NEXT) | instid1(VALU_DEP_3)
	v_and_b32_e32 v33, 0x80000000, v33
	v_cndmask_b32_e32 v93, v93, v104, vcc_lo
	s_delay_alu instid0(VALU_DEP_1) | instskip(NEXT) | instid1(VALU_DEP_1)
	v_lshlrev_b32_e32 v93, 20, v93
	v_or3_b32 v93, v33, v95, v93
.LBB6_14581:                            ;   in Loop: Header=BB6_14474 Depth=3
	s_or_b32 exec_lo, exec_lo, s31
	s_delay_alu instid0(VALU_DEP_1) | instskip(SKIP_1) | instid1(VALU_DEP_1)
	v_max_f32_e32 v33, v93, v93
	v_max_f32_e32 v93, v94, v94
	v_min_f32_e32 v94, v93, v33
.LBB6_14582:                            ;   in Loop: Header=BB6_14474 Depth=3
	s_waitcnt vmcnt(28) lgkmcnt(28)
	s_delay_alu instid0(VALU_DEP_1) | instskip(NEXT) | instid1(VALU_DEP_1)
	v_and_b32_e32 v33, 0x7f800000, v94
	v_cmp_ne_u32_e32 vcc_lo, 0x7f800000, v33
	v_mov_b32_e32 v33, 0x80
	s_and_saveexec_b32 s31, vcc_lo
	s_cbranch_execz .LBB6_14590
; %bb.14583:                            ;   in Loop: Header=BB6_14474 Depth=3
	v_mov_b32_e32 v33, 0
	s_mov_b32 s34, exec_lo
	v_cmpx_ne_u32_e32 0, v94
	s_cbranch_execz .LBB6_14589
; %bb.14584:                            ;   in Loop: Header=BB6_14474 Depth=3
	v_bfe_u32 v33, v94, 23, 8
	v_and_b32_e32 v93, 0x7fffff, v94
	s_delay_alu instid0(VALU_DEP_2) | instskip(SKIP_1) | instid1(VALU_DEP_3)
	v_sub_nc_u32_e32 v95, 0x78, v33
	v_cmp_gt_u32_e32 vcc_lo, 0x79, v33
	v_or_b32_e32 v104, 0x800000, v93
	s_delay_alu instid0(VALU_DEP_3) | instskip(SKIP_2) | instid1(VALU_DEP_3)
	v_cndmask_b32_e32 v95, 0, v95, vcc_lo
	v_cmp_eq_u32_e32 vcc_lo, 0, v33
	v_add_nc_u32_e32 v33, 0xffffff89, v33
	v_cndmask_b32_e64 v95, v95, 0x77, vcc_lo
	v_cndmask_b32_e32 v93, v104, v93, vcc_lo
	s_delay_alu instid0(VALU_DEP_3) | instskip(NEXT) | instid1(VALU_DEP_3)
	v_cndmask_b32_e64 v33, v33, 0xffffff8a, vcc_lo
	v_lshl_add_u32 v104, 0x100000, v95, -1
	s_delay_alu instid0(VALU_DEP_3) | instskip(SKIP_1) | instid1(VALU_DEP_4)
	v_lshrrev_b32_e32 v105, v95, v93
	v_lshlrev_b32_e64 v107, v95, 0x80000
	v_add_nc_u32_e32 v95, v95, v33
	s_delay_alu instid0(VALU_DEP_4) | instskip(NEXT) | instid1(VALU_DEP_4)
	v_and_b32_e32 v93, v104, v93
	v_bfe_u32 v106, v105, 20, 1
	s_delay_alu instid0(VALU_DEP_2) | instskip(NEXT) | instid1(VALU_DEP_2)
	v_cmp_eq_u32_e64 s13, v93, v107
	v_add_nc_u32_e32 v104, -1, v106
	s_delay_alu instid0(VALU_DEP_1) | instskip(SKIP_2) | instid1(VALU_DEP_2)
	v_cndmask_b32_e64 v93, 0, v104, s13
	v_lshrrev_b32_e32 v104, 23, v105
	s_mov_b32 s13, exec_lo
	v_add_nc_u32_e32 v93, v93, v105
	s_delay_alu instid0(VALU_DEP_2) | instskip(NEXT) | instid1(VALU_DEP_2)
	v_xor_b32_e32 v104, 1, v104
	v_and_b32_e32 v33, 0xfffff, v93
	s_delay_alu instid0(VALU_DEP_1) | instskip(NEXT) | instid1(VALU_DEP_3)
	v_add_nc_u32_e32 v93, v33, v105
                                        ; implicit-def: $vgpr33
	v_cmpx_ne_u32_e64 v95, v104
	s_xor_b32 s13, exec_lo, s13
; %bb.14585:                            ;   in Loop: Header=BB6_14474 Depth=3
	s_delay_alu instid0(VALU_DEP_2) | instskip(SKIP_2) | instid1(VALU_DEP_2)
	v_cmp_lt_u32_e32 vcc_lo, 0xffffff, v93
	v_sub_nc_u32_e32 v33, v95, v104
	v_cndmask_b32_e64 v95, 0, 1, vcc_lo
	v_add_co_ci_u32_e32 v33, vcc_lo, 0, v33, vcc_lo
	s_delay_alu instid0(VALU_DEP_2)
	v_lshrrev_b32_e32 v93, v95, v93
; %bb.14586:                            ;   in Loop: Header=BB6_14474 Depth=3
	s_and_not1_saveexec_b32 s13, s13
; %bb.14587:                            ;   in Loop: Header=BB6_14474 Depth=3
	s_delay_alu instid0(VALU_DEP_1)
	v_bfe_u32 v33, v93, 23, 1
; %bb.14588:                            ;   in Loop: Header=BB6_14474 Depth=3
	s_or_b32 exec_lo, exec_lo, s13
	v_lshrrev_b32_e32 v93, 20, v93
	s_delay_alu instid0(VALU_DEP_2) | instskip(SKIP_2) | instid1(VALU_DEP_2)
	v_cmp_gt_i32_e32 vcc_lo, 16, v33
	v_lshrrev_b32_e32 v94, 24, v94
	v_min_i32_e32 v95, 15, v33
	v_dual_cndmask_b32 v93, 7, v93 :: v_dual_and_b32 v94, 0x80, v94
	s_delay_alu instid0(VALU_DEP_2) | instskip(NEXT) | instid1(VALU_DEP_2)
	v_lshlrev_b32_e32 v95, 3, v95
	v_and_b32_e32 v104, 7, v93
	v_or_b32_e32 v33, v33, v93
	s_delay_alu instid0(VALU_DEP_2) | instskip(NEXT) | instid1(VALU_DEP_2)
	v_or3_b32 v93, v95, v94, v104
	v_cmp_ne_u32_e32 vcc_lo, 0, v33
	s_delay_alu instid0(VALU_DEP_2)
	v_cndmask_b32_e32 v33, 0, v93, vcc_lo
.LBB6_14589:                            ;   in Loop: Header=BB6_14474 Depth=3
	s_or_b32 exec_lo, exec_lo, s34
.LBB6_14590:                            ;   in Loop: Header=BB6_14474 Depth=3
	s_delay_alu instid0(SALU_CYCLE_1) | instskip(NEXT) | instid1(SALU_CYCLE_1)
	s_or_b32 exec_lo, exec_lo, s31
	s_and_not1_b32 vcc_lo, exec_lo, s16
	s_cbranch_vccnz .LBB6_14600
; %bb.14591:                            ;   in Loop: Header=BB6_14474 Depth=3
	v_and_b32_e32 v94, 0xff, v92
	s_mov_b32 s13, 0
	s_mov_b32 s34, exec_lo
                                        ; implicit-def: $sgpr31
	s_delay_alu instid0(VALU_DEP_1)
	v_cmpx_lt_i16_e32 0x7f, v94
	s_xor_b32 s34, exec_lo, s34
	s_cbranch_execnz .LBB6_15464
; %bb.14592:                            ;   in Loop: Header=BB6_14474 Depth=3
	s_or_saveexec_b32 s34, s34
	v_mov_b32_e32 v93, s31
	s_xor_b32 exec_lo, exec_lo, s34
	s_cbranch_execnz .LBB6_15467
.LBB6_14593:                            ;   in Loop: Header=BB6_14474 Depth=3
	s_or_b32 exec_lo, exec_lo, s34
	s_and_saveexec_b32 s31, s13
	s_cbranch_execz .LBB6_14595
.LBB6_14594:                            ;   in Loop: Header=BB6_14474 Depth=3
	v_lshrrev_b16 v104, 3, v92
	v_lshlrev_b32_e32 v105, 24, v92
	s_delay_alu instid0(VALU_DEP_2) | instskip(NEXT) | instid1(VALU_DEP_1)
	v_and_b32_e32 v104, 15, v104
	v_cmp_eq_u32_e32 vcc_lo, 0, v104
	v_and_b32_e32 v93, 7, v92
	s_delay_alu instid0(VALU_DEP_1) | instskip(NEXT) | instid1(VALU_DEP_1)
	v_clz_i32_u32_e32 v94, v93
	v_min_u32_e32 v94, 32, v94
	s_delay_alu instid0(VALU_DEP_1) | instskip(SKIP_1) | instid1(VALU_DEP_1)
	v_subrev_nc_u32_e32 v95, 28, v94
	v_sub_nc_u32_e32 v94, 29, v94
	v_dual_cndmask_b32 v94, v104, v94 :: v_dual_lshlrev_b32 v95, v95, v92
	s_delay_alu instid0(VALU_DEP_1) | instskip(NEXT) | instid1(VALU_DEP_2)
	v_and_b32_e32 v95, 7, v95
	v_lshl_add_u32 v94, v94, 23, 0x3b800000
	s_delay_alu instid0(VALU_DEP_2) | instskip(SKIP_1) | instid1(VALU_DEP_2)
	v_cndmask_b32_e32 v93, v93, v95, vcc_lo
	v_and_b32_e32 v95, 0x80000000, v105
	v_lshlrev_b32_e32 v93, 20, v93
	s_delay_alu instid0(VALU_DEP_1)
	v_or3_b32 v93, v95, v94, v93
.LBB6_14595:                            ;   in Loop: Header=BB6_14474 Depth=3
	s_or_b32 exec_lo, exec_lo, s31
	s_waitcnt vmcnt(27) lgkmcnt(27)
	v_and_b32_e32 v95, 0xff, v36
	s_mov_b32 s13, 0
	s_mov_b32 s34, exec_lo
                                        ; implicit-def: $sgpr31
	s_delay_alu instid0(VALU_DEP_1)
	v_cmpx_lt_i16_e32 0x7f, v95
	s_xor_b32 s34, exec_lo, s34
	s_cbranch_execnz .LBB6_15468
; %bb.14596:                            ;   in Loop: Header=BB6_14474 Depth=3
	s_or_saveexec_b32 s34, s34
	v_mov_b32_e32 v94, s31
	s_xor_b32 exec_lo, exec_lo, s34
	s_cbranch_execnz .LBB6_15471
.LBB6_14597:                            ;   in Loop: Header=BB6_14474 Depth=3
	s_or_b32 exec_lo, exec_lo, s34
	s_and_saveexec_b32 s31, s13
	s_cbranch_execz .LBB6_14599
.LBB6_14598:                            ;   in Loop: Header=BB6_14474 Depth=3
	v_lshrrev_b16 v105, 3, v36
	v_lshlrev_b32_e32 v106, 24, v36
	s_delay_alu instid0(VALU_DEP_2) | instskip(NEXT) | instid1(VALU_DEP_1)
	v_and_b32_e32 v105, 15, v105
	v_cmp_eq_u32_e32 vcc_lo, 0, v105
	v_and_b32_e32 v94, 7, v36
	s_delay_alu instid0(VALU_DEP_1) | instskip(NEXT) | instid1(VALU_DEP_1)
	v_clz_i32_u32_e32 v95, v94
	v_min_u32_e32 v95, 32, v95
	s_delay_alu instid0(VALU_DEP_1) | instskip(SKIP_1) | instid1(VALU_DEP_1)
	v_subrev_nc_u32_e32 v104, 28, v95
	v_sub_nc_u32_e32 v95, 29, v95
	v_dual_cndmask_b32 v95, v105, v95 :: v_dual_lshlrev_b32 v104, v104, v36
	s_delay_alu instid0(VALU_DEP_1) | instskip(NEXT) | instid1(VALU_DEP_2)
	v_and_b32_e32 v104, 7, v104
	v_lshl_add_u32 v95, v95, 23, 0x3b800000
	s_delay_alu instid0(VALU_DEP_2) | instskip(SKIP_1) | instid1(VALU_DEP_2)
	v_cndmask_b32_e32 v94, v94, v104, vcc_lo
	v_and_b32_e32 v104, 0x80000000, v106
	v_lshlrev_b32_e32 v94, 20, v94
	s_delay_alu instid0(VALU_DEP_1)
	v_or3_b32 v94, v104, v95, v94
.LBB6_14599:                            ;   in Loop: Header=BB6_14474 Depth=3
	s_or_b32 exec_lo, exec_lo, s31
	s_delay_alu instid0(VALU_DEP_1) | instskip(SKIP_1) | instid1(VALU_DEP_1)
	v_dual_max_f32 v94, v94, v94 :: v_dual_max_f32 v93, v93, v93
	s_mov_b32 s13, 0
	v_max_f32_e32 v93, v93, v94
	s_branch .LBB6_14601
.LBB6_14600:                            ;   in Loop: Header=BB6_14474 Depth=3
	s_mov_b32 s13, -1
                                        ; implicit-def: $vgpr93
.LBB6_14601:                            ;   in Loop: Header=BB6_14474 Depth=3
	s_delay_alu instid0(SALU_CYCLE_1)
	s_and_b32 vcc_lo, exec_lo, s13
	s_cbranch_vccz .LBB6_14611
; %bb.14602:                            ;   in Loop: Header=BB6_14474 Depth=3
	v_and_b32_e32 v94, 0xff, v92
	s_mov_b32 s13, 0
	s_mov_b32 s34, exec_lo
                                        ; implicit-def: $sgpr31
	s_delay_alu instid0(VALU_DEP_1)
	v_cmpx_lt_i16_e32 0x7f, v94
	s_xor_b32 s34, exec_lo, s34
	s_cbranch_execnz .LBB6_15472
; %bb.14603:                            ;   in Loop: Header=BB6_14474 Depth=3
	s_or_saveexec_b32 s34, s34
	v_mov_b32_e32 v93, s31
	s_xor_b32 exec_lo, exec_lo, s34
	s_cbranch_execnz .LBB6_15475
.LBB6_14604:                            ;   in Loop: Header=BB6_14474 Depth=3
	s_or_b32 exec_lo, exec_lo, s34
	s_and_saveexec_b32 s31, s13
	s_cbranch_execz .LBB6_14606
.LBB6_14605:                            ;   in Loop: Header=BB6_14474 Depth=3
	v_lshrrev_b16 v104, 3, v92
	s_delay_alu instid0(VALU_DEP_1) | instskip(NEXT) | instid1(VALU_DEP_1)
	v_and_b32_e32 v104, 15, v104
	v_cmp_eq_u32_e32 vcc_lo, 0, v104
	v_and_b32_e32 v93, 7, v92
	s_delay_alu instid0(VALU_DEP_1) | instskip(NEXT) | instid1(VALU_DEP_1)
	v_clz_i32_u32_e32 v94, v93
	v_min_u32_e32 v94, 32, v94
	s_delay_alu instid0(VALU_DEP_1) | instskip(SKIP_1) | instid1(VALU_DEP_1)
	v_subrev_nc_u32_e32 v95, 28, v94
	v_sub_nc_u32_e32 v94, 29, v94
	v_dual_cndmask_b32 v94, v104, v94 :: v_dual_lshlrev_b32 v95, v95, v92
	v_lshlrev_b32_e32 v92, 24, v92
	s_delay_alu instid0(VALU_DEP_2) | instskip(NEXT) | instid1(VALU_DEP_3)
	v_and_b32_e32 v95, 7, v95
	v_lshl_add_u32 v94, v94, 23, 0x3b800000
	s_delay_alu instid0(VALU_DEP_2) | instskip(NEXT) | instid1(VALU_DEP_1)
	v_dual_cndmask_b32 v93, v93, v95 :: v_dual_and_b32 v92, 0x80000000, v92
	v_lshlrev_b32_e32 v93, 20, v93
	s_delay_alu instid0(VALU_DEP_1)
	v_or3_b32 v93, v92, v94, v93
.LBB6_14606:                            ;   in Loop: Header=BB6_14474 Depth=3
	s_or_b32 exec_lo, exec_lo, s31
	s_waitcnt vmcnt(27) lgkmcnt(27)
	v_and_b32_e32 v94, 0xff, v36
	s_mov_b32 s13, 0
	s_mov_b32 s34, exec_lo
                                        ; implicit-def: $sgpr31
	s_delay_alu instid0(VALU_DEP_1)
	v_cmpx_lt_i16_e32 0x7f, v94
	s_xor_b32 s34, exec_lo, s34
	s_cbranch_execnz .LBB6_15476
; %bb.14607:                            ;   in Loop: Header=BB6_14474 Depth=3
	s_or_saveexec_b32 s34, s34
	v_mov_b32_e32 v92, s31
	s_xor_b32 exec_lo, exec_lo, s34
	s_cbranch_execnz .LBB6_15479
.LBB6_14608:                            ;   in Loop: Header=BB6_14474 Depth=3
	s_or_b32 exec_lo, exec_lo, s34
	s_and_saveexec_b32 s31, s13
	s_cbranch_execz .LBB6_14610
.LBB6_14609:                            ;   in Loop: Header=BB6_14474 Depth=3
	v_and_b32_e32 v92, 7, v36
	v_lshrrev_b16 v104, 3, v36
	s_delay_alu instid0(VALU_DEP_2) | instskip(NEXT) | instid1(VALU_DEP_2)
	v_clz_i32_u32_e32 v94, v92
	v_and_b32_e32 v104, 15, v104
	s_delay_alu instid0(VALU_DEP_2) | instskip(NEXT) | instid1(VALU_DEP_2)
	v_min_u32_e32 v94, 32, v94
	v_cmp_eq_u32_e32 vcc_lo, 0, v104
	s_delay_alu instid0(VALU_DEP_2) | instskip(SKIP_1) | instid1(VALU_DEP_1)
	v_subrev_nc_u32_e32 v95, 28, v94
	v_sub_nc_u32_e32 v94, 29, v94
	v_dual_cndmask_b32 v94, v104, v94 :: v_dual_lshlrev_b32 v95, v95, v36
	v_lshlrev_b32_e32 v36, 24, v36
	s_delay_alu instid0(VALU_DEP_2) | instskip(NEXT) | instid1(VALU_DEP_3)
	v_and_b32_e32 v95, 7, v95
	v_lshl_add_u32 v94, v94, 23, 0x3b800000
	s_delay_alu instid0(VALU_DEP_3) | instskip(NEXT) | instid1(VALU_DEP_3)
	v_and_b32_e32 v36, 0x80000000, v36
	v_cndmask_b32_e32 v92, v92, v95, vcc_lo
	s_delay_alu instid0(VALU_DEP_1) | instskip(NEXT) | instid1(VALU_DEP_1)
	v_lshlrev_b32_e32 v92, 20, v92
	v_or3_b32 v92, v36, v94, v92
.LBB6_14610:                            ;   in Loop: Header=BB6_14474 Depth=3
	s_or_b32 exec_lo, exec_lo, s31
	s_delay_alu instid0(VALU_DEP_1) | instskip(SKIP_1) | instid1(VALU_DEP_1)
	v_max_f32_e32 v36, v92, v92
	v_max_f32_e32 v92, v93, v93
	v_min_f32_e32 v93, v92, v36
.LBB6_14611:                            ;   in Loop: Header=BB6_14474 Depth=3
	s_waitcnt vmcnt(27) lgkmcnt(27)
	s_delay_alu instid0(VALU_DEP_1) | instskip(NEXT) | instid1(VALU_DEP_1)
	v_and_b32_e32 v36, 0x7f800000, v93
	v_cmp_ne_u32_e32 vcc_lo, 0x7f800000, v36
	v_mov_b32_e32 v36, 0x80
	s_and_saveexec_b32 s31, vcc_lo
	s_cbranch_execz .LBB6_14619
; %bb.14612:                            ;   in Loop: Header=BB6_14474 Depth=3
	v_mov_b32_e32 v36, 0
	s_mov_b32 s34, exec_lo
	v_cmpx_ne_u32_e32 0, v93
	s_cbranch_execz .LBB6_14618
; %bb.14613:                            ;   in Loop: Header=BB6_14474 Depth=3
	v_bfe_u32 v36, v93, 23, 8
	v_and_b32_e32 v92, 0x7fffff, v93
	s_delay_alu instid0(VALU_DEP_2) | instskip(SKIP_1) | instid1(VALU_DEP_3)
	v_sub_nc_u32_e32 v94, 0x78, v36
	v_cmp_gt_u32_e32 vcc_lo, 0x79, v36
	v_or_b32_e32 v95, 0x800000, v92
	s_delay_alu instid0(VALU_DEP_3) | instskip(SKIP_2) | instid1(VALU_DEP_3)
	v_cndmask_b32_e32 v94, 0, v94, vcc_lo
	v_cmp_eq_u32_e32 vcc_lo, 0, v36
	v_add_nc_u32_e32 v36, 0xffffff89, v36
	v_cndmask_b32_e64 v94, v94, 0x77, vcc_lo
	v_cndmask_b32_e32 v92, v95, v92, vcc_lo
	s_delay_alu instid0(VALU_DEP_3) | instskip(NEXT) | instid1(VALU_DEP_3)
	v_cndmask_b32_e64 v36, v36, 0xffffff8a, vcc_lo
	v_lshl_add_u32 v95, 0x100000, v94, -1
	s_delay_alu instid0(VALU_DEP_3) | instskip(SKIP_1) | instid1(VALU_DEP_4)
	v_lshrrev_b32_e32 v104, v94, v92
	v_lshlrev_b32_e64 v106, v94, 0x80000
	v_add_nc_u32_e32 v94, v94, v36
	s_delay_alu instid0(VALU_DEP_4) | instskip(NEXT) | instid1(VALU_DEP_4)
	v_and_b32_e32 v92, v95, v92
	v_bfe_u32 v105, v104, 20, 1
	s_delay_alu instid0(VALU_DEP_2) | instskip(NEXT) | instid1(VALU_DEP_2)
	v_cmp_eq_u32_e64 s13, v92, v106
	v_add_nc_u32_e32 v95, -1, v105
	s_delay_alu instid0(VALU_DEP_1) | instskip(SKIP_2) | instid1(VALU_DEP_2)
	v_cndmask_b32_e64 v92, 0, v95, s13
	v_lshrrev_b32_e32 v95, 23, v104
	s_mov_b32 s13, exec_lo
	v_add_nc_u32_e32 v92, v92, v104
	s_delay_alu instid0(VALU_DEP_2) | instskip(NEXT) | instid1(VALU_DEP_2)
	v_xor_b32_e32 v95, 1, v95
	v_and_b32_e32 v36, 0xfffff, v92
	s_delay_alu instid0(VALU_DEP_1) | instskip(NEXT) | instid1(VALU_DEP_3)
	v_add_nc_u32_e32 v92, v36, v104
                                        ; implicit-def: $vgpr36
	v_cmpx_ne_u32_e64 v94, v95
	s_xor_b32 s13, exec_lo, s13
; %bb.14614:                            ;   in Loop: Header=BB6_14474 Depth=3
	s_delay_alu instid0(VALU_DEP_2) | instskip(SKIP_2) | instid1(VALU_DEP_2)
	v_cmp_lt_u32_e32 vcc_lo, 0xffffff, v92
	v_sub_nc_u32_e32 v36, v94, v95
	v_cndmask_b32_e64 v94, 0, 1, vcc_lo
	v_add_co_ci_u32_e32 v36, vcc_lo, 0, v36, vcc_lo
	s_delay_alu instid0(VALU_DEP_2)
	v_lshrrev_b32_e32 v92, v94, v92
; %bb.14615:                            ;   in Loop: Header=BB6_14474 Depth=3
	s_and_not1_saveexec_b32 s13, s13
; %bb.14616:                            ;   in Loop: Header=BB6_14474 Depth=3
	s_delay_alu instid0(VALU_DEP_1)
	v_bfe_u32 v36, v92, 23, 1
; %bb.14617:                            ;   in Loop: Header=BB6_14474 Depth=3
	s_or_b32 exec_lo, exec_lo, s13
	v_lshrrev_b32_e32 v92, 20, v92
	s_delay_alu instid0(VALU_DEP_2) | instskip(SKIP_2) | instid1(VALU_DEP_2)
	v_cmp_gt_i32_e32 vcc_lo, 16, v36
	v_lshrrev_b32_e32 v93, 24, v93
	v_min_i32_e32 v94, 15, v36
	v_dual_cndmask_b32 v92, 7, v92 :: v_dual_and_b32 v93, 0x80, v93
	s_delay_alu instid0(VALU_DEP_2) | instskip(NEXT) | instid1(VALU_DEP_2)
	v_lshlrev_b32_e32 v94, 3, v94
	v_and_b32_e32 v95, 7, v92
	v_or_b32_e32 v36, v36, v92
	s_delay_alu instid0(VALU_DEP_2) | instskip(NEXT) | instid1(VALU_DEP_2)
	v_or3_b32 v92, v94, v93, v95
	v_cmp_ne_u32_e32 vcc_lo, 0, v36
	s_delay_alu instid0(VALU_DEP_2)
	v_cndmask_b32_e32 v36, 0, v92, vcc_lo
.LBB6_14618:                            ;   in Loop: Header=BB6_14474 Depth=3
	s_or_b32 exec_lo, exec_lo, s34
.LBB6_14619:                            ;   in Loop: Header=BB6_14474 Depth=3
	s_delay_alu instid0(SALU_CYCLE_1) | instskip(NEXT) | instid1(SALU_CYCLE_1)
	s_or_b32 exec_lo, exec_lo, s31
	s_and_not1_b32 vcc_lo, exec_lo, s16
	s_cbranch_vccnz .LBB6_14629
; %bb.14620:                            ;   in Loop: Header=BB6_14474 Depth=3
	v_and_b32_e32 v93, 0xff, v91
	s_mov_b32 s13, 0
	s_mov_b32 s34, exec_lo
                                        ; implicit-def: $sgpr31
	s_delay_alu instid0(VALU_DEP_1)
	v_cmpx_lt_i16_e32 0x7f, v93
	s_xor_b32 s34, exec_lo, s34
	s_cbranch_execnz .LBB6_15480
; %bb.14621:                            ;   in Loop: Header=BB6_14474 Depth=3
	s_or_saveexec_b32 s34, s34
	v_mov_b32_e32 v92, s31
	s_xor_b32 exec_lo, exec_lo, s34
	s_cbranch_execnz .LBB6_15483
.LBB6_14622:                            ;   in Loop: Header=BB6_14474 Depth=3
	s_or_b32 exec_lo, exec_lo, s34
	s_and_saveexec_b32 s31, s13
	s_cbranch_execz .LBB6_14624
.LBB6_14623:                            ;   in Loop: Header=BB6_14474 Depth=3
	v_lshrrev_b16 v95, 3, v91
	v_lshlrev_b32_e32 v104, 24, v91
	s_delay_alu instid0(VALU_DEP_2) | instskip(NEXT) | instid1(VALU_DEP_1)
	v_and_b32_e32 v95, 15, v95
	v_cmp_eq_u32_e32 vcc_lo, 0, v95
	v_and_b32_e32 v92, 7, v91
	s_delay_alu instid0(VALU_DEP_1) | instskip(NEXT) | instid1(VALU_DEP_1)
	v_clz_i32_u32_e32 v93, v92
	v_min_u32_e32 v93, 32, v93
	s_delay_alu instid0(VALU_DEP_1) | instskip(SKIP_1) | instid1(VALU_DEP_1)
	v_subrev_nc_u32_e32 v94, 28, v93
	v_sub_nc_u32_e32 v93, 29, v93
	v_dual_cndmask_b32 v93, v95, v93 :: v_dual_lshlrev_b32 v94, v94, v91
	s_delay_alu instid0(VALU_DEP_1) | instskip(NEXT) | instid1(VALU_DEP_2)
	v_and_b32_e32 v94, 7, v94
	v_lshl_add_u32 v93, v93, 23, 0x3b800000
	s_delay_alu instid0(VALU_DEP_2) | instskip(SKIP_1) | instid1(VALU_DEP_2)
	v_cndmask_b32_e32 v92, v92, v94, vcc_lo
	v_and_b32_e32 v94, 0x80000000, v104
	v_lshlrev_b32_e32 v92, 20, v92
	s_delay_alu instid0(VALU_DEP_1)
	v_or3_b32 v92, v94, v93, v92
.LBB6_14624:                            ;   in Loop: Header=BB6_14474 Depth=3
	s_or_b32 exec_lo, exec_lo, s31
	s_waitcnt vmcnt(26) lgkmcnt(26)
	v_and_b32_e32 v94, 0xff, v39
	s_mov_b32 s13, 0
	s_mov_b32 s34, exec_lo
                                        ; implicit-def: $sgpr31
	s_delay_alu instid0(VALU_DEP_1)
	v_cmpx_lt_i16_e32 0x7f, v94
	s_xor_b32 s34, exec_lo, s34
	s_cbranch_execnz .LBB6_15484
; %bb.14625:                            ;   in Loop: Header=BB6_14474 Depth=3
	s_or_saveexec_b32 s34, s34
	v_mov_b32_e32 v93, s31
	s_xor_b32 exec_lo, exec_lo, s34
	s_cbranch_execnz .LBB6_15487
.LBB6_14626:                            ;   in Loop: Header=BB6_14474 Depth=3
	s_or_b32 exec_lo, exec_lo, s34
	s_and_saveexec_b32 s31, s13
	s_cbranch_execz .LBB6_14628
.LBB6_14627:                            ;   in Loop: Header=BB6_14474 Depth=3
	v_lshrrev_b16 v104, 3, v39
	v_lshlrev_b32_e32 v105, 24, v39
	s_delay_alu instid0(VALU_DEP_2) | instskip(NEXT) | instid1(VALU_DEP_1)
	v_and_b32_e32 v104, 15, v104
	v_cmp_eq_u32_e32 vcc_lo, 0, v104
	v_and_b32_e32 v93, 7, v39
	s_delay_alu instid0(VALU_DEP_1) | instskip(NEXT) | instid1(VALU_DEP_1)
	v_clz_i32_u32_e32 v94, v93
	v_min_u32_e32 v94, 32, v94
	s_delay_alu instid0(VALU_DEP_1) | instskip(SKIP_1) | instid1(VALU_DEP_1)
	v_subrev_nc_u32_e32 v95, 28, v94
	v_sub_nc_u32_e32 v94, 29, v94
	v_dual_cndmask_b32 v94, v104, v94 :: v_dual_lshlrev_b32 v95, v95, v39
	s_delay_alu instid0(VALU_DEP_1) | instskip(NEXT) | instid1(VALU_DEP_2)
	v_and_b32_e32 v95, 7, v95
	v_lshl_add_u32 v94, v94, 23, 0x3b800000
	s_delay_alu instid0(VALU_DEP_2) | instskip(SKIP_1) | instid1(VALU_DEP_2)
	v_cndmask_b32_e32 v93, v93, v95, vcc_lo
	v_and_b32_e32 v95, 0x80000000, v105
	v_lshlrev_b32_e32 v93, 20, v93
	s_delay_alu instid0(VALU_DEP_1)
	v_or3_b32 v93, v95, v94, v93
.LBB6_14628:                            ;   in Loop: Header=BB6_14474 Depth=3
	s_or_b32 exec_lo, exec_lo, s31
	s_delay_alu instid0(VALU_DEP_1) | instskip(SKIP_1) | instid1(VALU_DEP_1)
	v_dual_max_f32 v93, v93, v93 :: v_dual_max_f32 v92, v92, v92
	s_mov_b32 s13, 0
	v_max_f32_e32 v92, v92, v93
	s_branch .LBB6_14630
.LBB6_14629:                            ;   in Loop: Header=BB6_14474 Depth=3
	s_mov_b32 s13, -1
                                        ; implicit-def: $vgpr92
.LBB6_14630:                            ;   in Loop: Header=BB6_14474 Depth=3
	s_delay_alu instid0(SALU_CYCLE_1)
	s_and_b32 vcc_lo, exec_lo, s13
	s_cbranch_vccz .LBB6_14640
; %bb.14631:                            ;   in Loop: Header=BB6_14474 Depth=3
	v_and_b32_e32 v93, 0xff, v91
	s_mov_b32 s13, 0
	s_mov_b32 s34, exec_lo
                                        ; implicit-def: $sgpr31
	s_delay_alu instid0(VALU_DEP_1)
	v_cmpx_lt_i16_e32 0x7f, v93
	s_xor_b32 s34, exec_lo, s34
	s_cbranch_execnz .LBB6_15488
; %bb.14632:                            ;   in Loop: Header=BB6_14474 Depth=3
	s_or_saveexec_b32 s34, s34
	v_mov_b32_e32 v92, s31
	s_xor_b32 exec_lo, exec_lo, s34
	s_cbranch_execnz .LBB6_15491
.LBB6_14633:                            ;   in Loop: Header=BB6_14474 Depth=3
	s_or_b32 exec_lo, exec_lo, s34
	s_and_saveexec_b32 s31, s13
	s_cbranch_execz .LBB6_14635
.LBB6_14634:                            ;   in Loop: Header=BB6_14474 Depth=3
	v_lshrrev_b16 v95, 3, v91
	s_delay_alu instid0(VALU_DEP_1) | instskip(NEXT) | instid1(VALU_DEP_1)
	v_and_b32_e32 v95, 15, v95
	v_cmp_eq_u32_e32 vcc_lo, 0, v95
	v_and_b32_e32 v92, 7, v91
	s_delay_alu instid0(VALU_DEP_1) | instskip(NEXT) | instid1(VALU_DEP_1)
	v_clz_i32_u32_e32 v93, v92
	v_min_u32_e32 v93, 32, v93
	s_delay_alu instid0(VALU_DEP_1) | instskip(SKIP_1) | instid1(VALU_DEP_1)
	v_subrev_nc_u32_e32 v94, 28, v93
	v_sub_nc_u32_e32 v93, 29, v93
	v_dual_cndmask_b32 v93, v95, v93 :: v_dual_lshlrev_b32 v94, v94, v91
	v_lshlrev_b32_e32 v91, 24, v91
	s_delay_alu instid0(VALU_DEP_2) | instskip(NEXT) | instid1(VALU_DEP_3)
	v_and_b32_e32 v94, 7, v94
	v_lshl_add_u32 v93, v93, 23, 0x3b800000
	s_delay_alu instid0(VALU_DEP_2) | instskip(NEXT) | instid1(VALU_DEP_1)
	v_dual_cndmask_b32 v92, v92, v94 :: v_dual_and_b32 v91, 0x80000000, v91
	v_lshlrev_b32_e32 v92, 20, v92
	s_delay_alu instid0(VALU_DEP_1)
	v_or3_b32 v92, v91, v93, v92
.LBB6_14635:                            ;   in Loop: Header=BB6_14474 Depth=3
	s_or_b32 exec_lo, exec_lo, s31
	s_waitcnt vmcnt(26) lgkmcnt(26)
	v_and_b32_e32 v93, 0xff, v39
	s_mov_b32 s13, 0
	s_mov_b32 s34, exec_lo
                                        ; implicit-def: $sgpr31
	s_delay_alu instid0(VALU_DEP_1)
	v_cmpx_lt_i16_e32 0x7f, v93
	s_xor_b32 s34, exec_lo, s34
	s_cbranch_execnz .LBB6_15492
; %bb.14636:                            ;   in Loop: Header=BB6_14474 Depth=3
	s_or_saveexec_b32 s34, s34
	v_mov_b32_e32 v91, s31
	s_xor_b32 exec_lo, exec_lo, s34
	s_cbranch_execnz .LBB6_15495
.LBB6_14637:                            ;   in Loop: Header=BB6_14474 Depth=3
	s_or_b32 exec_lo, exec_lo, s34
	s_and_saveexec_b32 s31, s13
	s_cbranch_execz .LBB6_14639
.LBB6_14638:                            ;   in Loop: Header=BB6_14474 Depth=3
	v_and_b32_e32 v91, 7, v39
	v_lshrrev_b16 v95, 3, v39
	s_delay_alu instid0(VALU_DEP_2) | instskip(NEXT) | instid1(VALU_DEP_2)
	v_clz_i32_u32_e32 v93, v91
	v_and_b32_e32 v95, 15, v95
	s_delay_alu instid0(VALU_DEP_2) | instskip(NEXT) | instid1(VALU_DEP_2)
	v_min_u32_e32 v93, 32, v93
	v_cmp_eq_u32_e32 vcc_lo, 0, v95
	s_delay_alu instid0(VALU_DEP_2) | instskip(SKIP_1) | instid1(VALU_DEP_1)
	v_subrev_nc_u32_e32 v94, 28, v93
	v_sub_nc_u32_e32 v93, 29, v93
	v_dual_cndmask_b32 v93, v95, v93 :: v_dual_lshlrev_b32 v94, v94, v39
	v_lshlrev_b32_e32 v39, 24, v39
	s_delay_alu instid0(VALU_DEP_2) | instskip(NEXT) | instid1(VALU_DEP_3)
	v_and_b32_e32 v94, 7, v94
	v_lshl_add_u32 v93, v93, 23, 0x3b800000
	s_delay_alu instid0(VALU_DEP_3) | instskip(NEXT) | instid1(VALU_DEP_3)
	v_and_b32_e32 v39, 0x80000000, v39
	v_cndmask_b32_e32 v91, v91, v94, vcc_lo
	s_delay_alu instid0(VALU_DEP_1) | instskip(NEXT) | instid1(VALU_DEP_1)
	v_lshlrev_b32_e32 v91, 20, v91
	v_or3_b32 v91, v39, v93, v91
.LBB6_14639:                            ;   in Loop: Header=BB6_14474 Depth=3
	s_or_b32 exec_lo, exec_lo, s31
	s_delay_alu instid0(VALU_DEP_1) | instskip(SKIP_1) | instid1(VALU_DEP_1)
	v_max_f32_e32 v39, v91, v91
	v_max_f32_e32 v91, v92, v92
	v_min_f32_e32 v92, v91, v39
.LBB6_14640:                            ;   in Loop: Header=BB6_14474 Depth=3
	s_waitcnt vmcnt(26) lgkmcnt(26)
	s_delay_alu instid0(VALU_DEP_1) | instskip(NEXT) | instid1(VALU_DEP_1)
	v_and_b32_e32 v39, 0x7f800000, v92
	v_cmp_ne_u32_e32 vcc_lo, 0x7f800000, v39
	v_mov_b32_e32 v39, 0x80
	s_and_saveexec_b32 s31, vcc_lo
	s_cbranch_execz .LBB6_14648
; %bb.14641:                            ;   in Loop: Header=BB6_14474 Depth=3
	v_mov_b32_e32 v39, 0
	s_mov_b32 s34, exec_lo
	v_cmpx_ne_u32_e32 0, v92
	s_cbranch_execz .LBB6_14647
; %bb.14642:                            ;   in Loop: Header=BB6_14474 Depth=3
	v_bfe_u32 v39, v92, 23, 8
	v_and_b32_e32 v91, 0x7fffff, v92
	s_delay_alu instid0(VALU_DEP_2) | instskip(SKIP_1) | instid1(VALU_DEP_3)
	v_sub_nc_u32_e32 v93, 0x78, v39
	v_cmp_gt_u32_e32 vcc_lo, 0x79, v39
	v_or_b32_e32 v94, 0x800000, v91
	s_delay_alu instid0(VALU_DEP_3) | instskip(SKIP_2) | instid1(VALU_DEP_3)
	v_cndmask_b32_e32 v93, 0, v93, vcc_lo
	v_cmp_eq_u32_e32 vcc_lo, 0, v39
	v_add_nc_u32_e32 v39, 0xffffff89, v39
	v_cndmask_b32_e64 v93, v93, 0x77, vcc_lo
	v_cndmask_b32_e32 v91, v94, v91, vcc_lo
	s_delay_alu instid0(VALU_DEP_3) | instskip(NEXT) | instid1(VALU_DEP_3)
	v_cndmask_b32_e64 v39, v39, 0xffffff8a, vcc_lo
	v_lshl_add_u32 v94, 0x100000, v93, -1
	s_delay_alu instid0(VALU_DEP_3) | instskip(SKIP_1) | instid1(VALU_DEP_4)
	v_lshrrev_b32_e32 v95, v93, v91
	v_lshlrev_b32_e64 v105, v93, 0x80000
	v_add_nc_u32_e32 v93, v93, v39
	s_delay_alu instid0(VALU_DEP_4) | instskip(NEXT) | instid1(VALU_DEP_4)
	v_and_b32_e32 v91, v94, v91
	v_bfe_u32 v104, v95, 20, 1
	s_delay_alu instid0(VALU_DEP_2) | instskip(NEXT) | instid1(VALU_DEP_2)
	v_cmp_eq_u32_e64 s13, v91, v105
	v_add_nc_u32_e32 v94, -1, v104
	s_delay_alu instid0(VALU_DEP_1) | instskip(SKIP_2) | instid1(VALU_DEP_2)
	v_cndmask_b32_e64 v91, 0, v94, s13
	v_lshrrev_b32_e32 v94, 23, v95
	s_mov_b32 s13, exec_lo
	v_add_nc_u32_e32 v91, v91, v95
	s_delay_alu instid0(VALU_DEP_2) | instskip(NEXT) | instid1(VALU_DEP_2)
	v_xor_b32_e32 v94, 1, v94
	v_and_b32_e32 v39, 0xfffff, v91
	s_delay_alu instid0(VALU_DEP_1) | instskip(NEXT) | instid1(VALU_DEP_3)
	v_add_nc_u32_e32 v91, v39, v95
                                        ; implicit-def: $vgpr39
	v_cmpx_ne_u32_e64 v93, v94
	s_xor_b32 s13, exec_lo, s13
; %bb.14643:                            ;   in Loop: Header=BB6_14474 Depth=3
	s_delay_alu instid0(VALU_DEP_2) | instskip(SKIP_2) | instid1(VALU_DEP_2)
	v_cmp_lt_u32_e32 vcc_lo, 0xffffff, v91
	v_sub_nc_u32_e32 v39, v93, v94
	v_cndmask_b32_e64 v93, 0, 1, vcc_lo
	v_add_co_ci_u32_e32 v39, vcc_lo, 0, v39, vcc_lo
	s_delay_alu instid0(VALU_DEP_2)
	v_lshrrev_b32_e32 v91, v93, v91
; %bb.14644:                            ;   in Loop: Header=BB6_14474 Depth=3
	s_and_not1_saveexec_b32 s13, s13
; %bb.14645:                            ;   in Loop: Header=BB6_14474 Depth=3
	s_delay_alu instid0(VALU_DEP_1)
	v_bfe_u32 v39, v91, 23, 1
; %bb.14646:                            ;   in Loop: Header=BB6_14474 Depth=3
	s_or_b32 exec_lo, exec_lo, s13
	v_lshrrev_b32_e32 v91, 20, v91
	s_delay_alu instid0(VALU_DEP_2) | instskip(SKIP_2) | instid1(VALU_DEP_2)
	v_cmp_gt_i32_e32 vcc_lo, 16, v39
	v_lshrrev_b32_e32 v92, 24, v92
	v_min_i32_e32 v93, 15, v39
	v_dual_cndmask_b32 v91, 7, v91 :: v_dual_and_b32 v92, 0x80, v92
	s_delay_alu instid0(VALU_DEP_2) | instskip(NEXT) | instid1(VALU_DEP_2)
	v_lshlrev_b32_e32 v93, 3, v93
	v_and_b32_e32 v94, 7, v91
	v_or_b32_e32 v39, v39, v91
	s_delay_alu instid0(VALU_DEP_2) | instskip(NEXT) | instid1(VALU_DEP_2)
	v_or3_b32 v91, v93, v92, v94
	v_cmp_ne_u32_e32 vcc_lo, 0, v39
	s_delay_alu instid0(VALU_DEP_2)
	v_cndmask_b32_e32 v39, 0, v91, vcc_lo
.LBB6_14647:                            ;   in Loop: Header=BB6_14474 Depth=3
	s_or_b32 exec_lo, exec_lo, s34
.LBB6_14648:                            ;   in Loop: Header=BB6_14474 Depth=3
	s_delay_alu instid0(SALU_CYCLE_1) | instskip(NEXT) | instid1(SALU_CYCLE_1)
	s_or_b32 exec_lo, exec_lo, s31
	s_and_not1_b32 vcc_lo, exec_lo, s16
	s_cbranch_vccnz .LBB6_14658
; %bb.14649:                            ;   in Loop: Header=BB6_14474 Depth=3
	v_and_b32_e32 v92, 0xff, v90
	s_mov_b32 s13, 0
	s_mov_b32 s34, exec_lo
                                        ; implicit-def: $sgpr31
	s_delay_alu instid0(VALU_DEP_1)
	v_cmpx_lt_i16_e32 0x7f, v92
	s_xor_b32 s34, exec_lo, s34
	s_cbranch_execnz .LBB6_15496
; %bb.14650:                            ;   in Loop: Header=BB6_14474 Depth=3
	s_or_saveexec_b32 s34, s34
	v_mov_b32_e32 v91, s31
	s_xor_b32 exec_lo, exec_lo, s34
	s_cbranch_execnz .LBB6_15499
.LBB6_14651:                            ;   in Loop: Header=BB6_14474 Depth=3
	s_or_b32 exec_lo, exec_lo, s34
	s_and_saveexec_b32 s31, s13
	s_cbranch_execz .LBB6_14653
.LBB6_14652:                            ;   in Loop: Header=BB6_14474 Depth=3
	v_lshrrev_b16 v94, 3, v90
	v_lshlrev_b32_e32 v95, 24, v90
	s_delay_alu instid0(VALU_DEP_2) | instskip(NEXT) | instid1(VALU_DEP_1)
	v_and_b32_e32 v94, 15, v94
	v_cmp_eq_u32_e32 vcc_lo, 0, v94
	v_and_b32_e32 v91, 7, v90
	s_delay_alu instid0(VALU_DEP_1) | instskip(NEXT) | instid1(VALU_DEP_1)
	v_clz_i32_u32_e32 v92, v91
	v_min_u32_e32 v92, 32, v92
	s_delay_alu instid0(VALU_DEP_1) | instskip(SKIP_1) | instid1(VALU_DEP_1)
	v_subrev_nc_u32_e32 v93, 28, v92
	v_sub_nc_u32_e32 v92, 29, v92
	v_dual_cndmask_b32 v92, v94, v92 :: v_dual_lshlrev_b32 v93, v93, v90
	s_delay_alu instid0(VALU_DEP_1) | instskip(NEXT) | instid1(VALU_DEP_2)
	v_and_b32_e32 v93, 7, v93
	v_lshl_add_u32 v92, v92, 23, 0x3b800000
	s_delay_alu instid0(VALU_DEP_2) | instskip(SKIP_1) | instid1(VALU_DEP_2)
	v_cndmask_b32_e32 v91, v91, v93, vcc_lo
	v_and_b32_e32 v93, 0x80000000, v95
	v_lshlrev_b32_e32 v91, 20, v91
	s_delay_alu instid0(VALU_DEP_1)
	v_or3_b32 v91, v93, v92, v91
.LBB6_14653:                            ;   in Loop: Header=BB6_14474 Depth=3
	s_or_b32 exec_lo, exec_lo, s31
	s_waitcnt vmcnt(25) lgkmcnt(25)
	v_and_b32_e32 v93, 0xff, v50
	s_mov_b32 s13, 0
	s_mov_b32 s34, exec_lo
                                        ; implicit-def: $sgpr31
	s_delay_alu instid0(VALU_DEP_1)
	v_cmpx_lt_i16_e32 0x7f, v93
	s_xor_b32 s34, exec_lo, s34
	s_cbranch_execnz .LBB6_15500
; %bb.14654:                            ;   in Loop: Header=BB6_14474 Depth=3
	s_or_saveexec_b32 s34, s34
	v_mov_b32_e32 v92, s31
	s_xor_b32 exec_lo, exec_lo, s34
	s_cbranch_execnz .LBB6_15503
.LBB6_14655:                            ;   in Loop: Header=BB6_14474 Depth=3
	s_or_b32 exec_lo, exec_lo, s34
	s_and_saveexec_b32 s31, s13
	s_cbranch_execz .LBB6_14657
.LBB6_14656:                            ;   in Loop: Header=BB6_14474 Depth=3
	v_lshrrev_b16 v95, 3, v50
	v_lshlrev_b32_e32 v104, 24, v50
	s_delay_alu instid0(VALU_DEP_2) | instskip(NEXT) | instid1(VALU_DEP_1)
	v_and_b32_e32 v95, 15, v95
	v_cmp_eq_u32_e32 vcc_lo, 0, v95
	v_and_b32_e32 v92, 7, v50
	s_delay_alu instid0(VALU_DEP_1) | instskip(NEXT) | instid1(VALU_DEP_1)
	v_clz_i32_u32_e32 v93, v92
	v_min_u32_e32 v93, 32, v93
	s_delay_alu instid0(VALU_DEP_1) | instskip(SKIP_1) | instid1(VALU_DEP_1)
	v_subrev_nc_u32_e32 v94, 28, v93
	v_sub_nc_u32_e32 v93, 29, v93
	v_dual_cndmask_b32 v93, v95, v93 :: v_dual_lshlrev_b32 v94, v94, v50
	s_delay_alu instid0(VALU_DEP_1) | instskip(NEXT) | instid1(VALU_DEP_2)
	v_and_b32_e32 v94, 7, v94
	v_lshl_add_u32 v93, v93, 23, 0x3b800000
	s_delay_alu instid0(VALU_DEP_2) | instskip(SKIP_1) | instid1(VALU_DEP_2)
	v_cndmask_b32_e32 v92, v92, v94, vcc_lo
	v_and_b32_e32 v94, 0x80000000, v104
	v_lshlrev_b32_e32 v92, 20, v92
	s_delay_alu instid0(VALU_DEP_1)
	v_or3_b32 v92, v94, v93, v92
.LBB6_14657:                            ;   in Loop: Header=BB6_14474 Depth=3
	s_or_b32 exec_lo, exec_lo, s31
	s_delay_alu instid0(VALU_DEP_1) | instskip(SKIP_1) | instid1(VALU_DEP_1)
	v_dual_max_f32 v92, v92, v92 :: v_dual_max_f32 v91, v91, v91
	s_mov_b32 s13, 0
	v_max_f32_e32 v91, v91, v92
	s_branch .LBB6_14659
.LBB6_14658:                            ;   in Loop: Header=BB6_14474 Depth=3
	s_mov_b32 s13, -1
                                        ; implicit-def: $vgpr91
.LBB6_14659:                            ;   in Loop: Header=BB6_14474 Depth=3
	s_delay_alu instid0(SALU_CYCLE_1)
	s_and_b32 vcc_lo, exec_lo, s13
	s_cbranch_vccz .LBB6_14669
; %bb.14660:                            ;   in Loop: Header=BB6_14474 Depth=3
	v_and_b32_e32 v92, 0xff, v90
	s_mov_b32 s13, 0
	s_mov_b32 s34, exec_lo
                                        ; implicit-def: $sgpr31
	s_delay_alu instid0(VALU_DEP_1)
	v_cmpx_lt_i16_e32 0x7f, v92
	s_xor_b32 s34, exec_lo, s34
	s_cbranch_execnz .LBB6_15504
; %bb.14661:                            ;   in Loop: Header=BB6_14474 Depth=3
	s_or_saveexec_b32 s34, s34
	v_mov_b32_e32 v91, s31
	s_xor_b32 exec_lo, exec_lo, s34
	s_cbranch_execnz .LBB6_15507
.LBB6_14662:                            ;   in Loop: Header=BB6_14474 Depth=3
	s_or_b32 exec_lo, exec_lo, s34
	s_and_saveexec_b32 s31, s13
	s_cbranch_execz .LBB6_14664
.LBB6_14663:                            ;   in Loop: Header=BB6_14474 Depth=3
	v_lshrrev_b16 v94, 3, v90
	s_delay_alu instid0(VALU_DEP_1) | instskip(NEXT) | instid1(VALU_DEP_1)
	v_and_b32_e32 v94, 15, v94
	v_cmp_eq_u32_e32 vcc_lo, 0, v94
	v_and_b32_e32 v91, 7, v90
	s_delay_alu instid0(VALU_DEP_1) | instskip(NEXT) | instid1(VALU_DEP_1)
	v_clz_i32_u32_e32 v92, v91
	v_min_u32_e32 v92, 32, v92
	s_delay_alu instid0(VALU_DEP_1) | instskip(SKIP_1) | instid1(VALU_DEP_1)
	v_subrev_nc_u32_e32 v93, 28, v92
	v_sub_nc_u32_e32 v92, 29, v92
	v_dual_cndmask_b32 v92, v94, v92 :: v_dual_lshlrev_b32 v93, v93, v90
	v_lshlrev_b32_e32 v90, 24, v90
	s_delay_alu instid0(VALU_DEP_2) | instskip(NEXT) | instid1(VALU_DEP_3)
	v_and_b32_e32 v93, 7, v93
	v_lshl_add_u32 v92, v92, 23, 0x3b800000
	s_delay_alu instid0(VALU_DEP_2) | instskip(NEXT) | instid1(VALU_DEP_1)
	v_dual_cndmask_b32 v91, v91, v93 :: v_dual_and_b32 v90, 0x80000000, v90
	v_lshlrev_b32_e32 v91, 20, v91
	s_delay_alu instid0(VALU_DEP_1)
	v_or3_b32 v91, v90, v92, v91
.LBB6_14664:                            ;   in Loop: Header=BB6_14474 Depth=3
	s_or_b32 exec_lo, exec_lo, s31
	s_waitcnt vmcnt(25) lgkmcnt(25)
	v_and_b32_e32 v92, 0xff, v50
	s_mov_b32 s13, 0
	s_mov_b32 s34, exec_lo
                                        ; implicit-def: $sgpr31
	s_delay_alu instid0(VALU_DEP_1)
	v_cmpx_lt_i16_e32 0x7f, v92
	s_xor_b32 s34, exec_lo, s34
	s_cbranch_execnz .LBB6_15508
; %bb.14665:                            ;   in Loop: Header=BB6_14474 Depth=3
	s_or_saveexec_b32 s34, s34
	v_mov_b32_e32 v90, s31
	s_xor_b32 exec_lo, exec_lo, s34
	s_cbranch_execnz .LBB6_15511
.LBB6_14666:                            ;   in Loop: Header=BB6_14474 Depth=3
	s_or_b32 exec_lo, exec_lo, s34
	s_and_saveexec_b32 s31, s13
	s_cbranch_execz .LBB6_14668
.LBB6_14667:                            ;   in Loop: Header=BB6_14474 Depth=3
	v_and_b32_e32 v90, 7, v50
	v_lshrrev_b16 v94, 3, v50
	s_delay_alu instid0(VALU_DEP_2) | instskip(NEXT) | instid1(VALU_DEP_2)
	v_clz_i32_u32_e32 v92, v90
	v_and_b32_e32 v94, 15, v94
	s_delay_alu instid0(VALU_DEP_2) | instskip(NEXT) | instid1(VALU_DEP_2)
	v_min_u32_e32 v92, 32, v92
	v_cmp_eq_u32_e32 vcc_lo, 0, v94
	s_delay_alu instid0(VALU_DEP_2) | instskip(SKIP_1) | instid1(VALU_DEP_1)
	v_subrev_nc_u32_e32 v93, 28, v92
	v_sub_nc_u32_e32 v92, 29, v92
	v_dual_cndmask_b32 v92, v94, v92 :: v_dual_lshlrev_b32 v93, v93, v50
	v_lshlrev_b32_e32 v50, 24, v50
	s_delay_alu instid0(VALU_DEP_2) | instskip(NEXT) | instid1(VALU_DEP_3)
	v_and_b32_e32 v93, 7, v93
	v_lshl_add_u32 v92, v92, 23, 0x3b800000
	s_delay_alu instid0(VALU_DEP_3) | instskip(NEXT) | instid1(VALU_DEP_3)
	v_and_b32_e32 v50, 0x80000000, v50
	v_cndmask_b32_e32 v90, v90, v93, vcc_lo
	s_delay_alu instid0(VALU_DEP_1) | instskip(NEXT) | instid1(VALU_DEP_1)
	v_lshlrev_b32_e32 v90, 20, v90
	v_or3_b32 v90, v50, v92, v90
.LBB6_14668:                            ;   in Loop: Header=BB6_14474 Depth=3
	s_or_b32 exec_lo, exec_lo, s31
	s_delay_alu instid0(VALU_DEP_1) | instskip(SKIP_1) | instid1(VALU_DEP_1)
	v_max_f32_e32 v50, v90, v90
	v_max_f32_e32 v90, v91, v91
	v_min_f32_e32 v91, v90, v50
.LBB6_14669:                            ;   in Loop: Header=BB6_14474 Depth=3
	s_waitcnt vmcnt(25) lgkmcnt(25)
	s_delay_alu instid0(VALU_DEP_1) | instskip(NEXT) | instid1(VALU_DEP_1)
	v_and_b32_e32 v50, 0x7f800000, v91
	v_cmp_ne_u32_e32 vcc_lo, 0x7f800000, v50
	v_mov_b32_e32 v50, 0x80
	s_and_saveexec_b32 s31, vcc_lo
	s_cbranch_execz .LBB6_14677
; %bb.14670:                            ;   in Loop: Header=BB6_14474 Depth=3
	v_mov_b32_e32 v50, 0
	s_mov_b32 s34, exec_lo
	v_cmpx_ne_u32_e32 0, v91
	s_cbranch_execz .LBB6_14676
; %bb.14671:                            ;   in Loop: Header=BB6_14474 Depth=3
	v_bfe_u32 v50, v91, 23, 8
	v_and_b32_e32 v90, 0x7fffff, v91
	s_delay_alu instid0(VALU_DEP_2) | instskip(SKIP_1) | instid1(VALU_DEP_3)
	v_sub_nc_u32_e32 v92, 0x78, v50
	v_cmp_gt_u32_e32 vcc_lo, 0x79, v50
	v_or_b32_e32 v93, 0x800000, v90
	s_delay_alu instid0(VALU_DEP_3) | instskip(SKIP_2) | instid1(VALU_DEP_3)
	v_cndmask_b32_e32 v92, 0, v92, vcc_lo
	v_cmp_eq_u32_e32 vcc_lo, 0, v50
	v_add_nc_u32_e32 v50, 0xffffff89, v50
	v_cndmask_b32_e64 v92, v92, 0x77, vcc_lo
	v_cndmask_b32_e32 v90, v93, v90, vcc_lo
	s_delay_alu instid0(VALU_DEP_3) | instskip(NEXT) | instid1(VALU_DEP_3)
	v_cndmask_b32_e64 v50, v50, 0xffffff8a, vcc_lo
	v_lshl_add_u32 v93, 0x100000, v92, -1
	s_delay_alu instid0(VALU_DEP_3) | instskip(SKIP_1) | instid1(VALU_DEP_4)
	v_lshrrev_b32_e32 v94, v92, v90
	v_lshlrev_b32_e64 v104, v92, 0x80000
	v_add_nc_u32_e32 v92, v92, v50
	s_delay_alu instid0(VALU_DEP_4) | instskip(NEXT) | instid1(VALU_DEP_4)
	v_and_b32_e32 v90, v93, v90
	v_bfe_u32 v95, v94, 20, 1
	s_delay_alu instid0(VALU_DEP_2) | instskip(NEXT) | instid1(VALU_DEP_2)
	v_cmp_eq_u32_e64 s13, v90, v104
	v_add_nc_u32_e32 v93, -1, v95
	s_delay_alu instid0(VALU_DEP_1) | instskip(SKIP_2) | instid1(VALU_DEP_2)
	v_cndmask_b32_e64 v90, 0, v93, s13
	v_lshrrev_b32_e32 v93, 23, v94
	s_mov_b32 s13, exec_lo
	v_add_nc_u32_e32 v90, v90, v94
	s_delay_alu instid0(VALU_DEP_2) | instskip(NEXT) | instid1(VALU_DEP_2)
	v_xor_b32_e32 v93, 1, v93
	v_and_b32_e32 v50, 0xfffff, v90
	s_delay_alu instid0(VALU_DEP_1) | instskip(NEXT) | instid1(VALU_DEP_3)
	v_add_nc_u32_e32 v90, v50, v94
                                        ; implicit-def: $vgpr50
	v_cmpx_ne_u32_e64 v92, v93
	s_xor_b32 s13, exec_lo, s13
; %bb.14672:                            ;   in Loop: Header=BB6_14474 Depth=3
	s_delay_alu instid0(VALU_DEP_2) | instskip(SKIP_2) | instid1(VALU_DEP_2)
	v_cmp_lt_u32_e32 vcc_lo, 0xffffff, v90
	v_sub_nc_u32_e32 v50, v92, v93
	v_cndmask_b32_e64 v92, 0, 1, vcc_lo
	v_add_co_ci_u32_e32 v50, vcc_lo, 0, v50, vcc_lo
	s_delay_alu instid0(VALU_DEP_2)
	v_lshrrev_b32_e32 v90, v92, v90
; %bb.14673:                            ;   in Loop: Header=BB6_14474 Depth=3
	s_and_not1_saveexec_b32 s13, s13
; %bb.14674:                            ;   in Loop: Header=BB6_14474 Depth=3
	s_delay_alu instid0(VALU_DEP_1)
	v_bfe_u32 v50, v90, 23, 1
; %bb.14675:                            ;   in Loop: Header=BB6_14474 Depth=3
	s_or_b32 exec_lo, exec_lo, s13
	v_lshrrev_b32_e32 v90, 20, v90
	s_delay_alu instid0(VALU_DEP_2) | instskip(SKIP_2) | instid1(VALU_DEP_2)
	v_cmp_gt_i32_e32 vcc_lo, 16, v50
	v_lshrrev_b32_e32 v91, 24, v91
	v_min_i32_e32 v92, 15, v50
	v_dual_cndmask_b32 v90, 7, v90 :: v_dual_and_b32 v91, 0x80, v91
	s_delay_alu instid0(VALU_DEP_2) | instskip(NEXT) | instid1(VALU_DEP_2)
	v_lshlrev_b32_e32 v92, 3, v92
	v_and_b32_e32 v93, 7, v90
	v_or_b32_e32 v50, v50, v90
	s_delay_alu instid0(VALU_DEP_2) | instskip(NEXT) | instid1(VALU_DEP_2)
	v_or3_b32 v90, v92, v91, v93
	v_cmp_ne_u32_e32 vcc_lo, 0, v50
	s_delay_alu instid0(VALU_DEP_2)
	v_cndmask_b32_e32 v50, 0, v90, vcc_lo
.LBB6_14676:                            ;   in Loop: Header=BB6_14474 Depth=3
	s_or_b32 exec_lo, exec_lo, s34
.LBB6_14677:                            ;   in Loop: Header=BB6_14474 Depth=3
	s_delay_alu instid0(SALU_CYCLE_1) | instskip(NEXT) | instid1(SALU_CYCLE_1)
	s_or_b32 exec_lo, exec_lo, s31
	s_and_not1_b32 vcc_lo, exec_lo, s16
	s_cbranch_vccnz .LBB6_14687
; %bb.14678:                            ;   in Loop: Header=BB6_14474 Depth=3
	v_and_b32_e32 v91, 0xff, v89
	s_mov_b32 s13, 0
	s_mov_b32 s34, exec_lo
                                        ; implicit-def: $sgpr31
	s_delay_alu instid0(VALU_DEP_1)
	v_cmpx_lt_i16_e32 0x7f, v91
	s_xor_b32 s34, exec_lo, s34
	s_cbranch_execnz .LBB6_15512
; %bb.14679:                            ;   in Loop: Header=BB6_14474 Depth=3
	s_or_saveexec_b32 s34, s34
	v_mov_b32_e32 v90, s31
	s_xor_b32 exec_lo, exec_lo, s34
	s_cbranch_execnz .LBB6_15515
.LBB6_14680:                            ;   in Loop: Header=BB6_14474 Depth=3
	s_or_b32 exec_lo, exec_lo, s34
	s_and_saveexec_b32 s31, s13
	s_cbranch_execz .LBB6_14682
.LBB6_14681:                            ;   in Loop: Header=BB6_14474 Depth=3
	v_lshrrev_b16 v93, 3, v89
	v_lshlrev_b32_e32 v94, 24, v89
	s_delay_alu instid0(VALU_DEP_2) | instskip(NEXT) | instid1(VALU_DEP_1)
	v_and_b32_e32 v93, 15, v93
	v_cmp_eq_u32_e32 vcc_lo, 0, v93
	v_and_b32_e32 v90, 7, v89
	s_delay_alu instid0(VALU_DEP_1) | instskip(NEXT) | instid1(VALU_DEP_1)
	v_clz_i32_u32_e32 v91, v90
	v_min_u32_e32 v91, 32, v91
	s_delay_alu instid0(VALU_DEP_1) | instskip(SKIP_1) | instid1(VALU_DEP_1)
	v_subrev_nc_u32_e32 v92, 28, v91
	v_sub_nc_u32_e32 v91, 29, v91
	v_dual_cndmask_b32 v91, v93, v91 :: v_dual_lshlrev_b32 v92, v92, v89
	s_delay_alu instid0(VALU_DEP_1) | instskip(NEXT) | instid1(VALU_DEP_2)
	v_and_b32_e32 v92, 7, v92
	v_lshl_add_u32 v91, v91, 23, 0x3b800000
	s_delay_alu instid0(VALU_DEP_2) | instskip(SKIP_1) | instid1(VALU_DEP_2)
	v_cndmask_b32_e32 v90, v90, v92, vcc_lo
	v_and_b32_e32 v92, 0x80000000, v94
	v_lshlrev_b32_e32 v90, 20, v90
	s_delay_alu instid0(VALU_DEP_1)
	v_or3_b32 v90, v92, v91, v90
.LBB6_14682:                            ;   in Loop: Header=BB6_14474 Depth=3
	s_or_b32 exec_lo, exec_lo, s31
	s_waitcnt vmcnt(24) lgkmcnt(24)
	v_and_b32_e32 v92, 0xff, v102
	s_mov_b32 s13, 0
	s_mov_b32 s34, exec_lo
                                        ; implicit-def: $sgpr31
	s_delay_alu instid0(VALU_DEP_1)
	v_cmpx_lt_i16_e32 0x7f, v92
	s_xor_b32 s34, exec_lo, s34
	s_cbranch_execnz .LBB6_15516
; %bb.14683:                            ;   in Loop: Header=BB6_14474 Depth=3
	s_or_saveexec_b32 s34, s34
	v_mov_b32_e32 v91, s31
	s_xor_b32 exec_lo, exec_lo, s34
	s_cbranch_execnz .LBB6_15519
.LBB6_14684:                            ;   in Loop: Header=BB6_14474 Depth=3
	s_or_b32 exec_lo, exec_lo, s34
	s_and_saveexec_b32 s31, s13
	s_cbranch_execz .LBB6_14686
.LBB6_14685:                            ;   in Loop: Header=BB6_14474 Depth=3
	v_lshrrev_b16 v94, 3, v102
	v_lshlrev_b32_e32 v95, 24, v102
	s_delay_alu instid0(VALU_DEP_2) | instskip(NEXT) | instid1(VALU_DEP_1)
	v_and_b32_e32 v94, 15, v94
	v_cmp_eq_u32_e32 vcc_lo, 0, v94
	v_and_b32_e32 v91, 7, v102
	s_delay_alu instid0(VALU_DEP_1) | instskip(NEXT) | instid1(VALU_DEP_1)
	v_clz_i32_u32_e32 v92, v91
	v_min_u32_e32 v92, 32, v92
	s_delay_alu instid0(VALU_DEP_1) | instskip(SKIP_1) | instid1(VALU_DEP_1)
	v_subrev_nc_u32_e32 v93, 28, v92
	v_sub_nc_u32_e32 v92, 29, v92
	v_dual_cndmask_b32 v92, v94, v92 :: v_dual_lshlrev_b32 v93, v93, v102
	s_delay_alu instid0(VALU_DEP_1) | instskip(NEXT) | instid1(VALU_DEP_2)
	v_and_b32_e32 v93, 7, v93
	v_lshl_add_u32 v92, v92, 23, 0x3b800000
	s_delay_alu instid0(VALU_DEP_2) | instskip(SKIP_1) | instid1(VALU_DEP_2)
	v_cndmask_b32_e32 v91, v91, v93, vcc_lo
	v_and_b32_e32 v93, 0x80000000, v95
	v_lshlrev_b32_e32 v91, 20, v91
	s_delay_alu instid0(VALU_DEP_1)
	v_or3_b32 v91, v93, v92, v91
.LBB6_14686:                            ;   in Loop: Header=BB6_14474 Depth=3
	s_or_b32 exec_lo, exec_lo, s31
	s_delay_alu instid0(VALU_DEP_1) | instskip(SKIP_1) | instid1(VALU_DEP_1)
	v_dual_max_f32 v91, v91, v91 :: v_dual_max_f32 v90, v90, v90
	s_mov_b32 s13, 0
	v_max_f32_e32 v90, v90, v91
	s_branch .LBB6_14688
.LBB6_14687:                            ;   in Loop: Header=BB6_14474 Depth=3
	s_mov_b32 s13, -1
                                        ; implicit-def: $vgpr90
.LBB6_14688:                            ;   in Loop: Header=BB6_14474 Depth=3
	s_delay_alu instid0(SALU_CYCLE_1)
	s_and_b32 vcc_lo, exec_lo, s13
	s_cbranch_vccz .LBB6_14698
; %bb.14689:                            ;   in Loop: Header=BB6_14474 Depth=3
	v_and_b32_e32 v91, 0xff, v89
	s_mov_b32 s13, 0
	s_mov_b32 s34, exec_lo
                                        ; implicit-def: $sgpr31
	s_delay_alu instid0(VALU_DEP_1)
	v_cmpx_lt_i16_e32 0x7f, v91
	s_xor_b32 s34, exec_lo, s34
	s_cbranch_execnz .LBB6_15520
; %bb.14690:                            ;   in Loop: Header=BB6_14474 Depth=3
	s_or_saveexec_b32 s34, s34
	v_mov_b32_e32 v90, s31
	s_xor_b32 exec_lo, exec_lo, s34
	s_cbranch_execnz .LBB6_15523
.LBB6_14691:                            ;   in Loop: Header=BB6_14474 Depth=3
	s_or_b32 exec_lo, exec_lo, s34
	s_and_saveexec_b32 s31, s13
	s_cbranch_execz .LBB6_14693
.LBB6_14692:                            ;   in Loop: Header=BB6_14474 Depth=3
	v_lshrrev_b16 v93, 3, v89
	s_delay_alu instid0(VALU_DEP_1) | instskip(NEXT) | instid1(VALU_DEP_1)
	v_and_b32_e32 v93, 15, v93
	v_cmp_eq_u32_e32 vcc_lo, 0, v93
	v_and_b32_e32 v90, 7, v89
	s_delay_alu instid0(VALU_DEP_1) | instskip(NEXT) | instid1(VALU_DEP_1)
	v_clz_i32_u32_e32 v91, v90
	v_min_u32_e32 v91, 32, v91
	s_delay_alu instid0(VALU_DEP_1) | instskip(SKIP_1) | instid1(VALU_DEP_1)
	v_subrev_nc_u32_e32 v92, 28, v91
	v_sub_nc_u32_e32 v91, 29, v91
	v_dual_cndmask_b32 v91, v93, v91 :: v_dual_lshlrev_b32 v92, v92, v89
	v_lshlrev_b32_e32 v89, 24, v89
	s_delay_alu instid0(VALU_DEP_2) | instskip(NEXT) | instid1(VALU_DEP_3)
	v_and_b32_e32 v92, 7, v92
	v_lshl_add_u32 v91, v91, 23, 0x3b800000
	s_delay_alu instid0(VALU_DEP_2) | instskip(NEXT) | instid1(VALU_DEP_1)
	v_dual_cndmask_b32 v90, v90, v92 :: v_dual_and_b32 v89, 0x80000000, v89
	v_lshlrev_b32_e32 v90, 20, v90
	s_delay_alu instid0(VALU_DEP_1)
	v_or3_b32 v90, v89, v91, v90
.LBB6_14693:                            ;   in Loop: Header=BB6_14474 Depth=3
	s_or_b32 exec_lo, exec_lo, s31
	s_waitcnt vmcnt(24) lgkmcnt(24)
	v_and_b32_e32 v91, 0xff, v102
	s_mov_b32 s13, 0
	s_mov_b32 s34, exec_lo
                                        ; implicit-def: $sgpr31
	s_delay_alu instid0(VALU_DEP_1)
	v_cmpx_lt_i16_e32 0x7f, v91
	s_xor_b32 s34, exec_lo, s34
	s_cbranch_execnz .LBB6_15524
; %bb.14694:                            ;   in Loop: Header=BB6_14474 Depth=3
	s_or_saveexec_b32 s34, s34
	v_mov_b32_e32 v89, s31
	s_xor_b32 exec_lo, exec_lo, s34
	s_cbranch_execnz .LBB6_15527
.LBB6_14695:                            ;   in Loop: Header=BB6_14474 Depth=3
	s_or_b32 exec_lo, exec_lo, s34
	s_and_saveexec_b32 s31, s13
	s_cbranch_execz .LBB6_14697
.LBB6_14696:                            ;   in Loop: Header=BB6_14474 Depth=3
	v_and_b32_e32 v89, 7, v102
	v_lshrrev_b16 v93, 3, v102
	s_delay_alu instid0(VALU_DEP_2) | instskip(NEXT) | instid1(VALU_DEP_2)
	v_clz_i32_u32_e32 v91, v89
	v_and_b32_e32 v93, 15, v93
	s_delay_alu instid0(VALU_DEP_2) | instskip(NEXT) | instid1(VALU_DEP_2)
	v_min_u32_e32 v91, 32, v91
	v_cmp_eq_u32_e32 vcc_lo, 0, v93
	s_delay_alu instid0(VALU_DEP_2) | instskip(SKIP_1) | instid1(VALU_DEP_1)
	v_subrev_nc_u32_e32 v92, 28, v91
	v_sub_nc_u32_e32 v91, 29, v91
	v_dual_cndmask_b32 v91, v93, v91 :: v_dual_lshlrev_b32 v92, v92, v102
	s_delay_alu instid0(VALU_DEP_1) | instskip(SKIP_1) | instid1(VALU_DEP_3)
	v_and_b32_e32 v92, 7, v92
	v_lshlrev_b32_e32 v102, 24, v102
	v_lshl_add_u32 v91, v91, 23, 0x3b800000
	s_delay_alu instid0(VALU_DEP_2) | instskip(NEXT) | instid1(VALU_DEP_1)
	v_dual_cndmask_b32 v89, v89, v92 :: v_dual_and_b32 v102, 0x80000000, v102
	v_lshlrev_b32_e32 v89, 20, v89
	s_delay_alu instid0(VALU_DEP_1)
	v_or3_b32 v89, v102, v91, v89
.LBB6_14697:                            ;   in Loop: Header=BB6_14474 Depth=3
	s_or_b32 exec_lo, exec_lo, s31
	s_delay_alu instid0(VALU_DEP_1) | instskip(NEXT) | instid1(VALU_DEP_1)
	v_dual_max_f32 v102, v89, v89 :: v_dual_max_f32 v89, v90, v90
	v_min_f32_e32 v90, v89, v102
.LBB6_14698:                            ;   in Loop: Header=BB6_14474 Depth=3
	s_waitcnt vmcnt(24) lgkmcnt(24)
	s_delay_alu instid0(VALU_DEP_1) | instskip(NEXT) | instid1(VALU_DEP_1)
	v_and_b32_e32 v102, 0x7f800000, v90
	v_cmp_ne_u32_e32 vcc_lo, 0x7f800000, v102
	v_mov_b32_e32 v102, 0x80
	s_and_saveexec_b32 s31, vcc_lo
	s_cbranch_execz .LBB6_14706
; %bb.14699:                            ;   in Loop: Header=BB6_14474 Depth=3
	v_mov_b32_e32 v102, 0
	s_mov_b32 s34, exec_lo
	v_cmpx_ne_u32_e32 0, v90
	s_cbranch_execz .LBB6_14705
; %bb.14700:                            ;   in Loop: Header=BB6_14474 Depth=3
	v_bfe_u32 v102, v90, 23, 8
	v_and_b32_e32 v89, 0x7fffff, v90
	s_delay_alu instid0(VALU_DEP_2) | instskip(SKIP_1) | instid1(VALU_DEP_3)
	v_sub_nc_u32_e32 v91, 0x78, v102
	v_cmp_gt_u32_e32 vcc_lo, 0x79, v102
	v_or_b32_e32 v92, 0x800000, v89
	s_delay_alu instid0(VALU_DEP_3) | instskip(SKIP_2) | instid1(VALU_DEP_3)
	v_cndmask_b32_e32 v91, 0, v91, vcc_lo
	v_cmp_eq_u32_e32 vcc_lo, 0, v102
	v_add_nc_u32_e32 v102, 0xffffff89, v102
	v_cndmask_b32_e64 v91, v91, 0x77, vcc_lo
	v_cndmask_b32_e32 v89, v92, v89, vcc_lo
	s_delay_alu instid0(VALU_DEP_3) | instskip(NEXT) | instid1(VALU_DEP_3)
	v_cndmask_b32_e64 v102, v102, 0xffffff8a, vcc_lo
	v_lshl_add_u32 v92, 0x100000, v91, -1
	s_delay_alu instid0(VALU_DEP_3) | instskip(SKIP_1) | instid1(VALU_DEP_4)
	v_lshrrev_b32_e32 v93, v91, v89
	v_lshlrev_b32_e64 v95, v91, 0x80000
	v_add_nc_u32_e32 v91, v91, v102
	s_delay_alu instid0(VALU_DEP_4) | instskip(NEXT) | instid1(VALU_DEP_4)
	v_and_b32_e32 v89, v92, v89
	v_bfe_u32 v94, v93, 20, 1
	s_delay_alu instid0(VALU_DEP_2) | instskip(NEXT) | instid1(VALU_DEP_2)
	v_cmp_eq_u32_e64 s13, v89, v95
	v_add_nc_u32_e32 v92, -1, v94
	s_delay_alu instid0(VALU_DEP_1) | instskip(SKIP_2) | instid1(VALU_DEP_2)
	v_cndmask_b32_e64 v89, 0, v92, s13
	v_lshrrev_b32_e32 v92, 23, v93
	s_mov_b32 s13, exec_lo
	v_add_nc_u32_e32 v89, v89, v93
	s_delay_alu instid0(VALU_DEP_2) | instskip(NEXT) | instid1(VALU_DEP_2)
	v_xor_b32_e32 v92, 1, v92
	v_and_b32_e32 v102, 0xfffff, v89
	s_delay_alu instid0(VALU_DEP_1) | instskip(NEXT) | instid1(VALU_DEP_3)
	v_add_nc_u32_e32 v89, v102, v93
                                        ; implicit-def: $vgpr102
	v_cmpx_ne_u32_e64 v91, v92
	s_xor_b32 s13, exec_lo, s13
; %bb.14701:                            ;   in Loop: Header=BB6_14474 Depth=3
	s_delay_alu instid0(VALU_DEP_2) | instskip(SKIP_2) | instid1(VALU_DEP_2)
	v_cmp_lt_u32_e32 vcc_lo, 0xffffff, v89
	v_sub_nc_u32_e32 v102, v91, v92
	v_cndmask_b32_e64 v91, 0, 1, vcc_lo
	v_add_co_ci_u32_e32 v102, vcc_lo, 0, v102, vcc_lo
	s_delay_alu instid0(VALU_DEP_2)
	v_lshrrev_b32_e32 v89, v91, v89
; %bb.14702:                            ;   in Loop: Header=BB6_14474 Depth=3
	s_and_not1_saveexec_b32 s13, s13
; %bb.14703:                            ;   in Loop: Header=BB6_14474 Depth=3
	s_delay_alu instid0(VALU_DEP_1)
	v_bfe_u32 v102, v89, 23, 1
; %bb.14704:                            ;   in Loop: Header=BB6_14474 Depth=3
	s_or_b32 exec_lo, exec_lo, s13
	v_lshrrev_b32_e32 v89, 20, v89
	s_delay_alu instid0(VALU_DEP_2) | instskip(SKIP_2) | instid1(VALU_DEP_2)
	v_cmp_gt_i32_e32 vcc_lo, 16, v102
	v_lshrrev_b32_e32 v90, 24, v90
	v_min_i32_e32 v91, 15, v102
	v_dual_cndmask_b32 v89, 7, v89 :: v_dual_and_b32 v90, 0x80, v90
	s_delay_alu instid0(VALU_DEP_1) | instskip(SKIP_1) | instid1(VALU_DEP_2)
	v_or_b32_e32 v102, v102, v89
	v_and_b32_e32 v92, 7, v89
	v_cmp_ne_u32_e32 vcc_lo, 0, v102
	v_lshlrev_b32_e32 v91, 3, v91
	s_delay_alu instid0(VALU_DEP_1) | instskip(NEXT) | instid1(VALU_DEP_1)
	v_or3_b32 v89, v91, v90, v92
	v_cndmask_b32_e32 v102, 0, v89, vcc_lo
.LBB6_14705:                            ;   in Loop: Header=BB6_14474 Depth=3
	s_or_b32 exec_lo, exec_lo, s34
.LBB6_14706:                            ;   in Loop: Header=BB6_14474 Depth=3
	s_delay_alu instid0(SALU_CYCLE_1) | instskip(NEXT) | instid1(SALU_CYCLE_1)
	s_or_b32 exec_lo, exec_lo, s31
	s_and_not1_b32 vcc_lo, exec_lo, s16
	s_cbranch_vccnz .LBB6_14716
; %bb.14707:                            ;   in Loop: Header=BB6_14474 Depth=3
	v_and_b32_e32 v90, 0xff, v88
	s_mov_b32 s13, 0
	s_mov_b32 s34, exec_lo
                                        ; implicit-def: $sgpr31
	s_delay_alu instid0(VALU_DEP_1)
	v_cmpx_lt_i16_e32 0x7f, v90
	s_xor_b32 s34, exec_lo, s34
	s_cbranch_execnz .LBB6_15528
; %bb.14708:                            ;   in Loop: Header=BB6_14474 Depth=3
	s_or_saveexec_b32 s34, s34
	v_mov_b32_e32 v89, s31
	s_xor_b32 exec_lo, exec_lo, s34
	s_cbranch_execnz .LBB6_15531
.LBB6_14709:                            ;   in Loop: Header=BB6_14474 Depth=3
	s_or_b32 exec_lo, exec_lo, s34
	s_and_saveexec_b32 s31, s13
	s_cbranch_execz .LBB6_14711
.LBB6_14710:                            ;   in Loop: Header=BB6_14474 Depth=3
	v_lshrrev_b16 v92, 3, v88
	v_lshlrev_b32_e32 v93, 24, v88
	s_delay_alu instid0(VALU_DEP_2) | instskip(NEXT) | instid1(VALU_DEP_1)
	v_and_b32_e32 v92, 15, v92
	v_cmp_eq_u32_e32 vcc_lo, 0, v92
	v_and_b32_e32 v89, 7, v88
	s_delay_alu instid0(VALU_DEP_1) | instskip(NEXT) | instid1(VALU_DEP_1)
	v_clz_i32_u32_e32 v90, v89
	v_min_u32_e32 v90, 32, v90
	s_delay_alu instid0(VALU_DEP_1) | instskip(SKIP_1) | instid1(VALU_DEP_1)
	v_subrev_nc_u32_e32 v91, 28, v90
	v_sub_nc_u32_e32 v90, 29, v90
	v_dual_cndmask_b32 v90, v92, v90 :: v_dual_lshlrev_b32 v91, v91, v88
	s_delay_alu instid0(VALU_DEP_1) | instskip(NEXT) | instid1(VALU_DEP_2)
	v_and_b32_e32 v91, 7, v91
	v_lshl_add_u32 v90, v90, 23, 0x3b800000
	s_delay_alu instid0(VALU_DEP_2) | instskip(SKIP_1) | instid1(VALU_DEP_2)
	v_cndmask_b32_e32 v89, v89, v91, vcc_lo
	v_and_b32_e32 v91, 0x80000000, v93
	v_lshlrev_b32_e32 v89, 20, v89
	s_delay_alu instid0(VALU_DEP_1)
	v_or3_b32 v89, v91, v90, v89
.LBB6_14711:                            ;   in Loop: Header=BB6_14474 Depth=3
	s_or_b32 exec_lo, exec_lo, s31
	s_waitcnt vmcnt(23) lgkmcnt(23)
	v_and_b32_e32 v91, 0xff, v114
	s_mov_b32 s13, 0
	s_mov_b32 s34, exec_lo
                                        ; implicit-def: $sgpr31
	s_delay_alu instid0(VALU_DEP_1)
	v_cmpx_lt_i16_e32 0x7f, v91
	s_xor_b32 s34, exec_lo, s34
	s_cbranch_execnz .LBB6_15532
; %bb.14712:                            ;   in Loop: Header=BB6_14474 Depth=3
	s_or_saveexec_b32 s34, s34
	v_mov_b32_e32 v90, s31
	s_xor_b32 exec_lo, exec_lo, s34
	s_cbranch_execnz .LBB6_15535
.LBB6_14713:                            ;   in Loop: Header=BB6_14474 Depth=3
	s_or_b32 exec_lo, exec_lo, s34
	s_and_saveexec_b32 s31, s13
	s_cbranch_execz .LBB6_14715
.LBB6_14714:                            ;   in Loop: Header=BB6_14474 Depth=3
	v_lshrrev_b16 v93, 3, v114
	v_lshlrev_b32_e32 v94, 24, v114
	s_delay_alu instid0(VALU_DEP_2) | instskip(NEXT) | instid1(VALU_DEP_1)
	v_and_b32_e32 v93, 15, v93
	v_cmp_eq_u32_e32 vcc_lo, 0, v93
	v_and_b32_e32 v90, 7, v114
	s_delay_alu instid0(VALU_DEP_1) | instskip(NEXT) | instid1(VALU_DEP_1)
	v_clz_i32_u32_e32 v91, v90
	v_min_u32_e32 v91, 32, v91
	s_delay_alu instid0(VALU_DEP_1) | instskip(SKIP_1) | instid1(VALU_DEP_1)
	v_subrev_nc_u32_e32 v92, 28, v91
	v_sub_nc_u32_e32 v91, 29, v91
	v_dual_cndmask_b32 v91, v93, v91 :: v_dual_lshlrev_b32 v92, v92, v114
	s_delay_alu instid0(VALU_DEP_1) | instskip(NEXT) | instid1(VALU_DEP_2)
	v_and_b32_e32 v92, 7, v92
	v_lshl_add_u32 v91, v91, 23, 0x3b800000
	s_delay_alu instid0(VALU_DEP_2) | instskip(SKIP_1) | instid1(VALU_DEP_2)
	v_cndmask_b32_e32 v90, v90, v92, vcc_lo
	v_and_b32_e32 v92, 0x80000000, v94
	v_lshlrev_b32_e32 v90, 20, v90
	s_delay_alu instid0(VALU_DEP_1)
	v_or3_b32 v90, v92, v91, v90
.LBB6_14715:                            ;   in Loop: Header=BB6_14474 Depth=3
	s_or_b32 exec_lo, exec_lo, s31
	s_delay_alu instid0(VALU_DEP_1) | instskip(SKIP_1) | instid1(VALU_DEP_1)
	v_dual_max_f32 v90, v90, v90 :: v_dual_max_f32 v89, v89, v89
	s_mov_b32 s13, 0
	v_max_f32_e32 v89, v89, v90
	s_branch .LBB6_14717
.LBB6_14716:                            ;   in Loop: Header=BB6_14474 Depth=3
	s_mov_b32 s13, -1
                                        ; implicit-def: $vgpr89
.LBB6_14717:                            ;   in Loop: Header=BB6_14474 Depth=3
	s_delay_alu instid0(SALU_CYCLE_1)
	s_and_b32 vcc_lo, exec_lo, s13
	s_cbranch_vccz .LBB6_14727
; %bb.14718:                            ;   in Loop: Header=BB6_14474 Depth=3
	v_and_b32_e32 v90, 0xff, v88
	s_mov_b32 s13, 0
	s_mov_b32 s34, exec_lo
                                        ; implicit-def: $sgpr31
	s_delay_alu instid0(VALU_DEP_1)
	v_cmpx_lt_i16_e32 0x7f, v90
	s_xor_b32 s34, exec_lo, s34
	s_cbranch_execnz .LBB6_15536
; %bb.14719:                            ;   in Loop: Header=BB6_14474 Depth=3
	s_or_saveexec_b32 s34, s34
	v_mov_b32_e32 v89, s31
	s_xor_b32 exec_lo, exec_lo, s34
	s_cbranch_execnz .LBB6_15539
.LBB6_14720:                            ;   in Loop: Header=BB6_14474 Depth=3
	s_or_b32 exec_lo, exec_lo, s34
	s_and_saveexec_b32 s31, s13
	s_cbranch_execz .LBB6_14722
.LBB6_14721:                            ;   in Loop: Header=BB6_14474 Depth=3
	v_lshrrev_b16 v92, 3, v88
	s_delay_alu instid0(VALU_DEP_1) | instskip(NEXT) | instid1(VALU_DEP_1)
	v_and_b32_e32 v92, 15, v92
	v_cmp_eq_u32_e32 vcc_lo, 0, v92
	v_and_b32_e32 v89, 7, v88
	s_delay_alu instid0(VALU_DEP_1) | instskip(NEXT) | instid1(VALU_DEP_1)
	v_clz_i32_u32_e32 v90, v89
	v_min_u32_e32 v90, 32, v90
	s_delay_alu instid0(VALU_DEP_1) | instskip(SKIP_1) | instid1(VALU_DEP_1)
	v_subrev_nc_u32_e32 v91, 28, v90
	v_sub_nc_u32_e32 v90, 29, v90
	v_dual_cndmask_b32 v90, v92, v90 :: v_dual_lshlrev_b32 v91, v91, v88
	v_lshlrev_b32_e32 v88, 24, v88
	s_delay_alu instid0(VALU_DEP_2) | instskip(NEXT) | instid1(VALU_DEP_3)
	v_and_b32_e32 v91, 7, v91
	v_lshl_add_u32 v90, v90, 23, 0x3b800000
	s_delay_alu instid0(VALU_DEP_2) | instskip(NEXT) | instid1(VALU_DEP_1)
	v_dual_cndmask_b32 v89, v89, v91 :: v_dual_and_b32 v88, 0x80000000, v88
	v_lshlrev_b32_e32 v89, 20, v89
	s_delay_alu instid0(VALU_DEP_1)
	v_or3_b32 v89, v88, v90, v89
.LBB6_14722:                            ;   in Loop: Header=BB6_14474 Depth=3
	s_or_b32 exec_lo, exec_lo, s31
	s_waitcnt vmcnt(23) lgkmcnt(23)
	v_and_b32_e32 v90, 0xff, v114
	s_mov_b32 s13, 0
	s_mov_b32 s34, exec_lo
                                        ; implicit-def: $sgpr31
	s_delay_alu instid0(VALU_DEP_1)
	v_cmpx_lt_i16_e32 0x7f, v90
	s_xor_b32 s34, exec_lo, s34
	s_cbranch_execnz .LBB6_15540
; %bb.14723:                            ;   in Loop: Header=BB6_14474 Depth=3
	s_or_saveexec_b32 s34, s34
	v_mov_b32_e32 v88, s31
	s_xor_b32 exec_lo, exec_lo, s34
	s_cbranch_execnz .LBB6_15543
.LBB6_14724:                            ;   in Loop: Header=BB6_14474 Depth=3
	s_or_b32 exec_lo, exec_lo, s34
	s_and_saveexec_b32 s31, s13
	s_cbranch_execz .LBB6_14726
.LBB6_14725:                            ;   in Loop: Header=BB6_14474 Depth=3
	v_and_b32_e32 v88, 7, v114
	v_lshrrev_b16 v92, 3, v114
	s_delay_alu instid0(VALU_DEP_2) | instskip(NEXT) | instid1(VALU_DEP_2)
	v_clz_i32_u32_e32 v90, v88
	v_and_b32_e32 v92, 15, v92
	s_delay_alu instid0(VALU_DEP_2) | instskip(NEXT) | instid1(VALU_DEP_2)
	v_min_u32_e32 v90, 32, v90
	v_cmp_eq_u32_e32 vcc_lo, 0, v92
	s_delay_alu instid0(VALU_DEP_2) | instskip(SKIP_1) | instid1(VALU_DEP_2)
	v_subrev_nc_u32_e32 v91, 28, v90
	v_sub_nc_u32_e32 v90, 29, v90
	v_lshlrev_b32_e32 v91, v91, v114
	v_lshlrev_b32_e32 v114, 24, v114
	s_delay_alu instid0(VALU_DEP_2) | instskip(NEXT) | instid1(VALU_DEP_2)
	v_dual_cndmask_b32 v90, v92, v90 :: v_dual_and_b32 v91, 7, v91
	v_and_b32_e32 v114, 0x80000000, v114
	s_delay_alu instid0(VALU_DEP_2) | instskip(NEXT) | instid1(VALU_DEP_3)
	v_lshl_add_u32 v90, v90, 23, 0x3b800000
	v_cndmask_b32_e32 v88, v88, v91, vcc_lo
	s_delay_alu instid0(VALU_DEP_1) | instskip(NEXT) | instid1(VALU_DEP_1)
	v_lshlrev_b32_e32 v88, 20, v88
	v_or3_b32 v88, v114, v90, v88
.LBB6_14726:                            ;   in Loop: Header=BB6_14474 Depth=3
	s_or_b32 exec_lo, exec_lo, s31
	s_delay_alu instid0(VALU_DEP_1) | instskip(SKIP_1) | instid1(VALU_DEP_1)
	v_max_f32_e32 v114, v88, v88
	v_max_f32_e32 v88, v89, v89
	v_min_f32_e32 v89, v88, v114
.LBB6_14727:                            ;   in Loop: Header=BB6_14474 Depth=3
	s_waitcnt vmcnt(23) lgkmcnt(23)
	s_delay_alu instid0(VALU_DEP_1) | instskip(NEXT) | instid1(VALU_DEP_1)
	v_and_b32_e32 v114, 0x7f800000, v89
	v_cmp_ne_u32_e32 vcc_lo, 0x7f800000, v114
	v_mov_b32_e32 v114, 0x80
	s_and_saveexec_b32 s31, vcc_lo
	s_cbranch_execz .LBB6_14735
; %bb.14728:                            ;   in Loop: Header=BB6_14474 Depth=3
	v_mov_b32_e32 v114, 0
	s_mov_b32 s34, exec_lo
	v_cmpx_ne_u32_e32 0, v89
	s_cbranch_execz .LBB6_14734
; %bb.14729:                            ;   in Loop: Header=BB6_14474 Depth=3
	v_bfe_u32 v114, v89, 23, 8
	v_and_b32_e32 v88, 0x7fffff, v89
	s_delay_alu instid0(VALU_DEP_2) | instskip(SKIP_1) | instid1(VALU_DEP_3)
	v_sub_nc_u32_e32 v90, 0x78, v114
	v_cmp_gt_u32_e32 vcc_lo, 0x79, v114
	v_or_b32_e32 v91, 0x800000, v88
	s_delay_alu instid0(VALU_DEP_3) | instskip(SKIP_2) | instid1(VALU_DEP_3)
	v_cndmask_b32_e32 v90, 0, v90, vcc_lo
	v_cmp_eq_u32_e32 vcc_lo, 0, v114
	v_add_nc_u32_e32 v114, 0xffffff89, v114
	v_cndmask_b32_e64 v90, v90, 0x77, vcc_lo
	v_cndmask_b32_e32 v88, v91, v88, vcc_lo
	s_delay_alu instid0(VALU_DEP_3) | instskip(NEXT) | instid1(VALU_DEP_3)
	v_cndmask_b32_e64 v114, v114, 0xffffff8a, vcc_lo
	v_lshl_add_u32 v91, 0x100000, v90, -1
	s_delay_alu instid0(VALU_DEP_3) | instskip(SKIP_1) | instid1(VALU_DEP_4)
	v_lshrrev_b32_e32 v92, v90, v88
	v_lshlrev_b32_e64 v94, v90, 0x80000
	v_add_nc_u32_e32 v90, v90, v114
	s_delay_alu instid0(VALU_DEP_4) | instskip(NEXT) | instid1(VALU_DEP_4)
	v_and_b32_e32 v88, v91, v88
	v_bfe_u32 v93, v92, 20, 1
	s_delay_alu instid0(VALU_DEP_2) | instskip(NEXT) | instid1(VALU_DEP_2)
	v_cmp_eq_u32_e64 s13, v88, v94
	v_add_nc_u32_e32 v91, -1, v93
	s_delay_alu instid0(VALU_DEP_1) | instskip(SKIP_2) | instid1(VALU_DEP_2)
	v_cndmask_b32_e64 v88, 0, v91, s13
	v_lshrrev_b32_e32 v91, 23, v92
	s_mov_b32 s13, exec_lo
	v_add_nc_u32_e32 v88, v88, v92
	s_delay_alu instid0(VALU_DEP_2) | instskip(NEXT) | instid1(VALU_DEP_2)
	v_xor_b32_e32 v91, 1, v91
	v_and_b32_e32 v114, 0xfffff, v88
	s_delay_alu instid0(VALU_DEP_1) | instskip(NEXT) | instid1(VALU_DEP_3)
	v_add_nc_u32_e32 v88, v114, v92
                                        ; implicit-def: $vgpr114
	v_cmpx_ne_u32_e64 v90, v91
	s_xor_b32 s13, exec_lo, s13
; %bb.14730:                            ;   in Loop: Header=BB6_14474 Depth=3
	s_delay_alu instid0(VALU_DEP_2) | instskip(SKIP_2) | instid1(VALU_DEP_2)
	v_cmp_lt_u32_e32 vcc_lo, 0xffffff, v88
	v_sub_nc_u32_e32 v114, v90, v91
	v_cndmask_b32_e64 v90, 0, 1, vcc_lo
	v_add_co_ci_u32_e32 v114, vcc_lo, 0, v114, vcc_lo
	s_delay_alu instid0(VALU_DEP_2)
	v_lshrrev_b32_e32 v88, v90, v88
; %bb.14731:                            ;   in Loop: Header=BB6_14474 Depth=3
	s_and_not1_saveexec_b32 s13, s13
; %bb.14732:                            ;   in Loop: Header=BB6_14474 Depth=3
	s_delay_alu instid0(VALU_DEP_1)
	v_bfe_u32 v114, v88, 23, 1
; %bb.14733:                            ;   in Loop: Header=BB6_14474 Depth=3
	s_or_b32 exec_lo, exec_lo, s13
	v_lshrrev_b32_e32 v88, 20, v88
	s_delay_alu instid0(VALU_DEP_2) | instskip(SKIP_2) | instid1(VALU_DEP_2)
	v_cmp_gt_i32_e32 vcc_lo, 16, v114
	v_lshrrev_b32_e32 v89, 24, v89
	v_min_i32_e32 v90, 15, v114
	v_dual_cndmask_b32 v88, 7, v88 :: v_dual_and_b32 v89, 0x80, v89
	s_delay_alu instid0(VALU_DEP_2) | instskip(NEXT) | instid1(VALU_DEP_2)
	v_lshlrev_b32_e32 v90, 3, v90
	v_and_b32_e32 v91, 7, v88
	v_or_b32_e32 v114, v114, v88
	s_delay_alu instid0(VALU_DEP_2) | instskip(NEXT) | instid1(VALU_DEP_2)
	v_or3_b32 v88, v90, v89, v91
	v_cmp_ne_u32_e32 vcc_lo, 0, v114
	s_delay_alu instid0(VALU_DEP_2)
	v_cndmask_b32_e32 v114, 0, v88, vcc_lo
.LBB6_14734:                            ;   in Loop: Header=BB6_14474 Depth=3
	s_or_b32 exec_lo, exec_lo, s34
.LBB6_14735:                            ;   in Loop: Header=BB6_14474 Depth=3
	s_delay_alu instid0(SALU_CYCLE_1) | instskip(NEXT) | instid1(SALU_CYCLE_1)
	s_or_b32 exec_lo, exec_lo, s31
	s_and_not1_b32 vcc_lo, exec_lo, s16
	s_cbranch_vccnz .LBB6_14745
; %bb.14736:                            ;   in Loop: Header=BB6_14474 Depth=3
	v_and_b32_e32 v89, 0xff, v79
	s_mov_b32 s13, 0
	s_mov_b32 s34, exec_lo
                                        ; implicit-def: $sgpr31
	s_delay_alu instid0(VALU_DEP_1)
	v_cmpx_lt_i16_e32 0x7f, v89
	s_xor_b32 s34, exec_lo, s34
	s_cbranch_execnz .LBB6_15544
; %bb.14737:                            ;   in Loop: Header=BB6_14474 Depth=3
	s_or_saveexec_b32 s34, s34
	v_mov_b32_e32 v88, s31
	s_xor_b32 exec_lo, exec_lo, s34
	s_cbranch_execnz .LBB6_15547
.LBB6_14738:                            ;   in Loop: Header=BB6_14474 Depth=3
	s_or_b32 exec_lo, exec_lo, s34
	s_and_saveexec_b32 s31, s13
	s_cbranch_execz .LBB6_14740
.LBB6_14739:                            ;   in Loop: Header=BB6_14474 Depth=3
	v_lshrrev_b16 v91, 3, v79
	v_lshlrev_b32_e32 v92, 24, v79
	s_delay_alu instid0(VALU_DEP_2) | instskip(NEXT) | instid1(VALU_DEP_1)
	v_and_b32_e32 v91, 15, v91
	v_cmp_eq_u32_e32 vcc_lo, 0, v91
	v_and_b32_e32 v88, 7, v79
	s_delay_alu instid0(VALU_DEP_1) | instskip(NEXT) | instid1(VALU_DEP_1)
	v_clz_i32_u32_e32 v89, v88
	v_min_u32_e32 v89, 32, v89
	s_delay_alu instid0(VALU_DEP_1) | instskip(SKIP_1) | instid1(VALU_DEP_1)
	v_subrev_nc_u32_e32 v90, 28, v89
	v_sub_nc_u32_e32 v89, 29, v89
	v_dual_cndmask_b32 v89, v91, v89 :: v_dual_lshlrev_b32 v90, v90, v79
	s_delay_alu instid0(VALU_DEP_1) | instskip(NEXT) | instid1(VALU_DEP_2)
	v_and_b32_e32 v90, 7, v90
	v_lshl_add_u32 v89, v89, 23, 0x3b800000
	s_delay_alu instid0(VALU_DEP_2) | instskip(SKIP_1) | instid1(VALU_DEP_2)
	v_cndmask_b32_e32 v88, v88, v90, vcc_lo
	v_and_b32_e32 v90, 0x80000000, v92
	v_lshlrev_b32_e32 v88, 20, v88
	s_delay_alu instid0(VALU_DEP_1)
	v_or3_b32 v88, v90, v89, v88
.LBB6_14740:                            ;   in Loop: Header=BB6_14474 Depth=3
	s_or_b32 exec_lo, exec_lo, s31
	s_waitcnt vmcnt(22) lgkmcnt(22)
	v_and_b32_e32 v90, 0xff, v117
	s_mov_b32 s13, 0
	s_mov_b32 s34, exec_lo
                                        ; implicit-def: $sgpr31
	s_delay_alu instid0(VALU_DEP_1)
	v_cmpx_lt_i16_e32 0x7f, v90
	s_xor_b32 s34, exec_lo, s34
	s_cbranch_execnz .LBB6_15548
; %bb.14741:                            ;   in Loop: Header=BB6_14474 Depth=3
	s_or_saveexec_b32 s34, s34
	v_mov_b32_e32 v89, s31
	s_xor_b32 exec_lo, exec_lo, s34
	s_cbranch_execnz .LBB6_15551
.LBB6_14742:                            ;   in Loop: Header=BB6_14474 Depth=3
	s_or_b32 exec_lo, exec_lo, s34
	s_and_saveexec_b32 s31, s13
	s_cbranch_execz .LBB6_14744
.LBB6_14743:                            ;   in Loop: Header=BB6_14474 Depth=3
	v_lshrrev_b16 v92, 3, v117
	v_lshlrev_b32_e32 v93, 24, v117
	s_delay_alu instid0(VALU_DEP_2) | instskip(NEXT) | instid1(VALU_DEP_1)
	v_and_b32_e32 v92, 15, v92
	v_cmp_eq_u32_e32 vcc_lo, 0, v92
	v_and_b32_e32 v89, 7, v117
	s_delay_alu instid0(VALU_DEP_1) | instskip(NEXT) | instid1(VALU_DEP_1)
	v_clz_i32_u32_e32 v90, v89
	v_min_u32_e32 v90, 32, v90
	s_delay_alu instid0(VALU_DEP_1) | instskip(SKIP_1) | instid1(VALU_DEP_1)
	v_subrev_nc_u32_e32 v91, 28, v90
	v_sub_nc_u32_e32 v90, 29, v90
	v_dual_cndmask_b32 v90, v92, v90 :: v_dual_lshlrev_b32 v91, v91, v117
	s_delay_alu instid0(VALU_DEP_1) | instskip(NEXT) | instid1(VALU_DEP_2)
	v_and_b32_e32 v91, 7, v91
	v_lshl_add_u32 v90, v90, 23, 0x3b800000
	s_delay_alu instid0(VALU_DEP_2) | instskip(SKIP_1) | instid1(VALU_DEP_2)
	v_cndmask_b32_e32 v89, v89, v91, vcc_lo
	v_and_b32_e32 v91, 0x80000000, v93
	v_lshlrev_b32_e32 v89, 20, v89
	s_delay_alu instid0(VALU_DEP_1)
	v_or3_b32 v89, v91, v90, v89
.LBB6_14744:                            ;   in Loop: Header=BB6_14474 Depth=3
	s_or_b32 exec_lo, exec_lo, s31
	s_delay_alu instid0(VALU_DEP_1) | instskip(SKIP_1) | instid1(VALU_DEP_1)
	v_dual_max_f32 v89, v89, v89 :: v_dual_max_f32 v88, v88, v88
	s_mov_b32 s13, 0
	v_max_f32_e32 v88, v88, v89
	s_branch .LBB6_14746
.LBB6_14745:                            ;   in Loop: Header=BB6_14474 Depth=3
	s_mov_b32 s13, -1
                                        ; implicit-def: $vgpr88
.LBB6_14746:                            ;   in Loop: Header=BB6_14474 Depth=3
	s_delay_alu instid0(SALU_CYCLE_1)
	s_and_b32 vcc_lo, exec_lo, s13
	s_cbranch_vccz .LBB6_14756
; %bb.14747:                            ;   in Loop: Header=BB6_14474 Depth=3
	v_and_b32_e32 v89, 0xff, v79
	s_mov_b32 s13, 0
	s_mov_b32 s34, exec_lo
                                        ; implicit-def: $sgpr31
	s_delay_alu instid0(VALU_DEP_1)
	v_cmpx_lt_i16_e32 0x7f, v89
	s_xor_b32 s34, exec_lo, s34
	s_cbranch_execnz .LBB6_15552
; %bb.14748:                            ;   in Loop: Header=BB6_14474 Depth=3
	s_or_saveexec_b32 s34, s34
	v_mov_b32_e32 v88, s31
	s_xor_b32 exec_lo, exec_lo, s34
	s_cbranch_execnz .LBB6_15555
.LBB6_14749:                            ;   in Loop: Header=BB6_14474 Depth=3
	s_or_b32 exec_lo, exec_lo, s34
	s_and_saveexec_b32 s31, s13
	s_cbranch_execz .LBB6_14751
.LBB6_14750:                            ;   in Loop: Header=BB6_14474 Depth=3
	v_lshrrev_b16 v91, 3, v79
	s_delay_alu instid0(VALU_DEP_1) | instskip(NEXT) | instid1(VALU_DEP_1)
	v_and_b32_e32 v91, 15, v91
	v_cmp_eq_u32_e32 vcc_lo, 0, v91
	v_and_b32_e32 v88, 7, v79
	s_delay_alu instid0(VALU_DEP_1) | instskip(NEXT) | instid1(VALU_DEP_1)
	v_clz_i32_u32_e32 v89, v88
	v_min_u32_e32 v89, 32, v89
	s_delay_alu instid0(VALU_DEP_1) | instskip(SKIP_1) | instid1(VALU_DEP_1)
	v_subrev_nc_u32_e32 v90, 28, v89
	v_sub_nc_u32_e32 v89, 29, v89
	v_dual_cndmask_b32 v89, v91, v89 :: v_dual_lshlrev_b32 v90, v90, v79
	v_lshlrev_b32_e32 v79, 24, v79
	s_delay_alu instid0(VALU_DEP_2) | instskip(NEXT) | instid1(VALU_DEP_3)
	v_and_b32_e32 v90, 7, v90
	v_lshl_add_u32 v89, v89, 23, 0x3b800000
	s_delay_alu instid0(VALU_DEP_2) | instskip(NEXT) | instid1(VALU_DEP_1)
	v_dual_cndmask_b32 v88, v88, v90 :: v_dual_and_b32 v79, 0x80000000, v79
	v_lshlrev_b32_e32 v88, 20, v88
	s_delay_alu instid0(VALU_DEP_1)
	v_or3_b32 v88, v79, v89, v88
.LBB6_14751:                            ;   in Loop: Header=BB6_14474 Depth=3
	s_or_b32 exec_lo, exec_lo, s31
	s_waitcnt vmcnt(22) lgkmcnt(22)
	v_and_b32_e32 v89, 0xff, v117
	s_mov_b32 s13, 0
	s_mov_b32 s34, exec_lo
                                        ; implicit-def: $sgpr31
	s_delay_alu instid0(VALU_DEP_1)
	v_cmpx_lt_i16_e32 0x7f, v89
	s_xor_b32 s34, exec_lo, s34
	s_cbranch_execnz .LBB6_15556
; %bb.14752:                            ;   in Loop: Header=BB6_14474 Depth=3
	s_or_saveexec_b32 s34, s34
	v_mov_b32_e32 v79, s31
	s_xor_b32 exec_lo, exec_lo, s34
	s_cbranch_execnz .LBB6_15559
.LBB6_14753:                            ;   in Loop: Header=BB6_14474 Depth=3
	s_or_b32 exec_lo, exec_lo, s34
	s_and_saveexec_b32 s31, s13
	s_cbranch_execz .LBB6_14755
.LBB6_14754:                            ;   in Loop: Header=BB6_14474 Depth=3
	v_and_b32_e32 v79, 7, v117
	v_lshrrev_b16 v91, 3, v117
	s_delay_alu instid0(VALU_DEP_2) | instskip(NEXT) | instid1(VALU_DEP_2)
	v_clz_i32_u32_e32 v89, v79
	v_and_b32_e32 v91, 15, v91
	s_delay_alu instid0(VALU_DEP_2) | instskip(NEXT) | instid1(VALU_DEP_2)
	v_min_u32_e32 v89, 32, v89
	v_cmp_eq_u32_e32 vcc_lo, 0, v91
	s_delay_alu instid0(VALU_DEP_2) | instskip(SKIP_1) | instid1(VALU_DEP_2)
	v_subrev_nc_u32_e32 v90, 28, v89
	v_sub_nc_u32_e32 v89, 29, v89
	v_lshlrev_b32_e32 v90, v90, v117
	v_lshlrev_b32_e32 v117, 24, v117
	s_delay_alu instid0(VALU_DEP_2) | instskip(NEXT) | instid1(VALU_DEP_2)
	v_dual_cndmask_b32 v89, v91, v89 :: v_dual_and_b32 v90, 7, v90
	v_and_b32_e32 v117, 0x80000000, v117
	s_delay_alu instid0(VALU_DEP_2) | instskip(NEXT) | instid1(VALU_DEP_3)
	v_lshl_add_u32 v89, v89, 23, 0x3b800000
	v_cndmask_b32_e32 v79, v79, v90, vcc_lo
	s_delay_alu instid0(VALU_DEP_1) | instskip(NEXT) | instid1(VALU_DEP_1)
	v_lshlrev_b32_e32 v79, 20, v79
	v_or3_b32 v79, v117, v89, v79
.LBB6_14755:                            ;   in Loop: Header=BB6_14474 Depth=3
	s_or_b32 exec_lo, exec_lo, s31
	s_delay_alu instid0(VALU_DEP_1) | instskip(SKIP_1) | instid1(VALU_DEP_1)
	v_max_f32_e32 v117, v79, v79
	v_max_f32_e32 v79, v88, v88
	v_min_f32_e32 v88, v79, v117
.LBB6_14756:                            ;   in Loop: Header=BB6_14474 Depth=3
	s_waitcnt vmcnt(22) lgkmcnt(22)
	s_delay_alu instid0(VALU_DEP_1) | instskip(NEXT) | instid1(VALU_DEP_1)
	v_and_b32_e32 v117, 0x7f800000, v88
	v_cmp_ne_u32_e32 vcc_lo, 0x7f800000, v117
	v_mov_b32_e32 v117, 0x80
	s_and_saveexec_b32 s31, vcc_lo
	s_cbranch_execz .LBB6_14764
; %bb.14757:                            ;   in Loop: Header=BB6_14474 Depth=3
	v_mov_b32_e32 v117, 0
	s_mov_b32 s34, exec_lo
	v_cmpx_ne_u32_e32 0, v88
	s_cbranch_execz .LBB6_14763
; %bb.14758:                            ;   in Loop: Header=BB6_14474 Depth=3
	v_bfe_u32 v117, v88, 23, 8
	v_and_b32_e32 v79, 0x7fffff, v88
	s_delay_alu instid0(VALU_DEP_2) | instskip(SKIP_1) | instid1(VALU_DEP_3)
	v_sub_nc_u32_e32 v89, 0x78, v117
	v_cmp_gt_u32_e32 vcc_lo, 0x79, v117
	v_or_b32_e32 v90, 0x800000, v79
	s_delay_alu instid0(VALU_DEP_3) | instskip(SKIP_2) | instid1(VALU_DEP_3)
	v_cndmask_b32_e32 v89, 0, v89, vcc_lo
	v_cmp_eq_u32_e32 vcc_lo, 0, v117
	v_add_nc_u32_e32 v117, 0xffffff89, v117
	v_cndmask_b32_e64 v89, v89, 0x77, vcc_lo
	v_cndmask_b32_e32 v79, v90, v79, vcc_lo
	s_delay_alu instid0(VALU_DEP_3) | instskip(NEXT) | instid1(VALU_DEP_3)
	v_cndmask_b32_e64 v117, v117, 0xffffff8a, vcc_lo
	v_lshl_add_u32 v90, 0x100000, v89, -1
	s_delay_alu instid0(VALU_DEP_3) | instskip(SKIP_1) | instid1(VALU_DEP_4)
	v_lshrrev_b32_e32 v91, v89, v79
	v_lshlrev_b32_e64 v93, v89, 0x80000
	v_add_nc_u32_e32 v89, v89, v117
	s_delay_alu instid0(VALU_DEP_4) | instskip(NEXT) | instid1(VALU_DEP_4)
	v_and_b32_e32 v79, v90, v79
	v_bfe_u32 v92, v91, 20, 1
	s_delay_alu instid0(VALU_DEP_2) | instskip(NEXT) | instid1(VALU_DEP_2)
	v_cmp_eq_u32_e64 s13, v79, v93
	v_add_nc_u32_e32 v90, -1, v92
	s_delay_alu instid0(VALU_DEP_1) | instskip(SKIP_2) | instid1(VALU_DEP_2)
	v_cndmask_b32_e64 v79, 0, v90, s13
	v_lshrrev_b32_e32 v90, 23, v91
	s_mov_b32 s13, exec_lo
	v_add_nc_u32_e32 v79, v79, v91
	s_delay_alu instid0(VALU_DEP_2) | instskip(NEXT) | instid1(VALU_DEP_2)
	v_xor_b32_e32 v90, 1, v90
	v_and_b32_e32 v117, 0xfffff, v79
	s_delay_alu instid0(VALU_DEP_1) | instskip(NEXT) | instid1(VALU_DEP_3)
	v_add_nc_u32_e32 v79, v117, v91
                                        ; implicit-def: $vgpr117
	v_cmpx_ne_u32_e64 v89, v90
	s_xor_b32 s13, exec_lo, s13
; %bb.14759:                            ;   in Loop: Header=BB6_14474 Depth=3
	s_delay_alu instid0(VALU_DEP_2) | instskip(SKIP_2) | instid1(VALU_DEP_2)
	v_cmp_lt_u32_e32 vcc_lo, 0xffffff, v79
	v_sub_nc_u32_e32 v117, v89, v90
	v_cndmask_b32_e64 v89, 0, 1, vcc_lo
	v_add_co_ci_u32_e32 v117, vcc_lo, 0, v117, vcc_lo
	s_delay_alu instid0(VALU_DEP_2)
	v_lshrrev_b32_e32 v79, v89, v79
; %bb.14760:                            ;   in Loop: Header=BB6_14474 Depth=3
	s_and_not1_saveexec_b32 s13, s13
; %bb.14761:                            ;   in Loop: Header=BB6_14474 Depth=3
	s_delay_alu instid0(VALU_DEP_1)
	v_bfe_u32 v117, v79, 23, 1
; %bb.14762:                            ;   in Loop: Header=BB6_14474 Depth=3
	s_or_b32 exec_lo, exec_lo, s13
	v_lshrrev_b32_e32 v79, 20, v79
	s_delay_alu instid0(VALU_DEP_2) | instskip(SKIP_2) | instid1(VALU_DEP_2)
	v_cmp_gt_i32_e32 vcc_lo, 16, v117
	v_lshrrev_b32_e32 v88, 24, v88
	v_min_i32_e32 v89, 15, v117
	v_dual_cndmask_b32 v79, 7, v79 :: v_dual_and_b32 v88, 0x80, v88
	s_delay_alu instid0(VALU_DEP_2) | instskip(NEXT) | instid1(VALU_DEP_2)
	v_lshlrev_b32_e32 v89, 3, v89
	v_and_b32_e32 v90, 7, v79
	v_or_b32_e32 v117, v117, v79
	s_delay_alu instid0(VALU_DEP_2) | instskip(NEXT) | instid1(VALU_DEP_2)
	v_or3_b32 v79, v89, v88, v90
	v_cmp_ne_u32_e32 vcc_lo, 0, v117
	s_delay_alu instid0(VALU_DEP_2)
	v_cndmask_b32_e32 v117, 0, v79, vcc_lo
.LBB6_14763:                            ;   in Loop: Header=BB6_14474 Depth=3
	s_or_b32 exec_lo, exec_lo, s34
.LBB6_14764:                            ;   in Loop: Header=BB6_14474 Depth=3
	s_delay_alu instid0(SALU_CYCLE_1) | instskip(NEXT) | instid1(SALU_CYCLE_1)
	s_or_b32 exec_lo, exec_lo, s31
	s_and_not1_b32 vcc_lo, exec_lo, s16
	s_cbranch_vccnz .LBB6_14774
; %bb.14765:                            ;   in Loop: Header=BB6_14474 Depth=3
	v_and_b32_e32 v88, 0xff, v78
	s_mov_b32 s13, 0
	s_mov_b32 s34, exec_lo
                                        ; implicit-def: $sgpr31
	s_delay_alu instid0(VALU_DEP_1)
	v_cmpx_lt_i16_e32 0x7f, v88
	s_xor_b32 s34, exec_lo, s34
	s_cbranch_execnz .LBB6_15560
; %bb.14766:                            ;   in Loop: Header=BB6_14474 Depth=3
	s_or_saveexec_b32 s34, s34
	v_mov_b32_e32 v79, s31
	s_xor_b32 exec_lo, exec_lo, s34
	s_cbranch_execnz .LBB6_15563
.LBB6_14767:                            ;   in Loop: Header=BB6_14474 Depth=3
	s_or_b32 exec_lo, exec_lo, s34
	s_and_saveexec_b32 s31, s13
	s_cbranch_execz .LBB6_14769
.LBB6_14768:                            ;   in Loop: Header=BB6_14474 Depth=3
	v_lshrrev_b16 v90, 3, v78
	v_lshlrev_b32_e32 v91, 24, v78
	s_delay_alu instid0(VALU_DEP_2) | instskip(NEXT) | instid1(VALU_DEP_1)
	v_and_b32_e32 v90, 15, v90
	v_cmp_eq_u32_e32 vcc_lo, 0, v90
	v_and_b32_e32 v79, 7, v78
	s_delay_alu instid0(VALU_DEP_1) | instskip(NEXT) | instid1(VALU_DEP_1)
	v_clz_i32_u32_e32 v88, v79
	v_min_u32_e32 v88, 32, v88
	s_delay_alu instid0(VALU_DEP_1) | instskip(SKIP_1) | instid1(VALU_DEP_1)
	v_subrev_nc_u32_e32 v89, 28, v88
	v_sub_nc_u32_e32 v88, 29, v88
	v_dual_cndmask_b32 v88, v90, v88 :: v_dual_lshlrev_b32 v89, v89, v78
	s_delay_alu instid0(VALU_DEP_1) | instskip(NEXT) | instid1(VALU_DEP_2)
	v_and_b32_e32 v89, 7, v89
	v_lshl_add_u32 v88, v88, 23, 0x3b800000
	s_delay_alu instid0(VALU_DEP_2) | instskip(SKIP_1) | instid1(VALU_DEP_2)
	v_cndmask_b32_e32 v79, v79, v89, vcc_lo
	v_and_b32_e32 v89, 0x80000000, v91
	v_lshlrev_b32_e32 v79, 20, v79
	s_delay_alu instid0(VALU_DEP_1)
	v_or3_b32 v79, v89, v88, v79
.LBB6_14769:                            ;   in Loop: Header=BB6_14474 Depth=3
	s_or_b32 exec_lo, exec_lo, s31
	s_waitcnt vmcnt(21) lgkmcnt(21)
	v_and_b32_e32 v89, 0xff, v41
	s_mov_b32 s13, 0
	s_mov_b32 s34, exec_lo
                                        ; implicit-def: $sgpr31
	s_delay_alu instid0(VALU_DEP_1)
	v_cmpx_lt_i16_e32 0x7f, v89
	s_xor_b32 s34, exec_lo, s34
	s_cbranch_execnz .LBB6_15564
; %bb.14770:                            ;   in Loop: Header=BB6_14474 Depth=3
	s_or_saveexec_b32 s34, s34
	v_mov_b32_e32 v88, s31
	s_xor_b32 exec_lo, exec_lo, s34
	s_cbranch_execnz .LBB6_15567
.LBB6_14771:                            ;   in Loop: Header=BB6_14474 Depth=3
	s_or_b32 exec_lo, exec_lo, s34
	s_and_saveexec_b32 s31, s13
	s_cbranch_execz .LBB6_14773
.LBB6_14772:                            ;   in Loop: Header=BB6_14474 Depth=3
	v_and_b32_e32 v88, 7, v41
	v_lshrrev_b16 v91, 3, v41
	v_lshlrev_b32_e32 v92, 24, v41
	s_delay_alu instid0(VALU_DEP_3) | instskip(NEXT) | instid1(VALU_DEP_1)
	v_clz_i32_u32_e32 v89, v88
	v_min_u32_e32 v89, 32, v89
	s_delay_alu instid0(VALU_DEP_1) | instskip(SKIP_1) | instid1(VALU_DEP_2)
	v_subrev_nc_u32_e32 v90, 28, v89
	v_sub_nc_u32_e32 v89, 29, v89
	v_lshlrev_b32_e32 v90, v90, v41
	s_delay_alu instid0(VALU_DEP_1) | instskip(SKIP_1) | instid1(VALU_DEP_1)
	v_and_b32_e32 v90, 7, v90
	v_and_b32_e32 v91, 15, v91
	v_cmp_eq_u32_e32 vcc_lo, 0, v91
	s_delay_alu instid0(VALU_DEP_3) | instskip(SKIP_1) | instid1(VALU_DEP_2)
	v_dual_cndmask_b32 v88, v88, v90 :: v_dual_cndmask_b32 v89, v91, v89
	v_and_b32_e32 v90, 0x80000000, v92
	v_lshlrev_b32_e32 v88, 20, v88
	s_delay_alu instid0(VALU_DEP_3) | instskip(NEXT) | instid1(VALU_DEP_1)
	v_lshl_add_u32 v89, v89, 23, 0x3b800000
	v_or3_b32 v88, v90, v89, v88
.LBB6_14773:                            ;   in Loop: Header=BB6_14474 Depth=3
	s_or_b32 exec_lo, exec_lo, s31
	s_delay_alu instid0(VALU_DEP_1) | instskip(SKIP_1) | instid1(VALU_DEP_1)
	v_dual_max_f32 v88, v88, v88 :: v_dual_max_f32 v79, v79, v79
	s_mov_b32 s13, 0
	v_max_f32_e32 v79, v79, v88
	s_branch .LBB6_14775
.LBB6_14774:                            ;   in Loop: Header=BB6_14474 Depth=3
	s_mov_b32 s13, -1
                                        ; implicit-def: $vgpr79
.LBB6_14775:                            ;   in Loop: Header=BB6_14474 Depth=3
	s_delay_alu instid0(SALU_CYCLE_1)
	s_and_b32 vcc_lo, exec_lo, s13
	s_cbranch_vccz .LBB6_14785
; %bb.14776:                            ;   in Loop: Header=BB6_14474 Depth=3
	v_and_b32_e32 v88, 0xff, v78
	s_mov_b32 s13, 0
	s_mov_b32 s34, exec_lo
                                        ; implicit-def: $sgpr31
	s_delay_alu instid0(VALU_DEP_1)
	v_cmpx_lt_i16_e32 0x7f, v88
	s_xor_b32 s34, exec_lo, s34
	s_cbranch_execnz .LBB6_15568
; %bb.14777:                            ;   in Loop: Header=BB6_14474 Depth=3
	s_or_saveexec_b32 s34, s34
	v_mov_b32_e32 v79, s31
	s_xor_b32 exec_lo, exec_lo, s34
	s_cbranch_execnz .LBB6_15571
.LBB6_14778:                            ;   in Loop: Header=BB6_14474 Depth=3
	s_or_b32 exec_lo, exec_lo, s34
	s_and_saveexec_b32 s31, s13
	s_cbranch_execz .LBB6_14780
.LBB6_14779:                            ;   in Loop: Header=BB6_14474 Depth=3
	v_lshrrev_b16 v90, 3, v78
	s_delay_alu instid0(VALU_DEP_1) | instskip(NEXT) | instid1(VALU_DEP_1)
	v_and_b32_e32 v90, 15, v90
	v_cmp_eq_u32_e32 vcc_lo, 0, v90
	v_and_b32_e32 v79, 7, v78
	s_delay_alu instid0(VALU_DEP_1) | instskip(NEXT) | instid1(VALU_DEP_1)
	v_clz_i32_u32_e32 v88, v79
	v_min_u32_e32 v88, 32, v88
	s_delay_alu instid0(VALU_DEP_1) | instskip(SKIP_1) | instid1(VALU_DEP_1)
	v_subrev_nc_u32_e32 v89, 28, v88
	v_sub_nc_u32_e32 v88, 29, v88
	v_dual_cndmask_b32 v88, v90, v88 :: v_dual_lshlrev_b32 v89, v89, v78
	v_lshlrev_b32_e32 v78, 24, v78
	s_delay_alu instid0(VALU_DEP_2) | instskip(NEXT) | instid1(VALU_DEP_3)
	v_and_b32_e32 v89, 7, v89
	v_lshl_add_u32 v88, v88, 23, 0x3b800000
	s_delay_alu instid0(VALU_DEP_2) | instskip(NEXT) | instid1(VALU_DEP_1)
	v_dual_cndmask_b32 v79, v79, v89 :: v_dual_and_b32 v78, 0x80000000, v78
	v_lshlrev_b32_e32 v79, 20, v79
	s_delay_alu instid0(VALU_DEP_1)
	v_or3_b32 v79, v78, v88, v79
.LBB6_14780:                            ;   in Loop: Header=BB6_14474 Depth=3
	s_or_b32 exec_lo, exec_lo, s31
	s_waitcnt vmcnt(21) lgkmcnt(21)
	v_and_b32_e32 v88, 0xff, v41
	s_mov_b32 s13, 0
	s_mov_b32 s34, exec_lo
                                        ; implicit-def: $sgpr31
	s_delay_alu instid0(VALU_DEP_1)
	v_cmpx_lt_i16_e32 0x7f, v88
	s_xor_b32 s34, exec_lo, s34
	s_cbranch_execnz .LBB6_15572
; %bb.14781:                            ;   in Loop: Header=BB6_14474 Depth=3
	s_or_saveexec_b32 s34, s34
	v_mov_b32_e32 v78, s31
	s_xor_b32 exec_lo, exec_lo, s34
	s_cbranch_execnz .LBB6_15575
.LBB6_14782:                            ;   in Loop: Header=BB6_14474 Depth=3
	s_or_b32 exec_lo, exec_lo, s34
	s_and_saveexec_b32 s31, s13
	s_cbranch_execz .LBB6_14784
.LBB6_14783:                            ;   in Loop: Header=BB6_14474 Depth=3
	v_and_b32_e32 v78, 7, v41
	v_lshrrev_b16 v90, 3, v41
	s_delay_alu instid0(VALU_DEP_2) | instskip(NEXT) | instid1(VALU_DEP_2)
	v_clz_i32_u32_e32 v88, v78
	v_and_b32_e32 v90, 15, v90
	s_delay_alu instid0(VALU_DEP_2) | instskip(NEXT) | instid1(VALU_DEP_2)
	v_min_u32_e32 v88, 32, v88
	v_cmp_eq_u32_e32 vcc_lo, 0, v90
	s_delay_alu instid0(VALU_DEP_2) | instskip(SKIP_1) | instid1(VALU_DEP_1)
	v_subrev_nc_u32_e32 v89, 28, v88
	v_sub_nc_u32_e32 v88, 29, v88
	v_dual_cndmask_b32 v88, v90, v88 :: v_dual_lshlrev_b32 v89, v89, v41
	v_lshlrev_b32_e32 v41, 24, v41
	s_delay_alu instid0(VALU_DEP_2) | instskip(NEXT) | instid1(VALU_DEP_3)
	v_and_b32_e32 v89, 7, v89
	v_lshl_add_u32 v88, v88, 23, 0x3b800000
	s_delay_alu instid0(VALU_DEP_3) | instskip(NEXT) | instid1(VALU_DEP_3)
	v_and_b32_e32 v41, 0x80000000, v41
	v_cndmask_b32_e32 v78, v78, v89, vcc_lo
	s_delay_alu instid0(VALU_DEP_1) | instskip(NEXT) | instid1(VALU_DEP_1)
	v_lshlrev_b32_e32 v78, 20, v78
	v_or3_b32 v78, v41, v88, v78
.LBB6_14784:                            ;   in Loop: Header=BB6_14474 Depth=3
	s_or_b32 exec_lo, exec_lo, s31
	s_delay_alu instid0(VALU_DEP_1) | instskip(NEXT) | instid1(VALU_DEP_1)
	v_dual_max_f32 v41, v78, v78 :: v_dual_max_f32 v78, v79, v79
	v_min_f32_e32 v79, v78, v41
.LBB6_14785:                            ;   in Loop: Header=BB6_14474 Depth=3
	s_waitcnt vmcnt(21) lgkmcnt(21)
	s_delay_alu instid0(VALU_DEP_1) | instskip(NEXT) | instid1(VALU_DEP_1)
	v_and_b32_e32 v41, 0x7f800000, v79
	v_cmp_ne_u32_e32 vcc_lo, 0x7f800000, v41
	v_mov_b32_e32 v41, 0x80
	s_and_saveexec_b32 s31, vcc_lo
	s_cbranch_execz .LBB6_14793
; %bb.14786:                            ;   in Loop: Header=BB6_14474 Depth=3
	v_mov_b32_e32 v41, 0
	s_mov_b32 s34, exec_lo
	v_cmpx_ne_u32_e32 0, v79
	s_cbranch_execz .LBB6_14792
; %bb.14787:                            ;   in Loop: Header=BB6_14474 Depth=3
	v_bfe_u32 v41, v79, 23, 8
	v_and_b32_e32 v78, 0x7fffff, v79
	s_delay_alu instid0(VALU_DEP_2) | instskip(SKIP_1) | instid1(VALU_DEP_3)
	v_sub_nc_u32_e32 v88, 0x78, v41
	v_cmp_gt_u32_e32 vcc_lo, 0x79, v41
	v_or_b32_e32 v89, 0x800000, v78
	s_delay_alu instid0(VALU_DEP_3) | instskip(SKIP_2) | instid1(VALU_DEP_3)
	v_cndmask_b32_e32 v88, 0, v88, vcc_lo
	v_cmp_eq_u32_e32 vcc_lo, 0, v41
	v_add_nc_u32_e32 v41, 0xffffff89, v41
	v_cndmask_b32_e64 v88, v88, 0x77, vcc_lo
	v_cndmask_b32_e32 v78, v89, v78, vcc_lo
	s_delay_alu instid0(VALU_DEP_3) | instskip(NEXT) | instid1(VALU_DEP_3)
	v_cndmask_b32_e64 v41, v41, 0xffffff8a, vcc_lo
	v_lshl_add_u32 v89, 0x100000, v88, -1
	s_delay_alu instid0(VALU_DEP_3) | instskip(SKIP_1) | instid1(VALU_DEP_4)
	v_lshrrev_b32_e32 v90, v88, v78
	v_lshlrev_b32_e64 v92, v88, 0x80000
	v_add_nc_u32_e32 v88, v88, v41
	s_delay_alu instid0(VALU_DEP_4) | instskip(NEXT) | instid1(VALU_DEP_4)
	v_and_b32_e32 v78, v89, v78
	v_bfe_u32 v91, v90, 20, 1
	s_delay_alu instid0(VALU_DEP_2) | instskip(NEXT) | instid1(VALU_DEP_2)
	v_cmp_eq_u32_e64 s13, v78, v92
	v_add_nc_u32_e32 v89, -1, v91
	s_delay_alu instid0(VALU_DEP_1) | instskip(SKIP_2) | instid1(VALU_DEP_2)
	v_cndmask_b32_e64 v78, 0, v89, s13
	v_lshrrev_b32_e32 v89, 23, v90
	s_mov_b32 s13, exec_lo
	v_add_nc_u32_e32 v78, v78, v90
	s_delay_alu instid0(VALU_DEP_2) | instskip(NEXT) | instid1(VALU_DEP_2)
	v_xor_b32_e32 v89, 1, v89
	v_and_b32_e32 v41, 0xfffff, v78
	s_delay_alu instid0(VALU_DEP_1) | instskip(NEXT) | instid1(VALU_DEP_3)
	v_add_nc_u32_e32 v78, v41, v90
                                        ; implicit-def: $vgpr41
	v_cmpx_ne_u32_e64 v88, v89
	s_xor_b32 s13, exec_lo, s13
; %bb.14788:                            ;   in Loop: Header=BB6_14474 Depth=3
	s_delay_alu instid0(VALU_DEP_2) | instskip(SKIP_2) | instid1(VALU_DEP_2)
	v_cmp_lt_u32_e32 vcc_lo, 0xffffff, v78
	v_sub_nc_u32_e32 v41, v88, v89
	v_cndmask_b32_e64 v88, 0, 1, vcc_lo
	v_add_co_ci_u32_e32 v41, vcc_lo, 0, v41, vcc_lo
	s_delay_alu instid0(VALU_DEP_2)
	v_lshrrev_b32_e32 v78, v88, v78
; %bb.14789:                            ;   in Loop: Header=BB6_14474 Depth=3
	s_and_not1_saveexec_b32 s13, s13
; %bb.14790:                            ;   in Loop: Header=BB6_14474 Depth=3
	s_delay_alu instid0(VALU_DEP_1)
	v_bfe_u32 v41, v78, 23, 1
; %bb.14791:                            ;   in Loop: Header=BB6_14474 Depth=3
	s_or_b32 exec_lo, exec_lo, s13
	v_lshrrev_b32_e32 v78, 20, v78
	s_delay_alu instid0(VALU_DEP_2) | instskip(SKIP_2) | instid1(VALU_DEP_2)
	v_cmp_gt_i32_e32 vcc_lo, 16, v41
	v_lshrrev_b32_e32 v79, 24, v79
	v_min_i32_e32 v88, 15, v41
	v_dual_cndmask_b32 v78, 7, v78 :: v_dual_and_b32 v79, 0x80, v79
	s_delay_alu instid0(VALU_DEP_1) | instskip(SKIP_1) | instid1(VALU_DEP_2)
	v_or_b32_e32 v41, v41, v78
	v_and_b32_e32 v89, 7, v78
	v_cmp_ne_u32_e32 vcc_lo, 0, v41
	v_lshlrev_b32_e32 v88, 3, v88
	s_delay_alu instid0(VALU_DEP_1) | instskip(NEXT) | instid1(VALU_DEP_1)
	v_or3_b32 v78, v88, v79, v89
	v_cndmask_b32_e32 v41, 0, v78, vcc_lo
.LBB6_14792:                            ;   in Loop: Header=BB6_14474 Depth=3
	s_or_b32 exec_lo, exec_lo, s34
.LBB6_14793:                            ;   in Loop: Header=BB6_14474 Depth=3
	s_delay_alu instid0(SALU_CYCLE_1) | instskip(NEXT) | instid1(SALU_CYCLE_1)
	s_or_b32 exec_lo, exec_lo, s31
	s_and_not1_b32 vcc_lo, exec_lo, s16
	s_cbranch_vccnz .LBB6_14803
; %bb.14794:                            ;   in Loop: Header=BB6_14474 Depth=3
	v_and_b32_e32 v79, 0xff, v77
	s_mov_b32 s13, 0
	s_mov_b32 s34, exec_lo
                                        ; implicit-def: $sgpr31
	s_delay_alu instid0(VALU_DEP_1)
	v_cmpx_lt_i16_e32 0x7f, v79
	s_xor_b32 s34, exec_lo, s34
	s_cbranch_execnz .LBB6_15576
; %bb.14795:                            ;   in Loop: Header=BB6_14474 Depth=3
	s_or_saveexec_b32 s34, s34
	v_mov_b32_e32 v78, s31
	s_xor_b32 exec_lo, exec_lo, s34
	s_cbranch_execnz .LBB6_15579
.LBB6_14796:                            ;   in Loop: Header=BB6_14474 Depth=3
	s_or_b32 exec_lo, exec_lo, s34
	s_and_saveexec_b32 s31, s13
	s_cbranch_execz .LBB6_14798
.LBB6_14797:                            ;   in Loop: Header=BB6_14474 Depth=3
	v_lshrrev_b16 v89, 3, v77
	v_lshlrev_b32_e32 v90, 24, v77
	s_delay_alu instid0(VALU_DEP_2) | instskip(NEXT) | instid1(VALU_DEP_1)
	v_and_b32_e32 v89, 15, v89
	v_cmp_eq_u32_e32 vcc_lo, 0, v89
	v_and_b32_e32 v78, 7, v77
	s_delay_alu instid0(VALU_DEP_1) | instskip(NEXT) | instid1(VALU_DEP_1)
	v_clz_i32_u32_e32 v79, v78
	v_min_u32_e32 v79, 32, v79
	s_delay_alu instid0(VALU_DEP_1) | instskip(SKIP_1) | instid1(VALU_DEP_1)
	v_subrev_nc_u32_e32 v88, 28, v79
	v_sub_nc_u32_e32 v79, 29, v79
	v_dual_cndmask_b32 v79, v89, v79 :: v_dual_lshlrev_b32 v88, v88, v77
	s_delay_alu instid0(VALU_DEP_1) | instskip(NEXT) | instid1(VALU_DEP_2)
	v_and_b32_e32 v88, 7, v88
	v_lshl_add_u32 v79, v79, 23, 0x3b800000
	s_delay_alu instid0(VALU_DEP_2) | instskip(SKIP_1) | instid1(VALU_DEP_2)
	v_cndmask_b32_e32 v78, v78, v88, vcc_lo
	v_and_b32_e32 v88, 0x80000000, v90
	v_lshlrev_b32_e32 v78, 20, v78
	s_delay_alu instid0(VALU_DEP_1)
	v_or3_b32 v78, v88, v79, v78
.LBB6_14798:                            ;   in Loop: Header=BB6_14474 Depth=3
	s_or_b32 exec_lo, exec_lo, s31
	s_waitcnt vmcnt(20) lgkmcnt(20)
	v_and_b32_e32 v88, 0xff, v44
	s_mov_b32 s13, 0
	s_mov_b32 s34, exec_lo
                                        ; implicit-def: $sgpr31
	s_delay_alu instid0(VALU_DEP_1)
	v_cmpx_lt_i16_e32 0x7f, v88
	s_xor_b32 s34, exec_lo, s34
	s_cbranch_execnz .LBB6_15580
; %bb.14799:                            ;   in Loop: Header=BB6_14474 Depth=3
	s_or_saveexec_b32 s34, s34
	v_mov_b32_e32 v79, s31
	s_xor_b32 exec_lo, exec_lo, s34
	s_cbranch_execnz .LBB6_15583
.LBB6_14800:                            ;   in Loop: Header=BB6_14474 Depth=3
	s_or_b32 exec_lo, exec_lo, s34
	s_and_saveexec_b32 s31, s13
	s_cbranch_execz .LBB6_14802
.LBB6_14801:                            ;   in Loop: Header=BB6_14474 Depth=3
	v_and_b32_e32 v79, 7, v44
	v_lshrrev_b16 v90, 3, v44
	v_lshlrev_b32_e32 v91, 24, v44
	s_delay_alu instid0(VALU_DEP_3) | instskip(NEXT) | instid1(VALU_DEP_1)
	v_clz_i32_u32_e32 v88, v79
	v_min_u32_e32 v88, 32, v88
	s_delay_alu instid0(VALU_DEP_1) | instskip(SKIP_1) | instid1(VALU_DEP_2)
	v_subrev_nc_u32_e32 v89, 28, v88
	v_sub_nc_u32_e32 v88, 29, v88
	v_lshlrev_b32_e32 v89, v89, v44
	s_delay_alu instid0(VALU_DEP_1) | instskip(SKIP_1) | instid1(VALU_DEP_1)
	v_and_b32_e32 v89, 7, v89
	v_and_b32_e32 v90, 15, v90
	v_cmp_eq_u32_e32 vcc_lo, 0, v90
	s_delay_alu instid0(VALU_DEP_3) | instskip(SKIP_1) | instid1(VALU_DEP_2)
	v_dual_cndmask_b32 v79, v79, v89 :: v_dual_cndmask_b32 v88, v90, v88
	v_and_b32_e32 v89, 0x80000000, v91
	v_lshlrev_b32_e32 v79, 20, v79
	s_delay_alu instid0(VALU_DEP_3) | instskip(NEXT) | instid1(VALU_DEP_1)
	v_lshl_add_u32 v88, v88, 23, 0x3b800000
	v_or3_b32 v79, v89, v88, v79
.LBB6_14802:                            ;   in Loop: Header=BB6_14474 Depth=3
	s_or_b32 exec_lo, exec_lo, s31
	s_delay_alu instid0(VALU_DEP_1) | instskip(SKIP_1) | instid1(VALU_DEP_1)
	v_dual_max_f32 v79, v79, v79 :: v_dual_max_f32 v78, v78, v78
	s_mov_b32 s13, 0
	v_max_f32_e32 v78, v78, v79
	s_branch .LBB6_14804
.LBB6_14803:                            ;   in Loop: Header=BB6_14474 Depth=3
	s_mov_b32 s13, -1
                                        ; implicit-def: $vgpr78
.LBB6_14804:                            ;   in Loop: Header=BB6_14474 Depth=3
	s_delay_alu instid0(SALU_CYCLE_1)
	s_and_b32 vcc_lo, exec_lo, s13
	s_cbranch_vccz .LBB6_14814
; %bb.14805:                            ;   in Loop: Header=BB6_14474 Depth=3
	v_and_b32_e32 v79, 0xff, v77
	s_mov_b32 s13, 0
	s_mov_b32 s34, exec_lo
                                        ; implicit-def: $sgpr31
	s_delay_alu instid0(VALU_DEP_1)
	v_cmpx_lt_i16_e32 0x7f, v79
	s_xor_b32 s34, exec_lo, s34
	s_cbranch_execnz .LBB6_15584
; %bb.14806:                            ;   in Loop: Header=BB6_14474 Depth=3
	s_or_saveexec_b32 s34, s34
	v_mov_b32_e32 v78, s31
	s_xor_b32 exec_lo, exec_lo, s34
	s_cbranch_execnz .LBB6_15587
.LBB6_14807:                            ;   in Loop: Header=BB6_14474 Depth=3
	s_or_b32 exec_lo, exec_lo, s34
	s_and_saveexec_b32 s31, s13
	s_cbranch_execz .LBB6_14809
.LBB6_14808:                            ;   in Loop: Header=BB6_14474 Depth=3
	v_lshrrev_b16 v89, 3, v77
	s_delay_alu instid0(VALU_DEP_1) | instskip(NEXT) | instid1(VALU_DEP_1)
	v_and_b32_e32 v89, 15, v89
	v_cmp_eq_u32_e32 vcc_lo, 0, v89
	v_and_b32_e32 v78, 7, v77
	s_delay_alu instid0(VALU_DEP_1) | instskip(NEXT) | instid1(VALU_DEP_1)
	v_clz_i32_u32_e32 v79, v78
	v_min_u32_e32 v79, 32, v79
	s_delay_alu instid0(VALU_DEP_1) | instskip(SKIP_1) | instid1(VALU_DEP_1)
	v_subrev_nc_u32_e32 v88, 28, v79
	v_sub_nc_u32_e32 v79, 29, v79
	v_dual_cndmask_b32 v79, v89, v79 :: v_dual_lshlrev_b32 v88, v88, v77
	v_lshlrev_b32_e32 v77, 24, v77
	s_delay_alu instid0(VALU_DEP_2) | instskip(NEXT) | instid1(VALU_DEP_3)
	v_and_b32_e32 v88, 7, v88
	v_lshl_add_u32 v79, v79, 23, 0x3b800000
	s_delay_alu instid0(VALU_DEP_2) | instskip(NEXT) | instid1(VALU_DEP_1)
	v_dual_cndmask_b32 v78, v78, v88 :: v_dual_and_b32 v77, 0x80000000, v77
	v_lshlrev_b32_e32 v78, 20, v78
	s_delay_alu instid0(VALU_DEP_1)
	v_or3_b32 v78, v77, v79, v78
.LBB6_14809:                            ;   in Loop: Header=BB6_14474 Depth=3
	s_or_b32 exec_lo, exec_lo, s31
	s_waitcnt vmcnt(20) lgkmcnt(20)
	v_and_b32_e32 v79, 0xff, v44
	s_mov_b32 s13, 0
	s_mov_b32 s34, exec_lo
                                        ; implicit-def: $sgpr31
	s_delay_alu instid0(VALU_DEP_1)
	v_cmpx_lt_i16_e32 0x7f, v79
	s_xor_b32 s34, exec_lo, s34
	s_cbranch_execnz .LBB6_15588
; %bb.14810:                            ;   in Loop: Header=BB6_14474 Depth=3
	s_or_saveexec_b32 s34, s34
	v_mov_b32_e32 v77, s31
	s_xor_b32 exec_lo, exec_lo, s34
	s_cbranch_execnz .LBB6_15591
.LBB6_14811:                            ;   in Loop: Header=BB6_14474 Depth=3
	s_or_b32 exec_lo, exec_lo, s34
	s_and_saveexec_b32 s31, s13
	s_cbranch_execz .LBB6_14813
.LBB6_14812:                            ;   in Loop: Header=BB6_14474 Depth=3
	v_and_b32_e32 v77, 7, v44
	v_lshrrev_b16 v89, 3, v44
	s_delay_alu instid0(VALU_DEP_2) | instskip(NEXT) | instid1(VALU_DEP_2)
	v_clz_i32_u32_e32 v79, v77
	v_and_b32_e32 v89, 15, v89
	s_delay_alu instid0(VALU_DEP_2) | instskip(NEXT) | instid1(VALU_DEP_2)
	v_min_u32_e32 v79, 32, v79
	v_cmp_eq_u32_e32 vcc_lo, 0, v89
	s_delay_alu instid0(VALU_DEP_2) | instskip(SKIP_1) | instid1(VALU_DEP_1)
	v_subrev_nc_u32_e32 v88, 28, v79
	v_sub_nc_u32_e32 v79, 29, v79
	v_dual_cndmask_b32 v79, v89, v79 :: v_dual_lshlrev_b32 v88, v88, v44
	v_lshlrev_b32_e32 v44, 24, v44
	s_delay_alu instid0(VALU_DEP_2) | instskip(NEXT) | instid1(VALU_DEP_3)
	v_and_b32_e32 v88, 7, v88
	v_lshl_add_u32 v79, v79, 23, 0x3b800000
	s_delay_alu instid0(VALU_DEP_3) | instskip(NEXT) | instid1(VALU_DEP_3)
	v_and_b32_e32 v44, 0x80000000, v44
	v_cndmask_b32_e32 v77, v77, v88, vcc_lo
	s_delay_alu instid0(VALU_DEP_1) | instskip(NEXT) | instid1(VALU_DEP_1)
	v_lshlrev_b32_e32 v77, 20, v77
	v_or3_b32 v77, v44, v79, v77
.LBB6_14813:                            ;   in Loop: Header=BB6_14474 Depth=3
	s_or_b32 exec_lo, exec_lo, s31
	s_delay_alu instid0(VALU_DEP_1) | instskip(NEXT) | instid1(VALU_DEP_1)
	v_dual_max_f32 v44, v77, v77 :: v_dual_max_f32 v77, v78, v78
	v_min_f32_e32 v78, v77, v44
.LBB6_14814:                            ;   in Loop: Header=BB6_14474 Depth=3
	s_waitcnt vmcnt(20) lgkmcnt(20)
	s_delay_alu instid0(VALU_DEP_1) | instskip(NEXT) | instid1(VALU_DEP_1)
	v_and_b32_e32 v44, 0x7f800000, v78
	v_cmp_ne_u32_e32 vcc_lo, 0x7f800000, v44
	v_mov_b32_e32 v44, 0x80
	s_and_saveexec_b32 s31, vcc_lo
	s_cbranch_execz .LBB6_14822
; %bb.14815:                            ;   in Loop: Header=BB6_14474 Depth=3
	v_mov_b32_e32 v44, 0
	s_mov_b32 s34, exec_lo
	v_cmpx_ne_u32_e32 0, v78
	s_cbranch_execz .LBB6_14821
; %bb.14816:                            ;   in Loop: Header=BB6_14474 Depth=3
	v_bfe_u32 v44, v78, 23, 8
	v_and_b32_e32 v77, 0x7fffff, v78
	s_delay_alu instid0(VALU_DEP_2) | instskip(SKIP_1) | instid1(VALU_DEP_3)
	v_sub_nc_u32_e32 v79, 0x78, v44
	v_cmp_gt_u32_e32 vcc_lo, 0x79, v44
	v_or_b32_e32 v88, 0x800000, v77
	s_delay_alu instid0(VALU_DEP_3) | instskip(SKIP_2) | instid1(VALU_DEP_3)
	v_cndmask_b32_e32 v79, 0, v79, vcc_lo
	v_cmp_eq_u32_e32 vcc_lo, 0, v44
	v_add_nc_u32_e32 v44, 0xffffff89, v44
	v_cndmask_b32_e64 v79, v79, 0x77, vcc_lo
	v_cndmask_b32_e32 v77, v88, v77, vcc_lo
	s_delay_alu instid0(VALU_DEP_3) | instskip(NEXT) | instid1(VALU_DEP_3)
	v_cndmask_b32_e64 v44, v44, 0xffffff8a, vcc_lo
	v_lshl_add_u32 v88, 0x100000, v79, -1
	s_delay_alu instid0(VALU_DEP_3) | instskip(SKIP_1) | instid1(VALU_DEP_4)
	v_lshrrev_b32_e32 v89, v79, v77
	v_lshlrev_b32_e64 v91, v79, 0x80000
	v_add_nc_u32_e32 v79, v79, v44
	s_delay_alu instid0(VALU_DEP_4) | instskip(NEXT) | instid1(VALU_DEP_4)
	v_and_b32_e32 v77, v88, v77
	v_bfe_u32 v90, v89, 20, 1
	s_delay_alu instid0(VALU_DEP_2) | instskip(NEXT) | instid1(VALU_DEP_2)
	v_cmp_eq_u32_e64 s13, v77, v91
	v_add_nc_u32_e32 v88, -1, v90
	s_delay_alu instid0(VALU_DEP_1) | instskip(SKIP_2) | instid1(VALU_DEP_2)
	v_cndmask_b32_e64 v77, 0, v88, s13
	v_lshrrev_b32_e32 v88, 23, v89
	s_mov_b32 s13, exec_lo
	v_add_nc_u32_e32 v77, v77, v89
	s_delay_alu instid0(VALU_DEP_2) | instskip(NEXT) | instid1(VALU_DEP_2)
	v_xor_b32_e32 v88, 1, v88
	v_and_b32_e32 v44, 0xfffff, v77
	s_delay_alu instid0(VALU_DEP_1) | instskip(NEXT) | instid1(VALU_DEP_3)
	v_add_nc_u32_e32 v77, v44, v89
                                        ; implicit-def: $vgpr44
	v_cmpx_ne_u32_e64 v79, v88
	s_xor_b32 s13, exec_lo, s13
; %bb.14817:                            ;   in Loop: Header=BB6_14474 Depth=3
	s_delay_alu instid0(VALU_DEP_2) | instskip(SKIP_2) | instid1(VALU_DEP_2)
	v_cmp_lt_u32_e32 vcc_lo, 0xffffff, v77
	v_sub_nc_u32_e32 v44, v79, v88
	v_cndmask_b32_e64 v79, 0, 1, vcc_lo
	v_add_co_ci_u32_e32 v44, vcc_lo, 0, v44, vcc_lo
	s_delay_alu instid0(VALU_DEP_2)
	v_lshrrev_b32_e32 v77, v79, v77
; %bb.14818:                            ;   in Loop: Header=BB6_14474 Depth=3
	s_and_not1_saveexec_b32 s13, s13
; %bb.14819:                            ;   in Loop: Header=BB6_14474 Depth=3
	s_delay_alu instid0(VALU_DEP_1)
	v_bfe_u32 v44, v77, 23, 1
; %bb.14820:                            ;   in Loop: Header=BB6_14474 Depth=3
	s_or_b32 exec_lo, exec_lo, s13
	v_lshrrev_b32_e32 v77, 20, v77
	s_delay_alu instid0(VALU_DEP_2) | instskip(SKIP_2) | instid1(VALU_DEP_2)
	v_cmp_gt_i32_e32 vcc_lo, 16, v44
	v_lshrrev_b32_e32 v78, 24, v78
	v_min_i32_e32 v79, 15, v44
	v_dual_cndmask_b32 v77, 7, v77 :: v_dual_and_b32 v78, 0x80, v78
	s_delay_alu instid0(VALU_DEP_1) | instskip(SKIP_1) | instid1(VALU_DEP_2)
	v_or_b32_e32 v44, v44, v77
	v_and_b32_e32 v88, 7, v77
	v_cmp_ne_u32_e32 vcc_lo, 0, v44
	v_lshlrev_b32_e32 v79, 3, v79
	s_delay_alu instid0(VALU_DEP_1) | instskip(NEXT) | instid1(VALU_DEP_1)
	v_or3_b32 v77, v79, v78, v88
	v_cndmask_b32_e32 v44, 0, v77, vcc_lo
.LBB6_14821:                            ;   in Loop: Header=BB6_14474 Depth=3
	s_or_b32 exec_lo, exec_lo, s34
.LBB6_14822:                            ;   in Loop: Header=BB6_14474 Depth=3
	s_delay_alu instid0(SALU_CYCLE_1) | instskip(NEXT) | instid1(SALU_CYCLE_1)
	s_or_b32 exec_lo, exec_lo, s31
	s_and_not1_b32 vcc_lo, exec_lo, s16
	s_cbranch_vccnz .LBB6_14832
; %bb.14823:                            ;   in Loop: Header=BB6_14474 Depth=3
	v_and_b32_e32 v78, 0xff, v76
	s_mov_b32 s13, 0
	s_mov_b32 s34, exec_lo
                                        ; implicit-def: $sgpr31
	s_delay_alu instid0(VALU_DEP_1)
	v_cmpx_lt_i16_e32 0x7f, v78
	s_xor_b32 s34, exec_lo, s34
	s_cbranch_execnz .LBB6_15592
; %bb.14824:                            ;   in Loop: Header=BB6_14474 Depth=3
	s_or_saveexec_b32 s34, s34
	v_mov_b32_e32 v77, s31
	s_xor_b32 exec_lo, exec_lo, s34
	s_cbranch_execnz .LBB6_15595
.LBB6_14825:                            ;   in Loop: Header=BB6_14474 Depth=3
	s_or_b32 exec_lo, exec_lo, s34
	s_and_saveexec_b32 s31, s13
	s_cbranch_execz .LBB6_14827
.LBB6_14826:                            ;   in Loop: Header=BB6_14474 Depth=3
	v_lshrrev_b16 v88, 3, v76
	v_lshlrev_b32_e32 v89, 24, v76
	s_delay_alu instid0(VALU_DEP_2) | instskip(NEXT) | instid1(VALU_DEP_1)
	v_and_b32_e32 v88, 15, v88
	v_cmp_eq_u32_e32 vcc_lo, 0, v88
	v_and_b32_e32 v77, 7, v76
	s_delay_alu instid0(VALU_DEP_1) | instskip(NEXT) | instid1(VALU_DEP_1)
	v_clz_i32_u32_e32 v78, v77
	v_min_u32_e32 v78, 32, v78
	s_delay_alu instid0(VALU_DEP_1) | instskip(SKIP_1) | instid1(VALU_DEP_1)
	v_subrev_nc_u32_e32 v79, 28, v78
	v_sub_nc_u32_e32 v78, 29, v78
	v_dual_cndmask_b32 v78, v88, v78 :: v_dual_lshlrev_b32 v79, v79, v76
	s_delay_alu instid0(VALU_DEP_1) | instskip(NEXT) | instid1(VALU_DEP_2)
	v_and_b32_e32 v79, 7, v79
	v_lshl_add_u32 v78, v78, 23, 0x3b800000
	s_delay_alu instid0(VALU_DEP_2) | instskip(SKIP_1) | instid1(VALU_DEP_2)
	v_cndmask_b32_e32 v77, v77, v79, vcc_lo
	v_and_b32_e32 v79, 0x80000000, v89
	v_lshlrev_b32_e32 v77, 20, v77
	s_delay_alu instid0(VALU_DEP_1)
	v_or3_b32 v77, v79, v78, v77
.LBB6_14827:                            ;   in Loop: Header=BB6_14474 Depth=3
	s_or_b32 exec_lo, exec_lo, s31
	s_waitcnt vmcnt(19) lgkmcnt(19)
	v_and_b32_e32 v79, 0xff, v47
	s_mov_b32 s13, 0
	s_mov_b32 s34, exec_lo
                                        ; implicit-def: $sgpr31
	s_delay_alu instid0(VALU_DEP_1)
	v_cmpx_lt_i16_e32 0x7f, v79
	s_xor_b32 s34, exec_lo, s34
	s_cbranch_execnz .LBB6_15596
; %bb.14828:                            ;   in Loop: Header=BB6_14474 Depth=3
	s_or_saveexec_b32 s34, s34
	v_mov_b32_e32 v78, s31
	s_xor_b32 exec_lo, exec_lo, s34
	s_cbranch_execnz .LBB6_15599
.LBB6_14829:                            ;   in Loop: Header=BB6_14474 Depth=3
	s_or_b32 exec_lo, exec_lo, s34
	s_and_saveexec_b32 s31, s13
	s_cbranch_execz .LBB6_14831
.LBB6_14830:                            ;   in Loop: Header=BB6_14474 Depth=3
	v_and_b32_e32 v78, 7, v47
	v_lshrrev_b16 v89, 3, v47
	v_lshlrev_b32_e32 v90, 24, v47
	s_delay_alu instid0(VALU_DEP_3) | instskip(NEXT) | instid1(VALU_DEP_1)
	v_clz_i32_u32_e32 v79, v78
	v_min_u32_e32 v79, 32, v79
	s_delay_alu instid0(VALU_DEP_1) | instskip(SKIP_1) | instid1(VALU_DEP_2)
	v_subrev_nc_u32_e32 v88, 28, v79
	v_sub_nc_u32_e32 v79, 29, v79
	v_lshlrev_b32_e32 v88, v88, v47
	s_delay_alu instid0(VALU_DEP_1) | instskip(SKIP_1) | instid1(VALU_DEP_1)
	v_and_b32_e32 v88, 7, v88
	v_and_b32_e32 v89, 15, v89
	v_cmp_eq_u32_e32 vcc_lo, 0, v89
	s_delay_alu instid0(VALU_DEP_3) | instskip(SKIP_1) | instid1(VALU_DEP_2)
	v_dual_cndmask_b32 v78, v78, v88 :: v_dual_cndmask_b32 v79, v89, v79
	v_and_b32_e32 v88, 0x80000000, v90
	v_lshlrev_b32_e32 v78, 20, v78
	s_delay_alu instid0(VALU_DEP_3) | instskip(NEXT) | instid1(VALU_DEP_1)
	v_lshl_add_u32 v79, v79, 23, 0x3b800000
	v_or3_b32 v78, v88, v79, v78
.LBB6_14831:                            ;   in Loop: Header=BB6_14474 Depth=3
	s_or_b32 exec_lo, exec_lo, s31
	s_delay_alu instid0(VALU_DEP_1) | instskip(SKIP_1) | instid1(VALU_DEP_1)
	v_dual_max_f32 v78, v78, v78 :: v_dual_max_f32 v77, v77, v77
	s_mov_b32 s13, 0
	v_max_f32_e32 v77, v77, v78
	s_branch .LBB6_14833
.LBB6_14832:                            ;   in Loop: Header=BB6_14474 Depth=3
	s_mov_b32 s13, -1
                                        ; implicit-def: $vgpr77
.LBB6_14833:                            ;   in Loop: Header=BB6_14474 Depth=3
	s_delay_alu instid0(SALU_CYCLE_1)
	s_and_b32 vcc_lo, exec_lo, s13
	s_cbranch_vccz .LBB6_14843
; %bb.14834:                            ;   in Loop: Header=BB6_14474 Depth=3
	v_and_b32_e32 v78, 0xff, v76
	s_mov_b32 s13, 0
	s_mov_b32 s34, exec_lo
                                        ; implicit-def: $sgpr31
	s_delay_alu instid0(VALU_DEP_1)
	v_cmpx_lt_i16_e32 0x7f, v78
	s_xor_b32 s34, exec_lo, s34
	s_cbranch_execnz .LBB6_15600
; %bb.14835:                            ;   in Loop: Header=BB6_14474 Depth=3
	s_or_saveexec_b32 s34, s34
	v_mov_b32_e32 v77, s31
	s_xor_b32 exec_lo, exec_lo, s34
	s_cbranch_execnz .LBB6_15603
.LBB6_14836:                            ;   in Loop: Header=BB6_14474 Depth=3
	s_or_b32 exec_lo, exec_lo, s34
	s_and_saveexec_b32 s31, s13
	s_cbranch_execz .LBB6_14838
.LBB6_14837:                            ;   in Loop: Header=BB6_14474 Depth=3
	v_lshrrev_b16 v88, 3, v76
	s_delay_alu instid0(VALU_DEP_1) | instskip(NEXT) | instid1(VALU_DEP_1)
	v_and_b32_e32 v88, 15, v88
	v_cmp_eq_u32_e32 vcc_lo, 0, v88
	v_and_b32_e32 v77, 7, v76
	s_delay_alu instid0(VALU_DEP_1) | instskip(NEXT) | instid1(VALU_DEP_1)
	v_clz_i32_u32_e32 v78, v77
	v_min_u32_e32 v78, 32, v78
	s_delay_alu instid0(VALU_DEP_1) | instskip(SKIP_1) | instid1(VALU_DEP_1)
	v_subrev_nc_u32_e32 v79, 28, v78
	v_sub_nc_u32_e32 v78, 29, v78
	v_dual_cndmask_b32 v78, v88, v78 :: v_dual_lshlrev_b32 v79, v79, v76
	v_lshlrev_b32_e32 v76, 24, v76
	s_delay_alu instid0(VALU_DEP_2) | instskip(NEXT) | instid1(VALU_DEP_3)
	v_and_b32_e32 v79, 7, v79
	v_lshl_add_u32 v78, v78, 23, 0x3b800000
	s_delay_alu instid0(VALU_DEP_2) | instskip(NEXT) | instid1(VALU_DEP_1)
	v_dual_cndmask_b32 v77, v77, v79 :: v_dual_and_b32 v76, 0x80000000, v76
	v_lshlrev_b32_e32 v77, 20, v77
	s_delay_alu instid0(VALU_DEP_1)
	v_or3_b32 v77, v76, v78, v77
.LBB6_14838:                            ;   in Loop: Header=BB6_14474 Depth=3
	s_or_b32 exec_lo, exec_lo, s31
	s_waitcnt vmcnt(19) lgkmcnt(19)
	v_and_b32_e32 v78, 0xff, v47
	s_mov_b32 s13, 0
	s_mov_b32 s34, exec_lo
                                        ; implicit-def: $sgpr31
	s_delay_alu instid0(VALU_DEP_1)
	v_cmpx_lt_i16_e32 0x7f, v78
	s_xor_b32 s34, exec_lo, s34
	s_cbranch_execnz .LBB6_15604
; %bb.14839:                            ;   in Loop: Header=BB6_14474 Depth=3
	s_or_saveexec_b32 s34, s34
	v_mov_b32_e32 v76, s31
	s_xor_b32 exec_lo, exec_lo, s34
	s_cbranch_execnz .LBB6_15607
.LBB6_14840:                            ;   in Loop: Header=BB6_14474 Depth=3
	s_or_b32 exec_lo, exec_lo, s34
	s_and_saveexec_b32 s31, s13
	s_cbranch_execz .LBB6_14842
.LBB6_14841:                            ;   in Loop: Header=BB6_14474 Depth=3
	v_and_b32_e32 v76, 7, v47
	v_lshrrev_b16 v88, 3, v47
	s_delay_alu instid0(VALU_DEP_2) | instskip(NEXT) | instid1(VALU_DEP_2)
	v_clz_i32_u32_e32 v78, v76
	v_and_b32_e32 v88, 15, v88
	s_delay_alu instid0(VALU_DEP_2) | instskip(NEXT) | instid1(VALU_DEP_2)
	v_min_u32_e32 v78, 32, v78
	v_cmp_eq_u32_e32 vcc_lo, 0, v88
	s_delay_alu instid0(VALU_DEP_2) | instskip(SKIP_1) | instid1(VALU_DEP_1)
	v_subrev_nc_u32_e32 v79, 28, v78
	v_sub_nc_u32_e32 v78, 29, v78
	v_dual_cndmask_b32 v78, v88, v78 :: v_dual_lshlrev_b32 v79, v79, v47
	v_lshlrev_b32_e32 v47, 24, v47
	s_delay_alu instid0(VALU_DEP_2) | instskip(NEXT) | instid1(VALU_DEP_3)
	v_and_b32_e32 v79, 7, v79
	v_lshl_add_u32 v78, v78, 23, 0x3b800000
	s_delay_alu instid0(VALU_DEP_3) | instskip(NEXT) | instid1(VALU_DEP_3)
	v_and_b32_e32 v47, 0x80000000, v47
	v_cndmask_b32_e32 v76, v76, v79, vcc_lo
	s_delay_alu instid0(VALU_DEP_1) | instskip(NEXT) | instid1(VALU_DEP_1)
	v_lshlrev_b32_e32 v76, 20, v76
	v_or3_b32 v76, v47, v78, v76
.LBB6_14842:                            ;   in Loop: Header=BB6_14474 Depth=3
	s_or_b32 exec_lo, exec_lo, s31
	s_delay_alu instid0(VALU_DEP_1) | instskip(NEXT) | instid1(VALU_DEP_1)
	v_dual_max_f32 v47, v76, v76 :: v_dual_max_f32 v76, v77, v77
	v_min_f32_e32 v77, v76, v47
.LBB6_14843:                            ;   in Loop: Header=BB6_14474 Depth=3
	s_waitcnt vmcnt(19) lgkmcnt(19)
	s_delay_alu instid0(VALU_DEP_1) | instskip(NEXT) | instid1(VALU_DEP_1)
	v_and_b32_e32 v47, 0x7f800000, v77
	v_cmp_ne_u32_e32 vcc_lo, 0x7f800000, v47
	v_mov_b32_e32 v47, 0x80
	s_and_saveexec_b32 s31, vcc_lo
	s_cbranch_execz .LBB6_14851
; %bb.14844:                            ;   in Loop: Header=BB6_14474 Depth=3
	v_mov_b32_e32 v47, 0
	s_mov_b32 s34, exec_lo
	v_cmpx_ne_u32_e32 0, v77
	s_cbranch_execz .LBB6_14850
; %bb.14845:                            ;   in Loop: Header=BB6_14474 Depth=3
	v_bfe_u32 v47, v77, 23, 8
	v_and_b32_e32 v76, 0x7fffff, v77
	s_delay_alu instid0(VALU_DEP_2) | instskip(SKIP_1) | instid1(VALU_DEP_3)
	v_sub_nc_u32_e32 v78, 0x78, v47
	v_cmp_gt_u32_e32 vcc_lo, 0x79, v47
	v_or_b32_e32 v79, 0x800000, v76
	s_delay_alu instid0(VALU_DEP_3) | instskip(SKIP_2) | instid1(VALU_DEP_3)
	v_cndmask_b32_e32 v78, 0, v78, vcc_lo
	v_cmp_eq_u32_e32 vcc_lo, 0, v47
	v_add_nc_u32_e32 v47, 0xffffff89, v47
	v_cndmask_b32_e64 v78, v78, 0x77, vcc_lo
	v_cndmask_b32_e32 v76, v79, v76, vcc_lo
	s_delay_alu instid0(VALU_DEP_3) | instskip(NEXT) | instid1(VALU_DEP_3)
	v_cndmask_b32_e64 v47, v47, 0xffffff8a, vcc_lo
	v_lshl_add_u32 v79, 0x100000, v78, -1
	s_delay_alu instid0(VALU_DEP_3) | instskip(SKIP_1) | instid1(VALU_DEP_4)
	v_lshrrev_b32_e32 v88, v78, v76
	v_lshlrev_b32_e64 v90, v78, 0x80000
	v_add_nc_u32_e32 v78, v78, v47
	s_delay_alu instid0(VALU_DEP_4) | instskip(NEXT) | instid1(VALU_DEP_4)
	v_and_b32_e32 v76, v79, v76
	v_bfe_u32 v89, v88, 20, 1
	s_delay_alu instid0(VALU_DEP_2) | instskip(NEXT) | instid1(VALU_DEP_2)
	v_cmp_eq_u32_e64 s13, v76, v90
	v_add_nc_u32_e32 v79, -1, v89
	s_delay_alu instid0(VALU_DEP_1) | instskip(SKIP_2) | instid1(VALU_DEP_2)
	v_cndmask_b32_e64 v76, 0, v79, s13
	v_lshrrev_b32_e32 v79, 23, v88
	s_mov_b32 s13, exec_lo
	v_add_nc_u32_e32 v76, v76, v88
	s_delay_alu instid0(VALU_DEP_2) | instskip(NEXT) | instid1(VALU_DEP_2)
	v_xor_b32_e32 v79, 1, v79
	v_and_b32_e32 v47, 0xfffff, v76
	s_delay_alu instid0(VALU_DEP_1) | instskip(NEXT) | instid1(VALU_DEP_3)
	v_add_nc_u32_e32 v76, v47, v88
                                        ; implicit-def: $vgpr47
	v_cmpx_ne_u32_e64 v78, v79
	s_xor_b32 s13, exec_lo, s13
; %bb.14846:                            ;   in Loop: Header=BB6_14474 Depth=3
	s_delay_alu instid0(VALU_DEP_2) | instskip(SKIP_2) | instid1(VALU_DEP_2)
	v_cmp_lt_u32_e32 vcc_lo, 0xffffff, v76
	v_sub_nc_u32_e32 v47, v78, v79
	v_cndmask_b32_e64 v78, 0, 1, vcc_lo
	v_add_co_ci_u32_e32 v47, vcc_lo, 0, v47, vcc_lo
	s_delay_alu instid0(VALU_DEP_2)
	v_lshrrev_b32_e32 v76, v78, v76
; %bb.14847:                            ;   in Loop: Header=BB6_14474 Depth=3
	s_and_not1_saveexec_b32 s13, s13
; %bb.14848:                            ;   in Loop: Header=BB6_14474 Depth=3
	s_delay_alu instid0(VALU_DEP_1)
	v_bfe_u32 v47, v76, 23, 1
; %bb.14849:                            ;   in Loop: Header=BB6_14474 Depth=3
	s_or_b32 exec_lo, exec_lo, s13
	v_lshrrev_b32_e32 v76, 20, v76
	s_delay_alu instid0(VALU_DEP_2) | instskip(SKIP_2) | instid1(VALU_DEP_2)
	v_cmp_gt_i32_e32 vcc_lo, 16, v47
	v_lshrrev_b32_e32 v77, 24, v77
	v_min_i32_e32 v78, 15, v47
	v_dual_cndmask_b32 v76, 7, v76 :: v_dual_and_b32 v77, 0x80, v77
	s_delay_alu instid0(VALU_DEP_1) | instskip(SKIP_1) | instid1(VALU_DEP_2)
	v_or_b32_e32 v47, v47, v76
	v_and_b32_e32 v79, 7, v76
	v_cmp_ne_u32_e32 vcc_lo, 0, v47
	v_lshlrev_b32_e32 v78, 3, v78
	s_delay_alu instid0(VALU_DEP_1) | instskip(NEXT) | instid1(VALU_DEP_1)
	v_or3_b32 v76, v78, v77, v79
	v_cndmask_b32_e32 v47, 0, v76, vcc_lo
.LBB6_14850:                            ;   in Loop: Header=BB6_14474 Depth=3
	s_or_b32 exec_lo, exec_lo, s34
.LBB6_14851:                            ;   in Loop: Header=BB6_14474 Depth=3
	s_delay_alu instid0(SALU_CYCLE_1) | instskip(NEXT) | instid1(SALU_CYCLE_1)
	s_or_b32 exec_lo, exec_lo, s31
	s_and_not1_b32 vcc_lo, exec_lo, s16
	s_cbranch_vccnz .LBB6_14861
; %bb.14852:                            ;   in Loop: Header=BB6_14474 Depth=3
	v_and_b32_e32 v77, 0xff, v75
	s_mov_b32 s13, 0
	s_mov_b32 s34, exec_lo
                                        ; implicit-def: $sgpr31
	s_delay_alu instid0(VALU_DEP_1)
	v_cmpx_lt_i16_e32 0x7f, v77
	s_xor_b32 s34, exec_lo, s34
	s_cbranch_execnz .LBB6_15608
; %bb.14853:                            ;   in Loop: Header=BB6_14474 Depth=3
	s_or_saveexec_b32 s34, s34
	v_mov_b32_e32 v76, s31
	s_xor_b32 exec_lo, exec_lo, s34
	s_cbranch_execnz .LBB6_15611
.LBB6_14854:                            ;   in Loop: Header=BB6_14474 Depth=3
	s_or_b32 exec_lo, exec_lo, s34
	s_and_saveexec_b32 s31, s13
	s_cbranch_execz .LBB6_14856
.LBB6_14855:                            ;   in Loop: Header=BB6_14474 Depth=3
	v_lshrrev_b16 v79, 3, v75
	v_lshlrev_b32_e32 v88, 24, v75
	s_delay_alu instid0(VALU_DEP_2) | instskip(NEXT) | instid1(VALU_DEP_1)
	v_and_b32_e32 v79, 15, v79
	v_cmp_eq_u32_e32 vcc_lo, 0, v79
	v_and_b32_e32 v76, 7, v75
	s_delay_alu instid0(VALU_DEP_1) | instskip(NEXT) | instid1(VALU_DEP_1)
	v_clz_i32_u32_e32 v77, v76
	v_min_u32_e32 v77, 32, v77
	s_delay_alu instid0(VALU_DEP_1) | instskip(SKIP_1) | instid1(VALU_DEP_1)
	v_subrev_nc_u32_e32 v78, 28, v77
	v_sub_nc_u32_e32 v77, 29, v77
	v_dual_cndmask_b32 v77, v79, v77 :: v_dual_lshlrev_b32 v78, v78, v75
	s_delay_alu instid0(VALU_DEP_1) | instskip(NEXT) | instid1(VALU_DEP_2)
	v_and_b32_e32 v78, 7, v78
	v_lshl_add_u32 v77, v77, 23, 0x3b800000
	s_delay_alu instid0(VALU_DEP_2) | instskip(SKIP_1) | instid1(VALU_DEP_2)
	v_cndmask_b32_e32 v76, v76, v78, vcc_lo
	v_and_b32_e32 v78, 0x80000000, v88
	v_lshlrev_b32_e32 v76, 20, v76
	s_delay_alu instid0(VALU_DEP_1)
	v_or3_b32 v76, v78, v77, v76
.LBB6_14856:                            ;   in Loop: Header=BB6_14474 Depth=3
	s_or_b32 exec_lo, exec_lo, s31
	s_waitcnt vmcnt(18) lgkmcnt(18)
	v_and_b32_e32 v78, 0xff, v58
	s_mov_b32 s13, 0
	s_mov_b32 s34, exec_lo
                                        ; implicit-def: $sgpr31
	s_delay_alu instid0(VALU_DEP_1)
	v_cmpx_lt_i16_e32 0x7f, v78
	s_xor_b32 s34, exec_lo, s34
	s_cbranch_execnz .LBB6_15612
; %bb.14857:                            ;   in Loop: Header=BB6_14474 Depth=3
	s_or_saveexec_b32 s34, s34
	v_mov_b32_e32 v77, s31
	s_xor_b32 exec_lo, exec_lo, s34
	s_cbranch_execnz .LBB6_15615
.LBB6_14858:                            ;   in Loop: Header=BB6_14474 Depth=3
	s_or_b32 exec_lo, exec_lo, s34
	s_and_saveexec_b32 s31, s13
	s_cbranch_execz .LBB6_14860
.LBB6_14859:                            ;   in Loop: Header=BB6_14474 Depth=3
	v_and_b32_e32 v77, 7, v58
	v_lshrrev_b16 v88, 3, v58
	v_lshlrev_b32_e32 v89, 24, v58
	s_delay_alu instid0(VALU_DEP_3) | instskip(NEXT) | instid1(VALU_DEP_1)
	v_clz_i32_u32_e32 v78, v77
	v_min_u32_e32 v78, 32, v78
	s_delay_alu instid0(VALU_DEP_1) | instskip(SKIP_1) | instid1(VALU_DEP_2)
	v_subrev_nc_u32_e32 v79, 28, v78
	v_sub_nc_u32_e32 v78, 29, v78
	v_lshlrev_b32_e32 v79, v79, v58
	s_delay_alu instid0(VALU_DEP_1) | instskip(SKIP_1) | instid1(VALU_DEP_1)
	v_and_b32_e32 v79, 7, v79
	v_and_b32_e32 v88, 15, v88
	v_cmp_eq_u32_e32 vcc_lo, 0, v88
	s_delay_alu instid0(VALU_DEP_3) | instskip(SKIP_1) | instid1(VALU_DEP_2)
	v_dual_cndmask_b32 v77, v77, v79 :: v_dual_cndmask_b32 v78, v88, v78
	v_and_b32_e32 v79, 0x80000000, v89
	v_lshlrev_b32_e32 v77, 20, v77
	s_delay_alu instid0(VALU_DEP_3) | instskip(NEXT) | instid1(VALU_DEP_1)
	v_lshl_add_u32 v78, v78, 23, 0x3b800000
	v_or3_b32 v77, v79, v78, v77
.LBB6_14860:                            ;   in Loop: Header=BB6_14474 Depth=3
	s_or_b32 exec_lo, exec_lo, s31
	s_delay_alu instid0(VALU_DEP_1) | instskip(SKIP_1) | instid1(VALU_DEP_1)
	v_dual_max_f32 v77, v77, v77 :: v_dual_max_f32 v76, v76, v76
	s_mov_b32 s13, 0
	v_max_f32_e32 v76, v76, v77
	s_branch .LBB6_14862
.LBB6_14861:                            ;   in Loop: Header=BB6_14474 Depth=3
	s_mov_b32 s13, -1
                                        ; implicit-def: $vgpr76
.LBB6_14862:                            ;   in Loop: Header=BB6_14474 Depth=3
	s_delay_alu instid0(SALU_CYCLE_1)
	s_and_b32 vcc_lo, exec_lo, s13
	s_cbranch_vccz .LBB6_14872
; %bb.14863:                            ;   in Loop: Header=BB6_14474 Depth=3
	v_and_b32_e32 v77, 0xff, v75
	s_mov_b32 s13, 0
	s_mov_b32 s34, exec_lo
                                        ; implicit-def: $sgpr31
	s_delay_alu instid0(VALU_DEP_1)
	v_cmpx_lt_i16_e32 0x7f, v77
	s_xor_b32 s34, exec_lo, s34
	s_cbranch_execnz .LBB6_15616
; %bb.14864:                            ;   in Loop: Header=BB6_14474 Depth=3
	s_or_saveexec_b32 s34, s34
	v_mov_b32_e32 v76, s31
	s_xor_b32 exec_lo, exec_lo, s34
	s_cbranch_execnz .LBB6_15619
.LBB6_14865:                            ;   in Loop: Header=BB6_14474 Depth=3
	s_or_b32 exec_lo, exec_lo, s34
	s_and_saveexec_b32 s31, s13
	s_cbranch_execz .LBB6_14867
.LBB6_14866:                            ;   in Loop: Header=BB6_14474 Depth=3
	v_lshrrev_b16 v79, 3, v75
	s_delay_alu instid0(VALU_DEP_1) | instskip(NEXT) | instid1(VALU_DEP_1)
	v_and_b32_e32 v79, 15, v79
	v_cmp_eq_u32_e32 vcc_lo, 0, v79
	v_and_b32_e32 v76, 7, v75
	s_delay_alu instid0(VALU_DEP_1) | instskip(NEXT) | instid1(VALU_DEP_1)
	v_clz_i32_u32_e32 v77, v76
	v_min_u32_e32 v77, 32, v77
	s_delay_alu instid0(VALU_DEP_1) | instskip(SKIP_1) | instid1(VALU_DEP_1)
	v_subrev_nc_u32_e32 v78, 28, v77
	v_sub_nc_u32_e32 v77, 29, v77
	v_dual_cndmask_b32 v77, v79, v77 :: v_dual_lshlrev_b32 v78, v78, v75
	v_lshlrev_b32_e32 v75, 24, v75
	s_delay_alu instid0(VALU_DEP_2) | instskip(NEXT) | instid1(VALU_DEP_3)
	v_and_b32_e32 v78, 7, v78
	v_lshl_add_u32 v77, v77, 23, 0x3b800000
	s_delay_alu instid0(VALU_DEP_2) | instskip(NEXT) | instid1(VALU_DEP_1)
	v_dual_cndmask_b32 v76, v76, v78 :: v_dual_and_b32 v75, 0x80000000, v75
	v_lshlrev_b32_e32 v76, 20, v76
	s_delay_alu instid0(VALU_DEP_1)
	v_or3_b32 v76, v75, v77, v76
.LBB6_14867:                            ;   in Loop: Header=BB6_14474 Depth=3
	s_or_b32 exec_lo, exec_lo, s31
	s_waitcnt vmcnt(18) lgkmcnt(18)
	v_and_b32_e32 v77, 0xff, v58
	s_mov_b32 s13, 0
	s_mov_b32 s34, exec_lo
                                        ; implicit-def: $sgpr31
	s_delay_alu instid0(VALU_DEP_1)
	v_cmpx_lt_i16_e32 0x7f, v77
	s_xor_b32 s34, exec_lo, s34
	s_cbranch_execnz .LBB6_15620
; %bb.14868:                            ;   in Loop: Header=BB6_14474 Depth=3
	s_or_saveexec_b32 s34, s34
	v_mov_b32_e32 v75, s31
	s_xor_b32 exec_lo, exec_lo, s34
	s_cbranch_execnz .LBB6_15623
.LBB6_14869:                            ;   in Loop: Header=BB6_14474 Depth=3
	s_or_b32 exec_lo, exec_lo, s34
	s_and_saveexec_b32 s31, s13
	s_cbranch_execz .LBB6_14871
.LBB6_14870:                            ;   in Loop: Header=BB6_14474 Depth=3
	v_and_b32_e32 v75, 7, v58
	v_lshrrev_b16 v79, 3, v58
	s_delay_alu instid0(VALU_DEP_2) | instskip(NEXT) | instid1(VALU_DEP_2)
	v_clz_i32_u32_e32 v77, v75
	v_and_b32_e32 v79, 15, v79
	s_delay_alu instid0(VALU_DEP_2) | instskip(NEXT) | instid1(VALU_DEP_2)
	v_min_u32_e32 v77, 32, v77
	v_cmp_eq_u32_e32 vcc_lo, 0, v79
	s_delay_alu instid0(VALU_DEP_2) | instskip(SKIP_1) | instid1(VALU_DEP_1)
	v_subrev_nc_u32_e32 v78, 28, v77
	v_sub_nc_u32_e32 v77, 29, v77
	v_dual_cndmask_b32 v77, v79, v77 :: v_dual_lshlrev_b32 v78, v78, v58
	v_lshlrev_b32_e32 v58, 24, v58
	s_delay_alu instid0(VALU_DEP_2) | instskip(NEXT) | instid1(VALU_DEP_3)
	v_and_b32_e32 v78, 7, v78
	v_lshl_add_u32 v77, v77, 23, 0x3b800000
	s_delay_alu instid0(VALU_DEP_3) | instskip(NEXT) | instid1(VALU_DEP_3)
	v_and_b32_e32 v58, 0x80000000, v58
	v_cndmask_b32_e32 v75, v75, v78, vcc_lo
	s_delay_alu instid0(VALU_DEP_1) | instskip(NEXT) | instid1(VALU_DEP_1)
	v_lshlrev_b32_e32 v75, 20, v75
	v_or3_b32 v75, v58, v77, v75
.LBB6_14871:                            ;   in Loop: Header=BB6_14474 Depth=3
	s_or_b32 exec_lo, exec_lo, s31
	s_delay_alu instid0(VALU_DEP_1) | instskip(NEXT) | instid1(VALU_DEP_1)
	v_dual_max_f32 v58, v75, v75 :: v_dual_max_f32 v75, v76, v76
	v_min_f32_e32 v76, v75, v58
.LBB6_14872:                            ;   in Loop: Header=BB6_14474 Depth=3
	s_waitcnt vmcnt(18) lgkmcnt(18)
	s_delay_alu instid0(VALU_DEP_1) | instskip(NEXT) | instid1(VALU_DEP_1)
	v_and_b32_e32 v58, 0x7f800000, v76
	v_cmp_ne_u32_e32 vcc_lo, 0x7f800000, v58
	v_mov_b32_e32 v58, 0x80
	s_and_saveexec_b32 s31, vcc_lo
	s_cbranch_execz .LBB6_14880
; %bb.14873:                            ;   in Loop: Header=BB6_14474 Depth=3
	v_mov_b32_e32 v58, 0
	s_mov_b32 s34, exec_lo
	v_cmpx_ne_u32_e32 0, v76
	s_cbranch_execz .LBB6_14879
; %bb.14874:                            ;   in Loop: Header=BB6_14474 Depth=3
	v_bfe_u32 v58, v76, 23, 8
	v_and_b32_e32 v75, 0x7fffff, v76
	s_delay_alu instid0(VALU_DEP_2) | instskip(SKIP_1) | instid1(VALU_DEP_3)
	v_sub_nc_u32_e32 v77, 0x78, v58
	v_cmp_gt_u32_e32 vcc_lo, 0x79, v58
	v_or_b32_e32 v78, 0x800000, v75
	s_delay_alu instid0(VALU_DEP_3) | instskip(SKIP_2) | instid1(VALU_DEP_3)
	v_cndmask_b32_e32 v77, 0, v77, vcc_lo
	v_cmp_eq_u32_e32 vcc_lo, 0, v58
	v_add_nc_u32_e32 v58, 0xffffff89, v58
	v_cndmask_b32_e64 v77, v77, 0x77, vcc_lo
	v_cndmask_b32_e32 v75, v78, v75, vcc_lo
	s_delay_alu instid0(VALU_DEP_3) | instskip(NEXT) | instid1(VALU_DEP_3)
	v_cndmask_b32_e64 v58, v58, 0xffffff8a, vcc_lo
	v_lshl_add_u32 v78, 0x100000, v77, -1
	s_delay_alu instid0(VALU_DEP_3) | instskip(SKIP_1) | instid1(VALU_DEP_4)
	v_lshrrev_b32_e32 v79, v77, v75
	v_lshlrev_b32_e64 v89, v77, 0x80000
	v_add_nc_u32_e32 v77, v77, v58
	s_delay_alu instid0(VALU_DEP_4) | instskip(NEXT) | instid1(VALU_DEP_4)
	v_and_b32_e32 v75, v78, v75
	v_bfe_u32 v88, v79, 20, 1
	s_delay_alu instid0(VALU_DEP_2) | instskip(NEXT) | instid1(VALU_DEP_2)
	v_cmp_eq_u32_e64 s13, v75, v89
	v_add_nc_u32_e32 v78, -1, v88
	s_delay_alu instid0(VALU_DEP_1) | instskip(SKIP_2) | instid1(VALU_DEP_2)
	v_cndmask_b32_e64 v75, 0, v78, s13
	v_lshrrev_b32_e32 v78, 23, v79
	s_mov_b32 s13, exec_lo
	v_add_nc_u32_e32 v75, v75, v79
	s_delay_alu instid0(VALU_DEP_2) | instskip(NEXT) | instid1(VALU_DEP_2)
	v_xor_b32_e32 v78, 1, v78
	v_and_b32_e32 v58, 0xfffff, v75
	s_delay_alu instid0(VALU_DEP_1) | instskip(NEXT) | instid1(VALU_DEP_3)
	v_add_nc_u32_e32 v75, v58, v79
                                        ; implicit-def: $vgpr58
	v_cmpx_ne_u32_e64 v77, v78
	s_xor_b32 s13, exec_lo, s13
; %bb.14875:                            ;   in Loop: Header=BB6_14474 Depth=3
	s_delay_alu instid0(VALU_DEP_2) | instskip(SKIP_2) | instid1(VALU_DEP_2)
	v_cmp_lt_u32_e32 vcc_lo, 0xffffff, v75
	v_sub_nc_u32_e32 v58, v77, v78
	v_cndmask_b32_e64 v77, 0, 1, vcc_lo
	v_add_co_ci_u32_e32 v58, vcc_lo, 0, v58, vcc_lo
	s_delay_alu instid0(VALU_DEP_2)
	v_lshrrev_b32_e32 v75, v77, v75
; %bb.14876:                            ;   in Loop: Header=BB6_14474 Depth=3
	s_and_not1_saveexec_b32 s13, s13
; %bb.14877:                            ;   in Loop: Header=BB6_14474 Depth=3
	s_delay_alu instid0(VALU_DEP_1)
	v_bfe_u32 v58, v75, 23, 1
; %bb.14878:                            ;   in Loop: Header=BB6_14474 Depth=3
	s_or_b32 exec_lo, exec_lo, s13
	v_lshrrev_b32_e32 v75, 20, v75
	s_delay_alu instid0(VALU_DEP_2) | instskip(SKIP_2) | instid1(VALU_DEP_2)
	v_cmp_gt_i32_e32 vcc_lo, 16, v58
	v_lshrrev_b32_e32 v76, 24, v76
	v_min_i32_e32 v77, 15, v58
	v_dual_cndmask_b32 v75, 7, v75 :: v_dual_and_b32 v76, 0x80, v76
	s_delay_alu instid0(VALU_DEP_1) | instskip(SKIP_1) | instid1(VALU_DEP_2)
	v_or_b32_e32 v58, v58, v75
	v_and_b32_e32 v78, 7, v75
	v_cmp_ne_u32_e32 vcc_lo, 0, v58
	v_lshlrev_b32_e32 v77, 3, v77
	s_delay_alu instid0(VALU_DEP_1) | instskip(NEXT) | instid1(VALU_DEP_1)
	v_or3_b32 v75, v77, v76, v78
	v_cndmask_b32_e32 v58, 0, v75, vcc_lo
.LBB6_14879:                            ;   in Loop: Header=BB6_14474 Depth=3
	s_or_b32 exec_lo, exec_lo, s34
.LBB6_14880:                            ;   in Loop: Header=BB6_14474 Depth=3
	s_delay_alu instid0(SALU_CYCLE_1) | instskip(NEXT) | instid1(SALU_CYCLE_1)
	s_or_b32 exec_lo, exec_lo, s31
	s_and_not1_b32 vcc_lo, exec_lo, s16
	s_cbranch_vccnz .LBB6_14890
; %bb.14881:                            ;   in Loop: Header=BB6_14474 Depth=3
	v_and_b32_e32 v76, 0xff, v74
	s_mov_b32 s13, 0
	s_mov_b32 s34, exec_lo
                                        ; implicit-def: $sgpr31
	s_delay_alu instid0(VALU_DEP_1)
	v_cmpx_lt_i16_e32 0x7f, v76
	s_xor_b32 s34, exec_lo, s34
	s_cbranch_execnz .LBB6_15624
; %bb.14882:                            ;   in Loop: Header=BB6_14474 Depth=3
	s_or_saveexec_b32 s34, s34
	v_mov_b32_e32 v75, s31
	s_xor_b32 exec_lo, exec_lo, s34
	s_cbranch_execnz .LBB6_15627
.LBB6_14883:                            ;   in Loop: Header=BB6_14474 Depth=3
	s_or_b32 exec_lo, exec_lo, s34
	s_and_saveexec_b32 s31, s13
	s_cbranch_execz .LBB6_14885
.LBB6_14884:                            ;   in Loop: Header=BB6_14474 Depth=3
	v_lshrrev_b16 v78, 3, v74
	v_lshlrev_b32_e32 v79, 24, v74
	s_delay_alu instid0(VALU_DEP_2) | instskip(NEXT) | instid1(VALU_DEP_1)
	v_and_b32_e32 v78, 15, v78
	v_cmp_eq_u32_e32 vcc_lo, 0, v78
	v_and_b32_e32 v75, 7, v74
	s_delay_alu instid0(VALU_DEP_1) | instskip(NEXT) | instid1(VALU_DEP_1)
	v_clz_i32_u32_e32 v76, v75
	v_min_u32_e32 v76, 32, v76
	s_delay_alu instid0(VALU_DEP_1) | instskip(SKIP_1) | instid1(VALU_DEP_1)
	v_subrev_nc_u32_e32 v77, 28, v76
	v_sub_nc_u32_e32 v76, 29, v76
	v_dual_cndmask_b32 v76, v78, v76 :: v_dual_lshlrev_b32 v77, v77, v74
	s_delay_alu instid0(VALU_DEP_1) | instskip(NEXT) | instid1(VALU_DEP_2)
	v_and_b32_e32 v77, 7, v77
	v_lshl_add_u32 v76, v76, 23, 0x3b800000
	s_delay_alu instid0(VALU_DEP_2) | instskip(SKIP_1) | instid1(VALU_DEP_2)
	v_cndmask_b32_e32 v75, v75, v77, vcc_lo
	v_and_b32_e32 v77, 0x80000000, v79
	v_lshlrev_b32_e32 v75, 20, v75
	s_delay_alu instid0(VALU_DEP_1)
	v_or3_b32 v75, v77, v76, v75
.LBB6_14885:                            ;   in Loop: Header=BB6_14474 Depth=3
	s_or_b32 exec_lo, exec_lo, s31
	s_waitcnt vmcnt(17) lgkmcnt(17)
	v_and_b32_e32 v77, 0xff, v61
	s_mov_b32 s13, 0
	s_mov_b32 s34, exec_lo
                                        ; implicit-def: $sgpr31
	s_delay_alu instid0(VALU_DEP_1)
	v_cmpx_lt_i16_e32 0x7f, v77
	s_xor_b32 s34, exec_lo, s34
	s_cbranch_execnz .LBB6_15628
; %bb.14886:                            ;   in Loop: Header=BB6_14474 Depth=3
	s_or_saveexec_b32 s34, s34
	v_mov_b32_e32 v76, s31
	s_xor_b32 exec_lo, exec_lo, s34
	s_cbranch_execnz .LBB6_15631
.LBB6_14887:                            ;   in Loop: Header=BB6_14474 Depth=3
	s_or_b32 exec_lo, exec_lo, s34
	s_and_saveexec_b32 s31, s13
	s_cbranch_execz .LBB6_14889
.LBB6_14888:                            ;   in Loop: Header=BB6_14474 Depth=3
	v_and_b32_e32 v76, 7, v61
	v_lshrrev_b16 v79, 3, v61
	v_lshlrev_b32_e32 v88, 24, v61
	s_delay_alu instid0(VALU_DEP_3) | instskip(NEXT) | instid1(VALU_DEP_1)
	v_clz_i32_u32_e32 v77, v76
	v_min_u32_e32 v77, 32, v77
	s_delay_alu instid0(VALU_DEP_1) | instskip(SKIP_1) | instid1(VALU_DEP_2)
	v_subrev_nc_u32_e32 v78, 28, v77
	v_sub_nc_u32_e32 v77, 29, v77
	v_lshlrev_b32_e32 v78, v78, v61
	s_delay_alu instid0(VALU_DEP_1) | instskip(SKIP_1) | instid1(VALU_DEP_1)
	v_and_b32_e32 v78, 7, v78
	v_and_b32_e32 v79, 15, v79
	v_cmp_eq_u32_e32 vcc_lo, 0, v79
	s_delay_alu instid0(VALU_DEP_3) | instskip(SKIP_1) | instid1(VALU_DEP_2)
	v_dual_cndmask_b32 v76, v76, v78 :: v_dual_cndmask_b32 v77, v79, v77
	v_and_b32_e32 v78, 0x80000000, v88
	v_lshlrev_b32_e32 v76, 20, v76
	s_delay_alu instid0(VALU_DEP_3) | instskip(NEXT) | instid1(VALU_DEP_1)
	v_lshl_add_u32 v77, v77, 23, 0x3b800000
	v_or3_b32 v76, v78, v77, v76
.LBB6_14889:                            ;   in Loop: Header=BB6_14474 Depth=3
	s_or_b32 exec_lo, exec_lo, s31
	s_delay_alu instid0(VALU_DEP_1) | instskip(SKIP_1) | instid1(VALU_DEP_1)
	v_dual_max_f32 v76, v76, v76 :: v_dual_max_f32 v75, v75, v75
	s_mov_b32 s13, 0
	v_max_f32_e32 v75, v75, v76
	s_branch .LBB6_14891
.LBB6_14890:                            ;   in Loop: Header=BB6_14474 Depth=3
	s_mov_b32 s13, -1
                                        ; implicit-def: $vgpr75
.LBB6_14891:                            ;   in Loop: Header=BB6_14474 Depth=3
	s_delay_alu instid0(SALU_CYCLE_1)
	s_and_b32 vcc_lo, exec_lo, s13
	s_cbranch_vccz .LBB6_14901
; %bb.14892:                            ;   in Loop: Header=BB6_14474 Depth=3
	v_and_b32_e32 v76, 0xff, v74
	s_mov_b32 s13, 0
	s_mov_b32 s34, exec_lo
                                        ; implicit-def: $sgpr31
	s_delay_alu instid0(VALU_DEP_1)
	v_cmpx_lt_i16_e32 0x7f, v76
	s_xor_b32 s34, exec_lo, s34
	s_cbranch_execnz .LBB6_15632
; %bb.14893:                            ;   in Loop: Header=BB6_14474 Depth=3
	s_or_saveexec_b32 s34, s34
	v_mov_b32_e32 v75, s31
	s_xor_b32 exec_lo, exec_lo, s34
	s_cbranch_execnz .LBB6_15635
.LBB6_14894:                            ;   in Loop: Header=BB6_14474 Depth=3
	s_or_b32 exec_lo, exec_lo, s34
	s_and_saveexec_b32 s31, s13
	s_cbranch_execz .LBB6_14896
.LBB6_14895:                            ;   in Loop: Header=BB6_14474 Depth=3
	v_lshrrev_b16 v78, 3, v74
	s_delay_alu instid0(VALU_DEP_1) | instskip(NEXT) | instid1(VALU_DEP_1)
	v_and_b32_e32 v78, 15, v78
	v_cmp_eq_u32_e32 vcc_lo, 0, v78
	v_and_b32_e32 v75, 7, v74
	s_delay_alu instid0(VALU_DEP_1) | instskip(NEXT) | instid1(VALU_DEP_1)
	v_clz_i32_u32_e32 v76, v75
	v_min_u32_e32 v76, 32, v76
	s_delay_alu instid0(VALU_DEP_1) | instskip(SKIP_1) | instid1(VALU_DEP_1)
	v_subrev_nc_u32_e32 v77, 28, v76
	v_sub_nc_u32_e32 v76, 29, v76
	v_dual_cndmask_b32 v76, v78, v76 :: v_dual_lshlrev_b32 v77, v77, v74
	v_lshlrev_b32_e32 v74, 24, v74
	s_delay_alu instid0(VALU_DEP_2) | instskip(NEXT) | instid1(VALU_DEP_3)
	v_and_b32_e32 v77, 7, v77
	v_lshl_add_u32 v76, v76, 23, 0x3b800000
	s_delay_alu instid0(VALU_DEP_2) | instskip(NEXT) | instid1(VALU_DEP_1)
	v_dual_cndmask_b32 v75, v75, v77 :: v_dual_and_b32 v74, 0x80000000, v74
	v_lshlrev_b32_e32 v75, 20, v75
	s_delay_alu instid0(VALU_DEP_1)
	v_or3_b32 v75, v74, v76, v75
.LBB6_14896:                            ;   in Loop: Header=BB6_14474 Depth=3
	s_or_b32 exec_lo, exec_lo, s31
	s_waitcnt vmcnt(17) lgkmcnt(17)
	v_and_b32_e32 v76, 0xff, v61
	s_mov_b32 s13, 0
	s_mov_b32 s34, exec_lo
                                        ; implicit-def: $sgpr31
	s_delay_alu instid0(VALU_DEP_1)
	v_cmpx_lt_i16_e32 0x7f, v76
	s_xor_b32 s34, exec_lo, s34
	s_cbranch_execnz .LBB6_15636
; %bb.14897:                            ;   in Loop: Header=BB6_14474 Depth=3
	s_or_saveexec_b32 s34, s34
	v_mov_b32_e32 v74, s31
	s_xor_b32 exec_lo, exec_lo, s34
	s_cbranch_execnz .LBB6_15639
.LBB6_14898:                            ;   in Loop: Header=BB6_14474 Depth=3
	s_or_b32 exec_lo, exec_lo, s34
	s_and_saveexec_b32 s31, s13
	s_cbranch_execz .LBB6_14900
.LBB6_14899:                            ;   in Loop: Header=BB6_14474 Depth=3
	v_and_b32_e32 v74, 7, v61
	v_lshrrev_b16 v78, 3, v61
	s_delay_alu instid0(VALU_DEP_2) | instskip(NEXT) | instid1(VALU_DEP_2)
	v_clz_i32_u32_e32 v76, v74
	v_and_b32_e32 v78, 15, v78
	s_delay_alu instid0(VALU_DEP_2) | instskip(NEXT) | instid1(VALU_DEP_2)
	v_min_u32_e32 v76, 32, v76
	v_cmp_eq_u32_e32 vcc_lo, 0, v78
	s_delay_alu instid0(VALU_DEP_2) | instskip(SKIP_1) | instid1(VALU_DEP_1)
	v_subrev_nc_u32_e32 v77, 28, v76
	v_sub_nc_u32_e32 v76, 29, v76
	v_dual_cndmask_b32 v76, v78, v76 :: v_dual_lshlrev_b32 v77, v77, v61
	v_lshlrev_b32_e32 v61, 24, v61
	s_delay_alu instid0(VALU_DEP_2) | instskip(NEXT) | instid1(VALU_DEP_3)
	v_and_b32_e32 v77, 7, v77
	v_lshl_add_u32 v76, v76, 23, 0x3b800000
	s_delay_alu instid0(VALU_DEP_3) | instskip(NEXT) | instid1(VALU_DEP_3)
	v_and_b32_e32 v61, 0x80000000, v61
	v_cndmask_b32_e32 v74, v74, v77, vcc_lo
	s_delay_alu instid0(VALU_DEP_1) | instskip(NEXT) | instid1(VALU_DEP_1)
	v_lshlrev_b32_e32 v74, 20, v74
	v_or3_b32 v74, v61, v76, v74
.LBB6_14900:                            ;   in Loop: Header=BB6_14474 Depth=3
	s_or_b32 exec_lo, exec_lo, s31
	s_delay_alu instid0(VALU_DEP_1) | instskip(NEXT) | instid1(VALU_DEP_1)
	v_dual_max_f32 v61, v74, v74 :: v_dual_max_f32 v74, v75, v75
	v_min_f32_e32 v75, v74, v61
.LBB6_14901:                            ;   in Loop: Header=BB6_14474 Depth=3
	s_waitcnt vmcnt(17) lgkmcnt(17)
	s_delay_alu instid0(VALU_DEP_1) | instskip(NEXT) | instid1(VALU_DEP_1)
	v_and_b32_e32 v61, 0x7f800000, v75
	v_cmp_ne_u32_e32 vcc_lo, 0x7f800000, v61
	v_mov_b32_e32 v61, 0x80
	s_and_saveexec_b32 s31, vcc_lo
	s_cbranch_execz .LBB6_14909
; %bb.14902:                            ;   in Loop: Header=BB6_14474 Depth=3
	v_mov_b32_e32 v61, 0
	s_mov_b32 s34, exec_lo
	v_cmpx_ne_u32_e32 0, v75
	s_cbranch_execz .LBB6_14908
; %bb.14903:                            ;   in Loop: Header=BB6_14474 Depth=3
	v_bfe_u32 v61, v75, 23, 8
	v_and_b32_e32 v74, 0x7fffff, v75
	s_delay_alu instid0(VALU_DEP_2) | instskip(SKIP_1) | instid1(VALU_DEP_3)
	v_sub_nc_u32_e32 v76, 0x78, v61
	v_cmp_gt_u32_e32 vcc_lo, 0x79, v61
	v_or_b32_e32 v77, 0x800000, v74
	s_delay_alu instid0(VALU_DEP_3) | instskip(SKIP_2) | instid1(VALU_DEP_3)
	v_cndmask_b32_e32 v76, 0, v76, vcc_lo
	v_cmp_eq_u32_e32 vcc_lo, 0, v61
	v_add_nc_u32_e32 v61, 0xffffff89, v61
	v_cndmask_b32_e64 v76, v76, 0x77, vcc_lo
	v_cndmask_b32_e32 v74, v77, v74, vcc_lo
	s_delay_alu instid0(VALU_DEP_3) | instskip(NEXT) | instid1(VALU_DEP_3)
	v_cndmask_b32_e64 v61, v61, 0xffffff8a, vcc_lo
	v_lshl_add_u32 v77, 0x100000, v76, -1
	s_delay_alu instid0(VALU_DEP_3) | instskip(SKIP_1) | instid1(VALU_DEP_4)
	v_lshrrev_b32_e32 v78, v76, v74
	v_lshlrev_b32_e64 v88, v76, 0x80000
	v_add_nc_u32_e32 v76, v76, v61
	s_delay_alu instid0(VALU_DEP_4) | instskip(NEXT) | instid1(VALU_DEP_4)
	v_and_b32_e32 v74, v77, v74
	v_bfe_u32 v79, v78, 20, 1
	s_delay_alu instid0(VALU_DEP_2) | instskip(NEXT) | instid1(VALU_DEP_2)
	v_cmp_eq_u32_e64 s13, v74, v88
	v_add_nc_u32_e32 v77, -1, v79
	s_delay_alu instid0(VALU_DEP_1) | instskip(SKIP_2) | instid1(VALU_DEP_2)
	v_cndmask_b32_e64 v74, 0, v77, s13
	v_lshrrev_b32_e32 v77, 23, v78
	s_mov_b32 s13, exec_lo
	v_add_nc_u32_e32 v74, v74, v78
	s_delay_alu instid0(VALU_DEP_2) | instskip(NEXT) | instid1(VALU_DEP_2)
	v_xor_b32_e32 v77, 1, v77
	v_and_b32_e32 v61, 0xfffff, v74
	s_delay_alu instid0(VALU_DEP_1) | instskip(NEXT) | instid1(VALU_DEP_3)
	v_add_nc_u32_e32 v74, v61, v78
                                        ; implicit-def: $vgpr61
	v_cmpx_ne_u32_e64 v76, v77
	s_xor_b32 s13, exec_lo, s13
; %bb.14904:                            ;   in Loop: Header=BB6_14474 Depth=3
	s_delay_alu instid0(VALU_DEP_2) | instskip(SKIP_2) | instid1(VALU_DEP_2)
	v_cmp_lt_u32_e32 vcc_lo, 0xffffff, v74
	v_sub_nc_u32_e32 v61, v76, v77
	v_cndmask_b32_e64 v76, 0, 1, vcc_lo
	v_add_co_ci_u32_e32 v61, vcc_lo, 0, v61, vcc_lo
	s_delay_alu instid0(VALU_DEP_2)
	v_lshrrev_b32_e32 v74, v76, v74
; %bb.14905:                            ;   in Loop: Header=BB6_14474 Depth=3
	s_and_not1_saveexec_b32 s13, s13
; %bb.14906:                            ;   in Loop: Header=BB6_14474 Depth=3
	s_delay_alu instid0(VALU_DEP_1)
	v_bfe_u32 v61, v74, 23, 1
; %bb.14907:                            ;   in Loop: Header=BB6_14474 Depth=3
	s_or_b32 exec_lo, exec_lo, s13
	v_lshrrev_b32_e32 v74, 20, v74
	s_delay_alu instid0(VALU_DEP_2) | instskip(SKIP_2) | instid1(VALU_DEP_2)
	v_cmp_gt_i32_e32 vcc_lo, 16, v61
	v_lshrrev_b32_e32 v75, 24, v75
	v_min_i32_e32 v76, 15, v61
	v_dual_cndmask_b32 v74, 7, v74 :: v_dual_and_b32 v75, 0x80, v75
	s_delay_alu instid0(VALU_DEP_1) | instskip(SKIP_1) | instid1(VALU_DEP_2)
	v_or_b32_e32 v61, v61, v74
	v_and_b32_e32 v77, 7, v74
	v_cmp_ne_u32_e32 vcc_lo, 0, v61
	v_lshlrev_b32_e32 v76, 3, v76
	s_delay_alu instid0(VALU_DEP_1) | instskip(NEXT) | instid1(VALU_DEP_1)
	v_or3_b32 v74, v76, v75, v77
	v_cndmask_b32_e32 v61, 0, v74, vcc_lo
.LBB6_14908:                            ;   in Loop: Header=BB6_14474 Depth=3
	s_or_b32 exec_lo, exec_lo, s34
.LBB6_14909:                            ;   in Loop: Header=BB6_14474 Depth=3
	s_delay_alu instid0(SALU_CYCLE_1) | instskip(NEXT) | instid1(SALU_CYCLE_1)
	s_or_b32 exec_lo, exec_lo, s31
	s_and_not1_b32 vcc_lo, exec_lo, s16
	s_cbranch_vccnz .LBB6_14919
; %bb.14910:                            ;   in Loop: Header=BB6_14474 Depth=3
	v_and_b32_e32 v75, 0xff, v73
	s_mov_b32 s13, 0
	s_mov_b32 s34, exec_lo
                                        ; implicit-def: $sgpr31
	s_delay_alu instid0(VALU_DEP_1)
	v_cmpx_lt_i16_e32 0x7f, v75
	s_xor_b32 s34, exec_lo, s34
	s_cbranch_execnz .LBB6_15640
; %bb.14911:                            ;   in Loop: Header=BB6_14474 Depth=3
	s_or_saveexec_b32 s34, s34
	v_mov_b32_e32 v74, s31
	s_xor_b32 exec_lo, exec_lo, s34
	s_cbranch_execnz .LBB6_15643
.LBB6_14912:                            ;   in Loop: Header=BB6_14474 Depth=3
	s_or_b32 exec_lo, exec_lo, s34
	s_and_saveexec_b32 s31, s13
	s_cbranch_execz .LBB6_14914
.LBB6_14913:                            ;   in Loop: Header=BB6_14474 Depth=3
	v_lshrrev_b16 v77, 3, v73
	v_lshlrev_b32_e32 v78, 24, v73
	s_delay_alu instid0(VALU_DEP_2) | instskip(NEXT) | instid1(VALU_DEP_1)
	v_and_b32_e32 v77, 15, v77
	v_cmp_eq_u32_e32 vcc_lo, 0, v77
	v_and_b32_e32 v74, 7, v73
	s_delay_alu instid0(VALU_DEP_1) | instskip(NEXT) | instid1(VALU_DEP_1)
	v_clz_i32_u32_e32 v75, v74
	v_min_u32_e32 v75, 32, v75
	s_delay_alu instid0(VALU_DEP_1) | instskip(SKIP_1) | instid1(VALU_DEP_1)
	v_subrev_nc_u32_e32 v76, 28, v75
	v_sub_nc_u32_e32 v75, 29, v75
	v_dual_cndmask_b32 v75, v77, v75 :: v_dual_lshlrev_b32 v76, v76, v73
	s_delay_alu instid0(VALU_DEP_1) | instskip(NEXT) | instid1(VALU_DEP_2)
	v_and_b32_e32 v76, 7, v76
	v_lshl_add_u32 v75, v75, 23, 0x3b800000
	s_delay_alu instid0(VALU_DEP_2) | instskip(SKIP_1) | instid1(VALU_DEP_2)
	v_cndmask_b32_e32 v74, v74, v76, vcc_lo
	v_and_b32_e32 v76, 0x80000000, v78
	v_lshlrev_b32_e32 v74, 20, v74
	s_delay_alu instid0(VALU_DEP_1)
	v_or3_b32 v74, v76, v75, v74
.LBB6_14914:                            ;   in Loop: Header=BB6_14474 Depth=3
	s_or_b32 exec_lo, exec_lo, s31
	s_waitcnt vmcnt(16) lgkmcnt(16)
	v_and_b32_e32 v76, 0xff, v72
	s_mov_b32 s13, 0
	s_mov_b32 s34, exec_lo
                                        ; implicit-def: $sgpr31
	s_delay_alu instid0(VALU_DEP_1)
	v_cmpx_lt_i16_e32 0x7f, v76
	s_xor_b32 s34, exec_lo, s34
	s_cbranch_execnz .LBB6_15644
; %bb.14915:                            ;   in Loop: Header=BB6_14474 Depth=3
	s_or_saveexec_b32 s34, s34
	v_mov_b32_e32 v75, s31
	s_xor_b32 exec_lo, exec_lo, s34
	s_cbranch_execnz .LBB6_15647
.LBB6_14916:                            ;   in Loop: Header=BB6_14474 Depth=3
	s_or_b32 exec_lo, exec_lo, s34
	s_and_saveexec_b32 s31, s13
	s_cbranch_execz .LBB6_14918
.LBB6_14917:                            ;   in Loop: Header=BB6_14474 Depth=3
	v_and_b32_e32 v75, 7, v72
	v_lshrrev_b16 v78, 3, v72
	v_lshlrev_b32_e32 v79, 24, v72
	s_delay_alu instid0(VALU_DEP_3) | instskip(NEXT) | instid1(VALU_DEP_1)
	v_clz_i32_u32_e32 v76, v75
	v_min_u32_e32 v76, 32, v76
	s_delay_alu instid0(VALU_DEP_1) | instskip(SKIP_1) | instid1(VALU_DEP_2)
	v_subrev_nc_u32_e32 v77, 28, v76
	v_sub_nc_u32_e32 v76, 29, v76
	v_lshlrev_b32_e32 v77, v77, v72
	s_delay_alu instid0(VALU_DEP_1) | instskip(SKIP_1) | instid1(VALU_DEP_1)
	v_and_b32_e32 v77, 7, v77
	v_and_b32_e32 v78, 15, v78
	v_cmp_eq_u32_e32 vcc_lo, 0, v78
	s_delay_alu instid0(VALU_DEP_3) | instskip(SKIP_1) | instid1(VALU_DEP_2)
	v_dual_cndmask_b32 v75, v75, v77 :: v_dual_cndmask_b32 v76, v78, v76
	v_and_b32_e32 v77, 0x80000000, v79
	v_lshlrev_b32_e32 v75, 20, v75
	s_delay_alu instid0(VALU_DEP_3) | instskip(NEXT) | instid1(VALU_DEP_1)
	v_lshl_add_u32 v76, v76, 23, 0x3b800000
	v_or3_b32 v75, v77, v76, v75
.LBB6_14918:                            ;   in Loop: Header=BB6_14474 Depth=3
	s_or_b32 exec_lo, exec_lo, s31
	s_delay_alu instid0(VALU_DEP_1) | instskip(SKIP_1) | instid1(VALU_DEP_1)
	v_dual_max_f32 v75, v75, v75 :: v_dual_max_f32 v74, v74, v74
	s_mov_b32 s13, 0
	v_max_f32_e32 v74, v74, v75
	s_branch .LBB6_14920
.LBB6_14919:                            ;   in Loop: Header=BB6_14474 Depth=3
	s_mov_b32 s13, -1
                                        ; implicit-def: $vgpr74
.LBB6_14920:                            ;   in Loop: Header=BB6_14474 Depth=3
	s_delay_alu instid0(SALU_CYCLE_1)
	s_and_b32 vcc_lo, exec_lo, s13
	s_cbranch_vccz .LBB6_14930
; %bb.14921:                            ;   in Loop: Header=BB6_14474 Depth=3
	v_and_b32_e32 v75, 0xff, v73
	s_mov_b32 s13, 0
	s_mov_b32 s34, exec_lo
                                        ; implicit-def: $sgpr31
	s_delay_alu instid0(VALU_DEP_1)
	v_cmpx_lt_i16_e32 0x7f, v75
	s_xor_b32 s34, exec_lo, s34
	s_cbranch_execnz .LBB6_15648
; %bb.14922:                            ;   in Loop: Header=BB6_14474 Depth=3
	s_or_saveexec_b32 s34, s34
	v_mov_b32_e32 v74, s31
	s_xor_b32 exec_lo, exec_lo, s34
	s_cbranch_execnz .LBB6_15651
.LBB6_14923:                            ;   in Loop: Header=BB6_14474 Depth=3
	s_or_b32 exec_lo, exec_lo, s34
	s_and_saveexec_b32 s31, s13
	s_cbranch_execz .LBB6_14925
.LBB6_14924:                            ;   in Loop: Header=BB6_14474 Depth=3
	v_lshrrev_b16 v77, 3, v73
	s_delay_alu instid0(VALU_DEP_1) | instskip(NEXT) | instid1(VALU_DEP_1)
	v_and_b32_e32 v77, 15, v77
	v_cmp_eq_u32_e32 vcc_lo, 0, v77
	v_and_b32_e32 v74, 7, v73
	s_delay_alu instid0(VALU_DEP_1) | instskip(NEXT) | instid1(VALU_DEP_1)
	v_clz_i32_u32_e32 v75, v74
	v_min_u32_e32 v75, 32, v75
	s_delay_alu instid0(VALU_DEP_1) | instskip(SKIP_1) | instid1(VALU_DEP_1)
	v_subrev_nc_u32_e32 v76, 28, v75
	v_sub_nc_u32_e32 v75, 29, v75
	v_dual_cndmask_b32 v75, v77, v75 :: v_dual_lshlrev_b32 v76, v76, v73
	v_lshlrev_b32_e32 v73, 24, v73
	s_delay_alu instid0(VALU_DEP_2) | instskip(NEXT) | instid1(VALU_DEP_3)
	v_and_b32_e32 v76, 7, v76
	v_lshl_add_u32 v75, v75, 23, 0x3b800000
	s_delay_alu instid0(VALU_DEP_2) | instskip(NEXT) | instid1(VALU_DEP_1)
	v_dual_cndmask_b32 v74, v74, v76 :: v_dual_and_b32 v73, 0x80000000, v73
	v_lshlrev_b32_e32 v74, 20, v74
	s_delay_alu instid0(VALU_DEP_1)
	v_or3_b32 v74, v73, v75, v74
.LBB6_14925:                            ;   in Loop: Header=BB6_14474 Depth=3
	s_or_b32 exec_lo, exec_lo, s31
	s_waitcnt vmcnt(16) lgkmcnt(16)
	v_and_b32_e32 v75, 0xff, v72
	s_mov_b32 s13, 0
	s_mov_b32 s34, exec_lo
                                        ; implicit-def: $sgpr31
	s_delay_alu instid0(VALU_DEP_1)
	v_cmpx_lt_i16_e32 0x7f, v75
	s_xor_b32 s34, exec_lo, s34
	s_cbranch_execnz .LBB6_15652
; %bb.14926:                            ;   in Loop: Header=BB6_14474 Depth=3
	s_or_saveexec_b32 s34, s34
	v_mov_b32_e32 v73, s31
	s_xor_b32 exec_lo, exec_lo, s34
	s_cbranch_execnz .LBB6_15655
.LBB6_14927:                            ;   in Loop: Header=BB6_14474 Depth=3
	s_or_b32 exec_lo, exec_lo, s34
	s_and_saveexec_b32 s31, s13
	s_cbranch_execz .LBB6_14929
.LBB6_14928:                            ;   in Loop: Header=BB6_14474 Depth=3
	v_and_b32_e32 v73, 7, v72
	v_lshrrev_b16 v77, 3, v72
	s_delay_alu instid0(VALU_DEP_2) | instskip(NEXT) | instid1(VALU_DEP_2)
	v_clz_i32_u32_e32 v75, v73
	v_and_b32_e32 v77, 15, v77
	s_delay_alu instid0(VALU_DEP_2) | instskip(NEXT) | instid1(VALU_DEP_2)
	v_min_u32_e32 v75, 32, v75
	v_cmp_eq_u32_e32 vcc_lo, 0, v77
	s_delay_alu instid0(VALU_DEP_2) | instskip(SKIP_1) | instid1(VALU_DEP_1)
	v_subrev_nc_u32_e32 v76, 28, v75
	v_sub_nc_u32_e32 v75, 29, v75
	v_dual_cndmask_b32 v75, v77, v75 :: v_dual_lshlrev_b32 v76, v76, v72
	v_lshlrev_b32_e32 v72, 24, v72
	s_delay_alu instid0(VALU_DEP_2) | instskip(NEXT) | instid1(VALU_DEP_3)
	v_and_b32_e32 v76, 7, v76
	v_lshl_add_u32 v75, v75, 23, 0x3b800000
	s_delay_alu instid0(VALU_DEP_3) | instskip(NEXT) | instid1(VALU_DEP_3)
	v_and_b32_e32 v72, 0x80000000, v72
	v_cndmask_b32_e32 v73, v73, v76, vcc_lo
	s_delay_alu instid0(VALU_DEP_1) | instskip(NEXT) | instid1(VALU_DEP_1)
	v_lshlrev_b32_e32 v73, 20, v73
	v_or3_b32 v73, v72, v75, v73
.LBB6_14929:                            ;   in Loop: Header=BB6_14474 Depth=3
	s_or_b32 exec_lo, exec_lo, s31
	s_delay_alu instid0(VALU_DEP_1) | instskip(NEXT) | instid1(VALU_DEP_1)
	v_dual_max_f32 v72, v73, v73 :: v_dual_max_f32 v73, v74, v74
	v_min_f32_e32 v74, v73, v72
.LBB6_14930:                            ;   in Loop: Header=BB6_14474 Depth=3
	s_waitcnt vmcnt(16) lgkmcnt(16)
	s_delay_alu instid0(VALU_DEP_1) | instskip(NEXT) | instid1(VALU_DEP_1)
	v_and_b32_e32 v72, 0x7f800000, v74
	v_cmp_ne_u32_e32 vcc_lo, 0x7f800000, v72
	v_mov_b32_e32 v72, 0x80
	s_and_saveexec_b32 s31, vcc_lo
	s_cbranch_execz .LBB6_14938
; %bb.14931:                            ;   in Loop: Header=BB6_14474 Depth=3
	v_mov_b32_e32 v72, 0
	s_mov_b32 s34, exec_lo
	v_cmpx_ne_u32_e32 0, v74
	s_cbranch_execz .LBB6_14937
; %bb.14932:                            ;   in Loop: Header=BB6_14474 Depth=3
	v_bfe_u32 v72, v74, 23, 8
	v_and_b32_e32 v73, 0x7fffff, v74
	s_delay_alu instid0(VALU_DEP_2) | instskip(SKIP_1) | instid1(VALU_DEP_3)
	v_sub_nc_u32_e32 v75, 0x78, v72
	v_cmp_gt_u32_e32 vcc_lo, 0x79, v72
	v_or_b32_e32 v76, 0x800000, v73
	s_delay_alu instid0(VALU_DEP_3) | instskip(SKIP_2) | instid1(VALU_DEP_3)
	v_cndmask_b32_e32 v75, 0, v75, vcc_lo
	v_cmp_eq_u32_e32 vcc_lo, 0, v72
	v_add_nc_u32_e32 v72, 0xffffff89, v72
	v_cndmask_b32_e64 v75, v75, 0x77, vcc_lo
	v_cndmask_b32_e32 v73, v76, v73, vcc_lo
	s_delay_alu instid0(VALU_DEP_3) | instskip(NEXT) | instid1(VALU_DEP_3)
	v_cndmask_b32_e64 v72, v72, 0xffffff8a, vcc_lo
	v_lshl_add_u32 v76, 0x100000, v75, -1
	s_delay_alu instid0(VALU_DEP_3) | instskip(SKIP_1) | instid1(VALU_DEP_4)
	v_lshrrev_b32_e32 v77, v75, v73
	v_lshlrev_b32_e64 v79, v75, 0x80000
	v_add_nc_u32_e32 v75, v75, v72
	s_delay_alu instid0(VALU_DEP_4) | instskip(NEXT) | instid1(VALU_DEP_4)
	v_and_b32_e32 v73, v76, v73
	v_bfe_u32 v78, v77, 20, 1
	s_delay_alu instid0(VALU_DEP_2) | instskip(NEXT) | instid1(VALU_DEP_2)
	v_cmp_eq_u32_e64 s13, v73, v79
	v_add_nc_u32_e32 v76, -1, v78
	s_delay_alu instid0(VALU_DEP_1) | instskip(SKIP_2) | instid1(VALU_DEP_2)
	v_cndmask_b32_e64 v73, 0, v76, s13
	v_lshrrev_b32_e32 v76, 23, v77
	s_mov_b32 s13, exec_lo
	v_add_nc_u32_e32 v73, v73, v77
	s_delay_alu instid0(VALU_DEP_2) | instskip(NEXT) | instid1(VALU_DEP_2)
	v_xor_b32_e32 v76, 1, v76
	v_and_b32_e32 v72, 0xfffff, v73
	s_delay_alu instid0(VALU_DEP_1) | instskip(NEXT) | instid1(VALU_DEP_3)
	v_add_nc_u32_e32 v73, v72, v77
                                        ; implicit-def: $vgpr72
	v_cmpx_ne_u32_e64 v75, v76
	s_xor_b32 s13, exec_lo, s13
; %bb.14933:                            ;   in Loop: Header=BB6_14474 Depth=3
	s_delay_alu instid0(VALU_DEP_2) | instskip(SKIP_2) | instid1(VALU_DEP_2)
	v_cmp_lt_u32_e32 vcc_lo, 0xffffff, v73
	v_sub_nc_u32_e32 v72, v75, v76
	v_cndmask_b32_e64 v75, 0, 1, vcc_lo
	v_add_co_ci_u32_e32 v72, vcc_lo, 0, v72, vcc_lo
	s_delay_alu instid0(VALU_DEP_2)
	v_lshrrev_b32_e32 v73, v75, v73
; %bb.14934:                            ;   in Loop: Header=BB6_14474 Depth=3
	s_and_not1_saveexec_b32 s13, s13
; %bb.14935:                            ;   in Loop: Header=BB6_14474 Depth=3
	s_delay_alu instid0(VALU_DEP_1)
	v_bfe_u32 v72, v73, 23, 1
; %bb.14936:                            ;   in Loop: Header=BB6_14474 Depth=3
	s_or_b32 exec_lo, exec_lo, s13
	v_lshrrev_b32_e32 v73, 20, v73
	s_delay_alu instid0(VALU_DEP_2) | instskip(SKIP_2) | instid1(VALU_DEP_2)
	v_cmp_gt_i32_e32 vcc_lo, 16, v72
	v_lshrrev_b32_e32 v74, 24, v74
	v_min_i32_e32 v75, 15, v72
	v_dual_cndmask_b32 v73, 7, v73 :: v_dual_and_b32 v74, 0x80, v74
	s_delay_alu instid0(VALU_DEP_1) | instskip(SKIP_1) | instid1(VALU_DEP_2)
	v_or_b32_e32 v72, v72, v73
	v_and_b32_e32 v76, 7, v73
	v_cmp_ne_u32_e32 vcc_lo, 0, v72
	v_lshlrev_b32_e32 v75, 3, v75
	s_delay_alu instid0(VALU_DEP_1) | instskip(NEXT) | instid1(VALU_DEP_1)
	v_or3_b32 v73, v75, v74, v76
	v_cndmask_b32_e32 v72, 0, v73, vcc_lo
.LBB6_14937:                            ;   in Loop: Header=BB6_14474 Depth=3
	s_or_b32 exec_lo, exec_lo, s34
.LBB6_14938:                            ;   in Loop: Header=BB6_14474 Depth=3
	s_delay_alu instid0(SALU_CYCLE_1) | instskip(NEXT) | instid1(SALU_CYCLE_1)
	s_or_b32 exec_lo, exec_lo, s31
	s_and_not1_b32 vcc_lo, exec_lo, s16
	s_cbranch_vccnz .LBB6_14948
; %bb.14939:                            ;   in Loop: Header=BB6_14474 Depth=3
	v_and_b32_e32 v74, 0xff, v63
	s_mov_b32 s13, 0
	s_mov_b32 s34, exec_lo
                                        ; implicit-def: $sgpr31
	s_delay_alu instid0(VALU_DEP_1)
	v_cmpx_lt_i16_e32 0x7f, v74
	s_xor_b32 s34, exec_lo, s34
	s_cbranch_execnz .LBB6_15656
; %bb.14940:                            ;   in Loop: Header=BB6_14474 Depth=3
	s_or_saveexec_b32 s34, s34
	v_mov_b32_e32 v73, s31
	s_xor_b32 exec_lo, exec_lo, s34
	s_cbranch_execnz .LBB6_15659
.LBB6_14941:                            ;   in Loop: Header=BB6_14474 Depth=3
	s_or_b32 exec_lo, exec_lo, s34
	s_and_saveexec_b32 s31, s13
	s_cbranch_execz .LBB6_14943
.LBB6_14942:                            ;   in Loop: Header=BB6_14474 Depth=3
	v_lshrrev_b16 v76, 3, v63
	v_lshlrev_b32_e32 v77, 24, v63
	s_delay_alu instid0(VALU_DEP_2) | instskip(NEXT) | instid1(VALU_DEP_1)
	v_and_b32_e32 v76, 15, v76
	v_cmp_eq_u32_e32 vcc_lo, 0, v76
	v_and_b32_e32 v73, 7, v63
	s_delay_alu instid0(VALU_DEP_1) | instskip(NEXT) | instid1(VALU_DEP_1)
	v_clz_i32_u32_e32 v74, v73
	v_min_u32_e32 v74, 32, v74
	s_delay_alu instid0(VALU_DEP_1) | instskip(SKIP_1) | instid1(VALU_DEP_1)
	v_subrev_nc_u32_e32 v75, 28, v74
	v_sub_nc_u32_e32 v74, 29, v74
	v_dual_cndmask_b32 v74, v76, v74 :: v_dual_lshlrev_b32 v75, v75, v63
	s_delay_alu instid0(VALU_DEP_1) | instskip(NEXT) | instid1(VALU_DEP_2)
	v_and_b32_e32 v75, 7, v75
	v_lshl_add_u32 v74, v74, 23, 0x3b800000
	s_delay_alu instid0(VALU_DEP_2) | instskip(SKIP_1) | instid1(VALU_DEP_2)
	v_cndmask_b32_e32 v73, v73, v75, vcc_lo
	v_and_b32_e32 v75, 0x80000000, v77
	v_lshlrev_b32_e32 v73, 20, v73
	s_delay_alu instid0(VALU_DEP_1)
	v_or3_b32 v73, v75, v74, v73
.LBB6_14943:                            ;   in Loop: Header=BB6_14474 Depth=3
	s_or_b32 exec_lo, exec_lo, s31
	s_waitcnt vmcnt(15) lgkmcnt(15)
	v_and_b32_e32 v75, 0xff, v62
	s_mov_b32 s13, 0
	s_mov_b32 s34, exec_lo
                                        ; implicit-def: $sgpr31
	s_delay_alu instid0(VALU_DEP_1)
	v_cmpx_lt_i16_e32 0x7f, v75
	s_xor_b32 s34, exec_lo, s34
	s_cbranch_execnz .LBB6_15660
; %bb.14944:                            ;   in Loop: Header=BB6_14474 Depth=3
	s_or_saveexec_b32 s34, s34
	v_mov_b32_e32 v74, s31
	s_xor_b32 exec_lo, exec_lo, s34
	s_cbranch_execnz .LBB6_15663
.LBB6_14945:                            ;   in Loop: Header=BB6_14474 Depth=3
	s_or_b32 exec_lo, exec_lo, s34
	s_and_saveexec_b32 s31, s13
	s_cbranch_execz .LBB6_14947
.LBB6_14946:                            ;   in Loop: Header=BB6_14474 Depth=3
	v_lshrrev_b16 v77, 3, v62
	v_lshlrev_b32_e32 v78, 24, v62
	s_delay_alu instid0(VALU_DEP_2) | instskip(NEXT) | instid1(VALU_DEP_1)
	v_and_b32_e32 v77, 15, v77
	v_cmp_eq_u32_e32 vcc_lo, 0, v77
	v_and_b32_e32 v74, 7, v62
	s_delay_alu instid0(VALU_DEP_1) | instskip(NEXT) | instid1(VALU_DEP_1)
	v_clz_i32_u32_e32 v75, v74
	v_min_u32_e32 v75, 32, v75
	s_delay_alu instid0(VALU_DEP_1) | instskip(SKIP_1) | instid1(VALU_DEP_1)
	v_subrev_nc_u32_e32 v76, 28, v75
	v_sub_nc_u32_e32 v75, 29, v75
	v_dual_cndmask_b32 v75, v77, v75 :: v_dual_lshlrev_b32 v76, v76, v62
	s_delay_alu instid0(VALU_DEP_1) | instskip(NEXT) | instid1(VALU_DEP_2)
	v_and_b32_e32 v76, 7, v76
	v_lshl_add_u32 v75, v75, 23, 0x3b800000
	s_delay_alu instid0(VALU_DEP_2) | instskip(SKIP_1) | instid1(VALU_DEP_2)
	v_cndmask_b32_e32 v74, v74, v76, vcc_lo
	v_and_b32_e32 v76, 0x80000000, v78
	v_lshlrev_b32_e32 v74, 20, v74
	s_delay_alu instid0(VALU_DEP_1)
	v_or3_b32 v74, v76, v75, v74
.LBB6_14947:                            ;   in Loop: Header=BB6_14474 Depth=3
	s_or_b32 exec_lo, exec_lo, s31
	s_delay_alu instid0(VALU_DEP_1) | instskip(SKIP_1) | instid1(VALU_DEP_1)
	v_dual_max_f32 v74, v74, v74 :: v_dual_max_f32 v73, v73, v73
	s_mov_b32 s13, 0
	v_max_f32_e32 v73, v73, v74
	s_branch .LBB6_14949
.LBB6_14948:                            ;   in Loop: Header=BB6_14474 Depth=3
	s_mov_b32 s13, -1
                                        ; implicit-def: $vgpr73
.LBB6_14949:                            ;   in Loop: Header=BB6_14474 Depth=3
	s_delay_alu instid0(SALU_CYCLE_1)
	s_and_b32 vcc_lo, exec_lo, s13
	s_cbranch_vccz .LBB6_14959
; %bb.14950:                            ;   in Loop: Header=BB6_14474 Depth=3
	v_and_b32_e32 v74, 0xff, v63
	s_mov_b32 s13, 0
	s_mov_b32 s34, exec_lo
                                        ; implicit-def: $sgpr31
	s_delay_alu instid0(VALU_DEP_1)
	v_cmpx_lt_i16_e32 0x7f, v74
	s_xor_b32 s34, exec_lo, s34
	s_cbranch_execnz .LBB6_15664
; %bb.14951:                            ;   in Loop: Header=BB6_14474 Depth=3
	s_or_saveexec_b32 s34, s34
	v_mov_b32_e32 v73, s31
	s_xor_b32 exec_lo, exec_lo, s34
	s_cbranch_execnz .LBB6_15667
.LBB6_14952:                            ;   in Loop: Header=BB6_14474 Depth=3
	s_or_b32 exec_lo, exec_lo, s34
	s_and_saveexec_b32 s31, s13
	s_cbranch_execz .LBB6_14954
.LBB6_14953:                            ;   in Loop: Header=BB6_14474 Depth=3
	v_lshrrev_b16 v76, 3, v63
	s_delay_alu instid0(VALU_DEP_1) | instskip(NEXT) | instid1(VALU_DEP_1)
	v_and_b32_e32 v76, 15, v76
	v_cmp_eq_u32_e32 vcc_lo, 0, v76
	v_and_b32_e32 v73, 7, v63
	s_delay_alu instid0(VALU_DEP_1) | instskip(NEXT) | instid1(VALU_DEP_1)
	v_clz_i32_u32_e32 v74, v73
	v_min_u32_e32 v74, 32, v74
	s_delay_alu instid0(VALU_DEP_1) | instskip(SKIP_1) | instid1(VALU_DEP_1)
	v_subrev_nc_u32_e32 v75, 28, v74
	v_sub_nc_u32_e32 v74, 29, v74
	v_dual_cndmask_b32 v74, v76, v74 :: v_dual_lshlrev_b32 v75, v75, v63
	v_lshlrev_b32_e32 v63, 24, v63
	s_delay_alu instid0(VALU_DEP_2) | instskip(NEXT) | instid1(VALU_DEP_3)
	v_and_b32_e32 v75, 7, v75
	v_lshl_add_u32 v74, v74, 23, 0x3b800000
	s_delay_alu instid0(VALU_DEP_3) | instskip(NEXT) | instid1(VALU_DEP_3)
	v_and_b32_e32 v63, 0x80000000, v63
	v_cndmask_b32_e32 v73, v73, v75, vcc_lo
	s_delay_alu instid0(VALU_DEP_1) | instskip(NEXT) | instid1(VALU_DEP_1)
	v_lshlrev_b32_e32 v73, 20, v73
	v_or3_b32 v73, v63, v74, v73
.LBB6_14954:                            ;   in Loop: Header=BB6_14474 Depth=3
	s_or_b32 exec_lo, exec_lo, s31
	s_waitcnt vmcnt(15) lgkmcnt(15)
	v_and_b32_e32 v74, 0xff, v62
	s_mov_b32 s13, 0
	s_mov_b32 s34, exec_lo
                                        ; implicit-def: $sgpr31
	s_delay_alu instid0(VALU_DEP_1)
	v_cmpx_lt_i16_e32 0x7f, v74
	s_xor_b32 s34, exec_lo, s34
	s_cbranch_execnz .LBB6_15668
; %bb.14955:                            ;   in Loop: Header=BB6_14474 Depth=3
	s_or_saveexec_b32 s34, s34
	v_mov_b32_e32 v63, s31
	s_xor_b32 exec_lo, exec_lo, s34
	s_cbranch_execnz .LBB6_15671
.LBB6_14956:                            ;   in Loop: Header=BB6_14474 Depth=3
	s_or_b32 exec_lo, exec_lo, s34
	s_and_saveexec_b32 s31, s13
	s_cbranch_execz .LBB6_14958
.LBB6_14957:                            ;   in Loop: Header=BB6_14474 Depth=3
	v_and_b32_e32 v63, 7, v62
	v_lshrrev_b16 v76, 3, v62
	s_delay_alu instid0(VALU_DEP_2) | instskip(NEXT) | instid1(VALU_DEP_1)
	v_clz_i32_u32_e32 v74, v63
	v_min_u32_e32 v74, 32, v74
	s_delay_alu instid0(VALU_DEP_1) | instskip(SKIP_1) | instid1(VALU_DEP_2)
	v_subrev_nc_u32_e32 v75, 28, v74
	v_sub_nc_u32_e32 v74, 29, v74
	v_lshlrev_b32_e32 v75, v75, v62
	v_lshlrev_b32_e32 v62, 24, v62
	s_delay_alu instid0(VALU_DEP_2) | instskip(SKIP_1) | instid1(VALU_DEP_3)
	v_and_b32_e32 v75, 7, v75
	v_and_b32_e32 v76, 15, v76
	;; [unrolled: 1-line block ×3, first 2 shown]
	s_delay_alu instid0(VALU_DEP_2) | instskip(NEXT) | instid1(VALU_DEP_4)
	v_cmp_eq_u32_e32 vcc_lo, 0, v76
	v_dual_cndmask_b32 v63, v63, v75 :: v_dual_cndmask_b32 v74, v76, v74
	s_delay_alu instid0(VALU_DEP_1) | instskip(NEXT) | instid1(VALU_DEP_2)
	v_lshlrev_b32_e32 v63, 20, v63
	v_lshl_add_u32 v74, v74, 23, 0x3b800000
	s_delay_alu instid0(VALU_DEP_1)
	v_or3_b32 v63, v62, v74, v63
.LBB6_14958:                            ;   in Loop: Header=BB6_14474 Depth=3
	s_or_b32 exec_lo, exec_lo, s31
	s_delay_alu instid0(VALU_DEP_1) | instskip(NEXT) | instid1(VALU_DEP_1)
	v_dual_max_f32 v62, v63, v63 :: v_dual_max_f32 v63, v73, v73
	v_min_f32_e32 v73, v63, v62
.LBB6_14959:                            ;   in Loop: Header=BB6_14474 Depth=3
	s_waitcnt vmcnt(15) lgkmcnt(15)
	s_delay_alu instid0(VALU_DEP_1) | instskip(NEXT) | instid1(VALU_DEP_1)
	v_and_b32_e32 v62, 0x7f800000, v73
	v_cmp_ne_u32_e32 vcc_lo, 0x7f800000, v62
	v_mov_b32_e32 v62, 0x80
	s_and_saveexec_b32 s31, vcc_lo
	s_cbranch_execz .LBB6_14967
; %bb.14960:                            ;   in Loop: Header=BB6_14474 Depth=3
	v_mov_b32_e32 v62, 0
	s_mov_b32 s34, exec_lo
	v_cmpx_ne_u32_e32 0, v73
	s_cbranch_execz .LBB6_14966
; %bb.14961:                            ;   in Loop: Header=BB6_14474 Depth=3
	v_bfe_u32 v62, v73, 23, 8
	s_delay_alu instid0(VALU_DEP_1) | instskip(SKIP_1) | instid1(VALU_DEP_2)
	v_sub_nc_u32_e32 v74, 0x78, v62
	v_cmp_gt_u32_e32 vcc_lo, 0x79, v62
	v_dual_cndmask_b32 v74, 0, v74 :: v_dual_and_b32 v63, 0x7fffff, v73
	s_delay_alu instid0(VALU_DEP_1) | instskip(SKIP_2) | instid1(VALU_DEP_4)
	v_or_b32_e32 v75, 0x800000, v63
	v_cmp_eq_u32_e32 vcc_lo, 0, v62
	v_add_nc_u32_e32 v62, 0xffffff89, v62
	v_cndmask_b32_e64 v74, v74, 0x77, vcc_lo
	s_delay_alu instid0(VALU_DEP_4) | instskip(NEXT) | instid1(VALU_DEP_3)
	v_cndmask_b32_e32 v63, v75, v63, vcc_lo
	v_cndmask_b32_e64 v62, v62, 0xffffff8a, vcc_lo
	s_delay_alu instid0(VALU_DEP_3) | instskip(NEXT) | instid1(VALU_DEP_3)
	v_lshl_add_u32 v75, 0x100000, v74, -1
	v_lshrrev_b32_e32 v76, v74, v63
	v_lshlrev_b32_e64 v78, v74, 0x80000
	s_delay_alu instid0(VALU_DEP_4) | instskip(NEXT) | instid1(VALU_DEP_4)
	v_add_nc_u32_e32 v74, v74, v62
	v_and_b32_e32 v63, v75, v63
	s_delay_alu instid0(VALU_DEP_4) | instskip(NEXT) | instid1(VALU_DEP_2)
	v_bfe_u32 v77, v76, 20, 1
	v_cmp_eq_u32_e64 s13, v63, v78
	s_delay_alu instid0(VALU_DEP_2) | instskip(NEXT) | instid1(VALU_DEP_1)
	v_add_nc_u32_e32 v75, -1, v77
	v_cndmask_b32_e64 v63, 0, v75, s13
	v_lshrrev_b32_e32 v75, 23, v76
	s_mov_b32 s13, exec_lo
	s_delay_alu instid0(VALU_DEP_2) | instskip(NEXT) | instid1(VALU_DEP_2)
	v_add_nc_u32_e32 v63, v63, v76
	v_xor_b32_e32 v75, 1, v75
	s_delay_alu instid0(VALU_DEP_2) | instskip(NEXT) | instid1(VALU_DEP_1)
	v_and_b32_e32 v62, 0xfffff, v63
	v_add_nc_u32_e32 v63, v62, v76
                                        ; implicit-def: $vgpr62
	s_delay_alu instid0(VALU_DEP_3)
	v_cmpx_ne_u32_e64 v74, v75
	s_xor_b32 s13, exec_lo, s13
; %bb.14962:                            ;   in Loop: Header=BB6_14474 Depth=3
	s_delay_alu instid0(VALU_DEP_2) | instskip(SKIP_2) | instid1(VALU_DEP_2)
	v_cmp_lt_u32_e32 vcc_lo, 0xffffff, v63
	v_sub_nc_u32_e32 v62, v74, v75
	v_cndmask_b32_e64 v74, 0, 1, vcc_lo
	v_add_co_ci_u32_e32 v62, vcc_lo, 0, v62, vcc_lo
	s_delay_alu instid0(VALU_DEP_2)
	v_lshrrev_b32_e32 v63, v74, v63
; %bb.14963:                            ;   in Loop: Header=BB6_14474 Depth=3
	s_and_not1_saveexec_b32 s13, s13
; %bb.14964:                            ;   in Loop: Header=BB6_14474 Depth=3
	s_delay_alu instid0(VALU_DEP_1)
	v_bfe_u32 v62, v63, 23, 1
; %bb.14965:                            ;   in Loop: Header=BB6_14474 Depth=3
	s_or_b32 exec_lo, exec_lo, s13
	v_lshrrev_b32_e32 v63, 20, v63
	s_delay_alu instid0(VALU_DEP_2) | instskip(SKIP_2) | instid1(VALU_DEP_2)
	v_cmp_gt_i32_e32 vcc_lo, 16, v62
	v_min_i32_e32 v74, 15, v62
	v_lshrrev_b32_e32 v73, 24, v73
	v_dual_cndmask_b32 v63, 7, v63 :: v_dual_lshlrev_b32 v74, 3, v74
	s_delay_alu instid0(VALU_DEP_1) | instskip(SKIP_1) | instid1(VALU_DEP_2)
	v_or_b32_e32 v62, v62, v63
	v_and_b32_e32 v75, 7, v63
	v_cmp_ne_u32_e32 vcc_lo, 0, v62
	v_and_b32_e32 v73, 0x80, v73
	s_delay_alu instid0(VALU_DEP_1) | instskip(NEXT) | instid1(VALU_DEP_1)
	v_or3_b32 v63, v74, v73, v75
	v_cndmask_b32_e32 v62, 0, v63, vcc_lo
.LBB6_14966:                            ;   in Loop: Header=BB6_14474 Depth=3
	s_or_b32 exec_lo, exec_lo, s34
.LBB6_14967:                            ;   in Loop: Header=BB6_14474 Depth=3
	s_delay_alu instid0(SALU_CYCLE_1) | instskip(NEXT) | instid1(SALU_CYCLE_1)
	s_or_b32 exec_lo, exec_lo, s31
	s_and_not1_b32 vcc_lo, exec_lo, s16
	s_cbranch_vccnz .LBB6_14977
; %bb.14968:                            ;   in Loop: Header=BB6_14474 Depth=3
	v_and_b32_e32 v73, 0xff, v60
	s_mov_b32 s13, 0
	s_mov_b32 s34, exec_lo
                                        ; implicit-def: $sgpr31
	s_delay_alu instid0(VALU_DEP_1)
	v_cmpx_lt_i16_e32 0x7f, v73
	s_xor_b32 s34, exec_lo, s34
	s_cbranch_execnz .LBB6_15672
; %bb.14969:                            ;   in Loop: Header=BB6_14474 Depth=3
	s_or_saveexec_b32 s34, s34
	v_mov_b32_e32 v63, s31
	s_xor_b32 exec_lo, exec_lo, s34
	s_cbranch_execnz .LBB6_15675
.LBB6_14970:                            ;   in Loop: Header=BB6_14474 Depth=3
	s_or_b32 exec_lo, exec_lo, s34
	s_and_saveexec_b32 s31, s13
	s_cbranch_execz .LBB6_14972
.LBB6_14971:                            ;   in Loop: Header=BB6_14474 Depth=3
	v_and_b32_e32 v63, 7, v60
	v_lshrrev_b16 v75, 3, v60
	s_delay_alu instid0(VALU_DEP_2) | instskip(NEXT) | instid1(VALU_DEP_2)
	v_clz_i32_u32_e32 v73, v63
	v_and_b32_e32 v75, 15, v75
	s_delay_alu instid0(VALU_DEP_2) | instskip(NEXT) | instid1(VALU_DEP_2)
	v_min_u32_e32 v73, 32, v73
	v_cmp_eq_u32_e32 vcc_lo, 0, v75
	s_delay_alu instid0(VALU_DEP_2) | instskip(SKIP_1) | instid1(VALU_DEP_1)
	v_subrev_nc_u32_e32 v74, 28, v73
	v_sub_nc_u32_e32 v73, 29, v73
	v_dual_cndmask_b32 v73, v75, v73 :: v_dual_lshlrev_b32 v74, v74, v60
	s_delay_alu instid0(VALU_DEP_1) | instskip(SKIP_1) | instid1(VALU_DEP_3)
	v_and_b32_e32 v74, 7, v74
	v_lshlrev_b32_e32 v76, 24, v60
	v_lshl_add_u32 v73, v73, 23, 0x3b800000
	s_delay_alu instid0(VALU_DEP_2) | instskip(NEXT) | instid1(VALU_DEP_1)
	v_dual_cndmask_b32 v63, v63, v74 :: v_dual_and_b32 v74, 0x80000000, v76
	v_lshlrev_b32_e32 v63, 20, v63
	s_delay_alu instid0(VALU_DEP_1)
	v_or3_b32 v63, v74, v73, v63
.LBB6_14972:                            ;   in Loop: Header=BB6_14474 Depth=3
	s_or_b32 exec_lo, exec_lo, s31
	s_waitcnt vmcnt(14) lgkmcnt(14)
	v_and_b32_e32 v74, 0xff, v59
	s_mov_b32 s13, 0
	s_mov_b32 s34, exec_lo
                                        ; implicit-def: $sgpr31
	s_delay_alu instid0(VALU_DEP_1)
	v_cmpx_lt_i16_e32 0x7f, v74
	s_xor_b32 s34, exec_lo, s34
	s_cbranch_execnz .LBB6_15676
; %bb.14973:                            ;   in Loop: Header=BB6_14474 Depth=3
	s_or_saveexec_b32 s34, s34
	v_mov_b32_e32 v73, s31
	s_xor_b32 exec_lo, exec_lo, s34
	s_cbranch_execnz .LBB6_15679
.LBB6_14974:                            ;   in Loop: Header=BB6_14474 Depth=3
	s_or_b32 exec_lo, exec_lo, s34
	s_and_saveexec_b32 s31, s13
	s_cbranch_execz .LBB6_14976
.LBB6_14975:                            ;   in Loop: Header=BB6_14474 Depth=3
	v_lshrrev_b16 v76, 3, v59
	v_lshlrev_b32_e32 v77, 24, v59
	s_delay_alu instid0(VALU_DEP_2) | instskip(NEXT) | instid1(VALU_DEP_1)
	v_and_b32_e32 v76, 15, v76
	v_cmp_eq_u32_e32 vcc_lo, 0, v76
	v_and_b32_e32 v73, 7, v59
	s_delay_alu instid0(VALU_DEP_1) | instskip(NEXT) | instid1(VALU_DEP_1)
	v_clz_i32_u32_e32 v74, v73
	v_min_u32_e32 v74, 32, v74
	s_delay_alu instid0(VALU_DEP_1) | instskip(SKIP_1) | instid1(VALU_DEP_1)
	v_subrev_nc_u32_e32 v75, 28, v74
	v_sub_nc_u32_e32 v74, 29, v74
	v_dual_cndmask_b32 v74, v76, v74 :: v_dual_lshlrev_b32 v75, v75, v59
	s_delay_alu instid0(VALU_DEP_1) | instskip(NEXT) | instid1(VALU_DEP_2)
	v_and_b32_e32 v75, 7, v75
	v_lshl_add_u32 v74, v74, 23, 0x3b800000
	s_delay_alu instid0(VALU_DEP_2) | instskip(SKIP_1) | instid1(VALU_DEP_2)
	v_cndmask_b32_e32 v73, v73, v75, vcc_lo
	v_and_b32_e32 v75, 0x80000000, v77
	v_lshlrev_b32_e32 v73, 20, v73
	s_delay_alu instid0(VALU_DEP_1)
	v_or3_b32 v73, v75, v74, v73
.LBB6_14976:                            ;   in Loop: Header=BB6_14474 Depth=3
	s_or_b32 exec_lo, exec_lo, s31
	s_delay_alu instid0(VALU_DEP_1) | instskip(SKIP_2) | instid1(VALU_DEP_1)
	v_max_f32_e32 v73, v73, v73
	v_max_f32_e32 v63, v63, v63
	s_mov_b32 s13, 0
	v_max_f32_e32 v63, v63, v73
	s_branch .LBB6_14978
.LBB6_14977:                            ;   in Loop: Header=BB6_14474 Depth=3
	s_mov_b32 s13, -1
                                        ; implicit-def: $vgpr63
.LBB6_14978:                            ;   in Loop: Header=BB6_14474 Depth=3
	s_delay_alu instid0(SALU_CYCLE_1)
	s_and_b32 vcc_lo, exec_lo, s13
	s_cbranch_vccz .LBB6_14988
; %bb.14979:                            ;   in Loop: Header=BB6_14474 Depth=3
	v_and_b32_e32 v73, 0xff, v60
	s_mov_b32 s13, 0
	s_mov_b32 s34, exec_lo
                                        ; implicit-def: $sgpr31
	s_delay_alu instid0(VALU_DEP_1)
	v_cmpx_lt_i16_e32 0x7f, v73
	s_xor_b32 s34, exec_lo, s34
	s_cbranch_execnz .LBB6_15680
; %bb.14980:                            ;   in Loop: Header=BB6_14474 Depth=3
	s_or_saveexec_b32 s34, s34
	v_mov_b32_e32 v63, s31
	s_xor_b32 exec_lo, exec_lo, s34
	s_cbranch_execnz .LBB6_15683
.LBB6_14981:                            ;   in Loop: Header=BB6_14474 Depth=3
	s_or_b32 exec_lo, exec_lo, s34
	s_and_saveexec_b32 s31, s13
	s_cbranch_execz .LBB6_14983
.LBB6_14982:                            ;   in Loop: Header=BB6_14474 Depth=3
	v_and_b32_e32 v63, 7, v60
	v_lshrrev_b16 v75, 3, v60
	s_delay_alu instid0(VALU_DEP_2) | instskip(NEXT) | instid1(VALU_DEP_2)
	v_clz_i32_u32_e32 v73, v63
	v_and_b32_e32 v75, 15, v75
	s_delay_alu instid0(VALU_DEP_2) | instskip(NEXT) | instid1(VALU_DEP_2)
	v_min_u32_e32 v73, 32, v73
	v_cmp_eq_u32_e32 vcc_lo, 0, v75
	s_delay_alu instid0(VALU_DEP_2) | instskip(SKIP_1) | instid1(VALU_DEP_1)
	v_subrev_nc_u32_e32 v74, 28, v73
	v_sub_nc_u32_e32 v73, 29, v73
	v_dual_cndmask_b32 v73, v75, v73 :: v_dual_lshlrev_b32 v74, v74, v60
	s_delay_alu instid0(VALU_DEP_1) | instskip(SKIP_1) | instid1(VALU_DEP_3)
	v_and_b32_e32 v74, 7, v74
	v_lshlrev_b32_e32 v60, 24, v60
	v_lshl_add_u32 v73, v73, 23, 0x3b800000
	s_delay_alu instid0(VALU_DEP_2) | instskip(NEXT) | instid1(VALU_DEP_1)
	v_dual_cndmask_b32 v63, v63, v74 :: v_dual_and_b32 v60, 0x80000000, v60
	v_lshlrev_b32_e32 v63, 20, v63
	s_delay_alu instid0(VALU_DEP_1)
	v_or3_b32 v63, v60, v73, v63
.LBB6_14983:                            ;   in Loop: Header=BB6_14474 Depth=3
	s_or_b32 exec_lo, exec_lo, s31
	s_waitcnt vmcnt(14) lgkmcnt(14)
	v_and_b32_e32 v73, 0xff, v59
	s_mov_b32 s13, 0
	s_mov_b32 s34, exec_lo
                                        ; implicit-def: $sgpr31
	s_delay_alu instid0(VALU_DEP_1)
	v_cmpx_lt_i16_e32 0x7f, v73
	s_xor_b32 s34, exec_lo, s34
	s_cbranch_execnz .LBB6_15684
; %bb.14984:                            ;   in Loop: Header=BB6_14474 Depth=3
	s_or_saveexec_b32 s34, s34
	v_mov_b32_e32 v60, s31
	s_xor_b32 exec_lo, exec_lo, s34
	s_cbranch_execnz .LBB6_15687
.LBB6_14985:                            ;   in Loop: Header=BB6_14474 Depth=3
	s_or_b32 exec_lo, exec_lo, s34
	s_and_saveexec_b32 s31, s13
	s_cbranch_execz .LBB6_14987
.LBB6_14986:                            ;   in Loop: Header=BB6_14474 Depth=3
	v_lshrrev_b16 v75, 3, v59
	s_delay_alu instid0(VALU_DEP_1) | instskip(NEXT) | instid1(VALU_DEP_1)
	v_and_b32_e32 v75, 15, v75
	v_cmp_eq_u32_e32 vcc_lo, 0, v75
	v_and_b32_e32 v60, 7, v59
	s_delay_alu instid0(VALU_DEP_1) | instskip(NEXT) | instid1(VALU_DEP_1)
	v_clz_i32_u32_e32 v73, v60
	v_min_u32_e32 v73, 32, v73
	s_delay_alu instid0(VALU_DEP_1) | instskip(SKIP_1) | instid1(VALU_DEP_1)
	v_subrev_nc_u32_e32 v74, 28, v73
	v_sub_nc_u32_e32 v73, 29, v73
	v_dual_cndmask_b32 v73, v75, v73 :: v_dual_lshlrev_b32 v74, v74, v59
	v_lshlrev_b32_e32 v59, 24, v59
	s_delay_alu instid0(VALU_DEP_2) | instskip(NEXT) | instid1(VALU_DEP_3)
	v_and_b32_e32 v74, 7, v74
	v_lshl_add_u32 v73, v73, 23, 0x3b800000
	s_delay_alu instid0(VALU_DEP_2) | instskip(NEXT) | instid1(VALU_DEP_1)
	v_dual_cndmask_b32 v60, v60, v74 :: v_dual_and_b32 v59, 0x80000000, v59
	v_lshlrev_b32_e32 v60, 20, v60
	s_delay_alu instid0(VALU_DEP_1)
	v_or3_b32 v60, v59, v73, v60
.LBB6_14987:                            ;   in Loop: Header=BB6_14474 Depth=3
	s_or_b32 exec_lo, exec_lo, s31
	s_delay_alu instid0(VALU_DEP_1) | instskip(NEXT) | instid1(VALU_DEP_1)
	v_dual_max_f32 v59, v60, v60 :: v_dual_max_f32 v60, v63, v63
	v_min_f32_e32 v63, v60, v59
.LBB6_14988:                            ;   in Loop: Header=BB6_14474 Depth=3
	s_waitcnt vmcnt(14) lgkmcnt(14)
	s_delay_alu instid0(VALU_DEP_1) | instskip(NEXT) | instid1(VALU_DEP_1)
	v_and_b32_e32 v59, 0x7f800000, v63
	v_cmp_ne_u32_e32 vcc_lo, 0x7f800000, v59
	v_mov_b32_e32 v59, 0x80
	s_and_saveexec_b32 s31, vcc_lo
	s_cbranch_execz .LBB6_14996
; %bb.14989:                            ;   in Loop: Header=BB6_14474 Depth=3
	v_mov_b32_e32 v59, 0
	s_mov_b32 s34, exec_lo
	v_cmpx_ne_u32_e32 0, v63
	s_cbranch_execz .LBB6_14995
; %bb.14990:                            ;   in Loop: Header=BB6_14474 Depth=3
	v_bfe_u32 v59, v63, 23, 8
	s_delay_alu instid0(VALU_DEP_1) | instskip(SKIP_1) | instid1(VALU_DEP_2)
	v_sub_nc_u32_e32 v73, 0x78, v59
	v_cmp_gt_u32_e32 vcc_lo, 0x79, v59
	v_dual_cndmask_b32 v73, 0, v73 :: v_dual_and_b32 v60, 0x7fffff, v63
	s_delay_alu instid0(VALU_DEP_1) | instskip(SKIP_2) | instid1(VALU_DEP_4)
	v_or_b32_e32 v74, 0x800000, v60
	v_cmp_eq_u32_e32 vcc_lo, 0, v59
	v_add_nc_u32_e32 v59, 0xffffff89, v59
	v_cndmask_b32_e64 v73, v73, 0x77, vcc_lo
	s_delay_alu instid0(VALU_DEP_4) | instskip(NEXT) | instid1(VALU_DEP_3)
	v_cndmask_b32_e32 v60, v74, v60, vcc_lo
	v_cndmask_b32_e64 v59, v59, 0xffffff8a, vcc_lo
	s_delay_alu instid0(VALU_DEP_3) | instskip(NEXT) | instid1(VALU_DEP_3)
	v_lshl_add_u32 v74, 0x100000, v73, -1
	v_lshrrev_b32_e32 v75, v73, v60
	v_lshlrev_b32_e64 v77, v73, 0x80000
	s_delay_alu instid0(VALU_DEP_4) | instskip(NEXT) | instid1(VALU_DEP_4)
	v_add_nc_u32_e32 v73, v73, v59
	v_and_b32_e32 v60, v74, v60
	s_delay_alu instid0(VALU_DEP_4) | instskip(NEXT) | instid1(VALU_DEP_2)
	v_bfe_u32 v76, v75, 20, 1
	v_cmp_eq_u32_e64 s13, v60, v77
	s_delay_alu instid0(VALU_DEP_2) | instskip(NEXT) | instid1(VALU_DEP_1)
	v_add_nc_u32_e32 v74, -1, v76
	v_cndmask_b32_e64 v60, 0, v74, s13
	v_lshrrev_b32_e32 v74, 23, v75
	s_mov_b32 s13, exec_lo
	s_delay_alu instid0(VALU_DEP_2) | instskip(NEXT) | instid1(VALU_DEP_2)
	v_add_nc_u32_e32 v60, v60, v75
	v_xor_b32_e32 v74, 1, v74
	s_delay_alu instid0(VALU_DEP_2) | instskip(NEXT) | instid1(VALU_DEP_1)
	v_and_b32_e32 v59, 0xfffff, v60
	v_add_nc_u32_e32 v60, v59, v75
                                        ; implicit-def: $vgpr59
	s_delay_alu instid0(VALU_DEP_3)
	v_cmpx_ne_u32_e64 v73, v74
	s_xor_b32 s13, exec_lo, s13
; %bb.14991:                            ;   in Loop: Header=BB6_14474 Depth=3
	s_delay_alu instid0(VALU_DEP_2) | instskip(SKIP_2) | instid1(VALU_DEP_2)
	v_cmp_lt_u32_e32 vcc_lo, 0xffffff, v60
	v_sub_nc_u32_e32 v59, v73, v74
	v_cndmask_b32_e64 v73, 0, 1, vcc_lo
	v_add_co_ci_u32_e32 v59, vcc_lo, 0, v59, vcc_lo
	s_delay_alu instid0(VALU_DEP_2)
	v_lshrrev_b32_e32 v60, v73, v60
; %bb.14992:                            ;   in Loop: Header=BB6_14474 Depth=3
	s_and_not1_saveexec_b32 s13, s13
; %bb.14993:                            ;   in Loop: Header=BB6_14474 Depth=3
	s_delay_alu instid0(VALU_DEP_1)
	v_bfe_u32 v59, v60, 23, 1
; %bb.14994:                            ;   in Loop: Header=BB6_14474 Depth=3
	s_or_b32 exec_lo, exec_lo, s13
	v_lshrrev_b32_e32 v60, 20, v60
	s_delay_alu instid0(VALU_DEP_2) | instskip(SKIP_2) | instid1(VALU_DEP_2)
	v_cmp_gt_i32_e32 vcc_lo, 16, v59
	v_lshrrev_b32_e32 v63, 24, v63
	v_min_i32_e32 v73, 15, v59
	v_dual_cndmask_b32 v60, 7, v60 :: v_dual_and_b32 v63, 0x80, v63
	s_delay_alu instid0(VALU_DEP_2) | instskip(NEXT) | instid1(VALU_DEP_2)
	v_lshlrev_b32_e32 v73, 3, v73
	v_and_b32_e32 v74, 7, v60
	v_or_b32_e32 v59, v59, v60
	s_delay_alu instid0(VALU_DEP_2) | instskip(NEXT) | instid1(VALU_DEP_2)
	v_or3_b32 v60, v73, v63, v74
	v_cmp_ne_u32_e32 vcc_lo, 0, v59
	s_delay_alu instid0(VALU_DEP_2)
	v_cndmask_b32_e32 v59, 0, v60, vcc_lo
.LBB6_14995:                            ;   in Loop: Header=BB6_14474 Depth=3
	s_or_b32 exec_lo, exec_lo, s34
.LBB6_14996:                            ;   in Loop: Header=BB6_14474 Depth=3
	s_delay_alu instid0(SALU_CYCLE_1) | instskip(NEXT) | instid1(SALU_CYCLE_1)
	s_or_b32 exec_lo, exec_lo, s31
	s_and_not1_b32 vcc_lo, exec_lo, s16
	s_cbranch_vccnz .LBB6_15006
; %bb.14997:                            ;   in Loop: Header=BB6_14474 Depth=3
	v_and_b32_e32 v63, 0xff, v57
	s_mov_b32 s13, 0
	s_mov_b32 s34, exec_lo
                                        ; implicit-def: $sgpr31
	s_delay_alu instid0(VALU_DEP_1)
	v_cmpx_lt_i16_e32 0x7f, v63
	s_xor_b32 s34, exec_lo, s34
	s_cbranch_execnz .LBB6_15688
; %bb.14998:                            ;   in Loop: Header=BB6_14474 Depth=3
	s_or_saveexec_b32 s34, s34
	v_mov_b32_e32 v60, s31
	s_xor_b32 exec_lo, exec_lo, s34
	s_cbranch_execnz .LBB6_15691
.LBB6_14999:                            ;   in Loop: Header=BB6_14474 Depth=3
	s_or_b32 exec_lo, exec_lo, s34
	s_and_saveexec_b32 s31, s13
	s_cbranch_execz .LBB6_15001
.LBB6_15000:                            ;   in Loop: Header=BB6_14474 Depth=3
	v_lshrrev_b16 v74, 3, v57
	v_lshlrev_b32_e32 v75, 24, v57
	s_delay_alu instid0(VALU_DEP_2) | instskip(NEXT) | instid1(VALU_DEP_1)
	v_and_b32_e32 v74, 15, v74
	v_cmp_eq_u32_e32 vcc_lo, 0, v74
	v_and_b32_e32 v60, 7, v57
	s_delay_alu instid0(VALU_DEP_1) | instskip(NEXT) | instid1(VALU_DEP_1)
	v_clz_i32_u32_e32 v63, v60
	v_min_u32_e32 v63, 32, v63
	s_delay_alu instid0(VALU_DEP_1) | instskip(SKIP_1) | instid1(VALU_DEP_2)
	v_subrev_nc_u32_e32 v73, 28, v63
	v_sub_nc_u32_e32 v63, 29, v63
	v_lshlrev_b32_e32 v73, v73, v57
	s_delay_alu instid0(VALU_DEP_2) | instskip(NEXT) | instid1(VALU_DEP_2)
	v_cndmask_b32_e32 v63, v74, v63, vcc_lo
	v_and_b32_e32 v73, 7, v73
	s_delay_alu instid0(VALU_DEP_2) | instskip(NEXT) | instid1(VALU_DEP_2)
	v_lshl_add_u32 v63, v63, 23, 0x3b800000
	v_dual_cndmask_b32 v60, v60, v73 :: v_dual_and_b32 v73, 0x80000000, v75
	s_delay_alu instid0(VALU_DEP_1) | instskip(NEXT) | instid1(VALU_DEP_1)
	v_lshlrev_b32_e32 v60, 20, v60
	v_or3_b32 v60, v73, v63, v60
.LBB6_15001:                            ;   in Loop: Header=BB6_14474 Depth=3
	s_or_b32 exec_lo, exec_lo, s31
	s_waitcnt vmcnt(13) lgkmcnt(13)
	v_and_b32_e32 v73, 0xff, v56
	s_mov_b32 s13, 0
	s_mov_b32 s34, exec_lo
                                        ; implicit-def: $sgpr31
	s_delay_alu instid0(VALU_DEP_1)
	v_cmpx_lt_i16_e32 0x7f, v73
	s_xor_b32 s34, exec_lo, s34
	s_cbranch_execnz .LBB6_15692
; %bb.15002:                            ;   in Loop: Header=BB6_14474 Depth=3
	s_or_saveexec_b32 s34, s34
	v_mov_b32_e32 v63, s31
	s_xor_b32 exec_lo, exec_lo, s34
	s_cbranch_execnz .LBB6_15695
.LBB6_15003:                            ;   in Loop: Header=BB6_14474 Depth=3
	s_or_b32 exec_lo, exec_lo, s34
	s_and_saveexec_b32 s31, s13
	s_cbranch_execz .LBB6_15005
.LBB6_15004:                            ;   in Loop: Header=BB6_14474 Depth=3
	v_and_b32_e32 v63, 7, v56
	v_lshrrev_b16 v75, 3, v56
	s_delay_alu instid0(VALU_DEP_2) | instskip(NEXT) | instid1(VALU_DEP_2)
	v_clz_i32_u32_e32 v73, v63
	v_and_b32_e32 v75, 15, v75
	s_delay_alu instid0(VALU_DEP_2) | instskip(NEXT) | instid1(VALU_DEP_2)
	v_min_u32_e32 v73, 32, v73
	v_cmp_eq_u32_e32 vcc_lo, 0, v75
	s_delay_alu instid0(VALU_DEP_2) | instskip(SKIP_1) | instid1(VALU_DEP_1)
	v_subrev_nc_u32_e32 v74, 28, v73
	v_sub_nc_u32_e32 v73, 29, v73
	v_dual_cndmask_b32 v73, v75, v73 :: v_dual_lshlrev_b32 v74, v74, v56
	s_delay_alu instid0(VALU_DEP_1) | instskip(SKIP_1) | instid1(VALU_DEP_3)
	v_and_b32_e32 v74, 7, v74
	v_lshlrev_b32_e32 v76, 24, v56
	v_lshl_add_u32 v73, v73, 23, 0x3b800000
	s_delay_alu instid0(VALU_DEP_2) | instskip(NEXT) | instid1(VALU_DEP_1)
	v_dual_cndmask_b32 v63, v63, v74 :: v_dual_and_b32 v74, 0x80000000, v76
	v_lshlrev_b32_e32 v63, 20, v63
	s_delay_alu instid0(VALU_DEP_1)
	v_or3_b32 v63, v74, v73, v63
.LBB6_15005:                            ;   in Loop: Header=BB6_14474 Depth=3
	s_or_b32 exec_lo, exec_lo, s31
	s_delay_alu instid0(VALU_DEP_1) | instskip(SKIP_1) | instid1(VALU_DEP_1)
	v_dual_max_f32 v63, v63, v63 :: v_dual_max_f32 v60, v60, v60
	s_mov_b32 s13, 0
	v_max_f32_e32 v60, v60, v63
	s_branch .LBB6_15007
.LBB6_15006:                            ;   in Loop: Header=BB6_14474 Depth=3
	s_mov_b32 s13, -1
                                        ; implicit-def: $vgpr60
.LBB6_15007:                            ;   in Loop: Header=BB6_14474 Depth=3
	s_delay_alu instid0(SALU_CYCLE_1)
	s_and_b32 vcc_lo, exec_lo, s13
	s_cbranch_vccz .LBB6_15017
; %bb.15008:                            ;   in Loop: Header=BB6_14474 Depth=3
	v_and_b32_e32 v63, 0xff, v57
	s_mov_b32 s13, 0
	s_mov_b32 s34, exec_lo
                                        ; implicit-def: $sgpr31
	s_delay_alu instid0(VALU_DEP_1)
	v_cmpx_lt_i16_e32 0x7f, v63
	s_xor_b32 s34, exec_lo, s34
	s_cbranch_execnz .LBB6_15696
; %bb.15009:                            ;   in Loop: Header=BB6_14474 Depth=3
	s_or_saveexec_b32 s34, s34
	v_mov_b32_e32 v60, s31
	s_xor_b32 exec_lo, exec_lo, s34
	s_cbranch_execnz .LBB6_15699
.LBB6_15010:                            ;   in Loop: Header=BB6_14474 Depth=3
	s_or_b32 exec_lo, exec_lo, s34
	s_and_saveexec_b32 s31, s13
	s_cbranch_execz .LBB6_15012
.LBB6_15011:                            ;   in Loop: Header=BB6_14474 Depth=3
	v_lshrrev_b16 v74, 3, v57
	s_delay_alu instid0(VALU_DEP_1) | instskip(NEXT) | instid1(VALU_DEP_1)
	v_and_b32_e32 v74, 15, v74
	v_cmp_eq_u32_e32 vcc_lo, 0, v74
	v_and_b32_e32 v60, 7, v57
	s_delay_alu instid0(VALU_DEP_1) | instskip(NEXT) | instid1(VALU_DEP_1)
	v_clz_i32_u32_e32 v63, v60
	v_min_u32_e32 v63, 32, v63
	s_delay_alu instid0(VALU_DEP_1) | instskip(SKIP_1) | instid1(VALU_DEP_2)
	v_subrev_nc_u32_e32 v73, 28, v63
	v_sub_nc_u32_e32 v63, 29, v63
	v_lshlrev_b32_e32 v73, v73, v57
	s_delay_alu instid0(VALU_DEP_2) | instskip(SKIP_1) | instid1(VALU_DEP_3)
	v_cndmask_b32_e32 v63, v74, v63, vcc_lo
	v_lshlrev_b32_e32 v57, 24, v57
	v_and_b32_e32 v73, 7, v73
	s_delay_alu instid0(VALU_DEP_3) | instskip(NEXT) | instid1(VALU_DEP_3)
	v_lshl_add_u32 v63, v63, 23, 0x3b800000
	v_and_b32_e32 v57, 0x80000000, v57
	s_delay_alu instid0(VALU_DEP_3) | instskip(NEXT) | instid1(VALU_DEP_1)
	v_cndmask_b32_e32 v60, v60, v73, vcc_lo
	v_lshlrev_b32_e32 v60, 20, v60
	s_delay_alu instid0(VALU_DEP_1)
	v_or3_b32 v60, v57, v63, v60
.LBB6_15012:                            ;   in Loop: Header=BB6_14474 Depth=3
	s_or_b32 exec_lo, exec_lo, s31
	s_waitcnt vmcnt(13) lgkmcnt(13)
	v_and_b32_e32 v63, 0xff, v56
	s_mov_b32 s13, 0
	s_mov_b32 s34, exec_lo
                                        ; implicit-def: $sgpr31
	s_delay_alu instid0(VALU_DEP_1)
	v_cmpx_lt_i16_e32 0x7f, v63
	s_xor_b32 s34, exec_lo, s34
	s_cbranch_execnz .LBB6_15700
; %bb.15013:                            ;   in Loop: Header=BB6_14474 Depth=3
	s_or_saveexec_b32 s34, s34
	v_mov_b32_e32 v57, s31
	s_xor_b32 exec_lo, exec_lo, s34
	s_cbranch_execnz .LBB6_15703
.LBB6_15014:                            ;   in Loop: Header=BB6_14474 Depth=3
	s_or_b32 exec_lo, exec_lo, s34
	s_and_saveexec_b32 s31, s13
	s_cbranch_execz .LBB6_15016
.LBB6_15015:                            ;   in Loop: Header=BB6_14474 Depth=3
	v_and_b32_e32 v57, 7, v56
	v_lshrrev_b16 v74, 3, v56
	s_delay_alu instid0(VALU_DEP_2) | instskip(NEXT) | instid1(VALU_DEP_1)
	v_clz_i32_u32_e32 v63, v57
	v_min_u32_e32 v63, 32, v63
	s_delay_alu instid0(VALU_DEP_1) | instskip(SKIP_1) | instid1(VALU_DEP_2)
	v_subrev_nc_u32_e32 v73, 28, v63
	v_sub_nc_u32_e32 v63, 29, v63
	v_lshlrev_b32_e32 v73, v73, v56
	s_delay_alu instid0(VALU_DEP_1) | instskip(SKIP_1) | instid1(VALU_DEP_1)
	v_and_b32_e32 v73, 7, v73
	v_and_b32_e32 v74, 15, v74
	v_cmp_eq_u32_e32 vcc_lo, 0, v74
	s_delay_alu instid0(VALU_DEP_3) | instskip(SKIP_1) | instid1(VALU_DEP_2)
	v_dual_cndmask_b32 v57, v57, v73 :: v_dual_lshlrev_b32 v56, 24, v56
	v_cndmask_b32_e32 v63, v74, v63, vcc_lo
	v_lshlrev_b32_e32 v57, 20, v57
	s_delay_alu instid0(VALU_DEP_3) | instskip(NEXT) | instid1(VALU_DEP_3)
	v_and_b32_e32 v56, 0x80000000, v56
	v_lshl_add_u32 v63, v63, 23, 0x3b800000
	s_delay_alu instid0(VALU_DEP_1)
	v_or3_b32 v57, v56, v63, v57
.LBB6_15016:                            ;   in Loop: Header=BB6_14474 Depth=3
	s_or_b32 exec_lo, exec_lo, s31
	s_delay_alu instid0(VALU_DEP_1) | instskip(NEXT) | instid1(VALU_DEP_1)
	v_dual_max_f32 v56, v57, v57 :: v_dual_max_f32 v57, v60, v60
	v_min_f32_e32 v60, v57, v56
.LBB6_15017:                            ;   in Loop: Header=BB6_14474 Depth=3
	s_waitcnt vmcnt(13) lgkmcnt(13)
	s_delay_alu instid0(VALU_DEP_1) | instskip(NEXT) | instid1(VALU_DEP_1)
	v_and_b32_e32 v56, 0x7f800000, v60
	v_cmp_ne_u32_e32 vcc_lo, 0x7f800000, v56
	v_mov_b32_e32 v56, 0x80
	s_and_saveexec_b32 s31, vcc_lo
	s_cbranch_execz .LBB6_15025
; %bb.15018:                            ;   in Loop: Header=BB6_14474 Depth=3
	v_mov_b32_e32 v56, 0
	s_mov_b32 s34, exec_lo
	v_cmpx_ne_u32_e32 0, v60
	s_cbranch_execz .LBB6_15024
; %bb.15019:                            ;   in Loop: Header=BB6_14474 Depth=3
	v_bfe_u32 v56, v60, 23, 8
	v_and_b32_e32 v57, 0x7fffff, v60
	s_delay_alu instid0(VALU_DEP_2) | instskip(SKIP_1) | instid1(VALU_DEP_3)
	v_sub_nc_u32_e32 v63, 0x78, v56
	v_cmp_gt_u32_e32 vcc_lo, 0x79, v56
	v_or_b32_e32 v73, 0x800000, v57
	s_delay_alu instid0(VALU_DEP_3) | instskip(SKIP_2) | instid1(VALU_DEP_3)
	v_cndmask_b32_e32 v63, 0, v63, vcc_lo
	v_cmp_eq_u32_e32 vcc_lo, 0, v56
	v_add_nc_u32_e32 v56, 0xffffff89, v56
	v_cndmask_b32_e64 v63, v63, 0x77, vcc_lo
	v_cndmask_b32_e32 v57, v73, v57, vcc_lo
	s_delay_alu instid0(VALU_DEP_3) | instskip(NEXT) | instid1(VALU_DEP_3)
	v_cndmask_b32_e64 v56, v56, 0xffffff8a, vcc_lo
	v_lshl_add_u32 v73, 0x100000, v63, -1
	s_delay_alu instid0(VALU_DEP_3) | instskip(SKIP_1) | instid1(VALU_DEP_4)
	v_lshrrev_b32_e32 v74, v63, v57
	v_lshlrev_b32_e64 v76, v63, 0x80000
	v_add_nc_u32_e32 v63, v63, v56
	s_delay_alu instid0(VALU_DEP_4) | instskip(NEXT) | instid1(VALU_DEP_4)
	v_and_b32_e32 v57, v73, v57
	v_bfe_u32 v75, v74, 20, 1
	s_delay_alu instid0(VALU_DEP_2) | instskip(NEXT) | instid1(VALU_DEP_2)
	v_cmp_eq_u32_e64 s13, v57, v76
	v_add_nc_u32_e32 v73, -1, v75
	s_delay_alu instid0(VALU_DEP_1) | instskip(SKIP_2) | instid1(VALU_DEP_2)
	v_cndmask_b32_e64 v57, 0, v73, s13
	v_lshrrev_b32_e32 v73, 23, v74
	s_mov_b32 s13, exec_lo
	v_add_nc_u32_e32 v57, v57, v74
	s_delay_alu instid0(VALU_DEP_2) | instskip(NEXT) | instid1(VALU_DEP_2)
	v_xor_b32_e32 v73, 1, v73
	v_and_b32_e32 v56, 0xfffff, v57
	s_delay_alu instid0(VALU_DEP_1) | instskip(NEXT) | instid1(VALU_DEP_3)
	v_add_nc_u32_e32 v57, v56, v74
                                        ; implicit-def: $vgpr56
	v_cmpx_ne_u32_e64 v63, v73
	s_xor_b32 s13, exec_lo, s13
; %bb.15020:                            ;   in Loop: Header=BB6_14474 Depth=3
	s_delay_alu instid0(VALU_DEP_2) | instskip(SKIP_2) | instid1(VALU_DEP_2)
	v_cmp_lt_u32_e32 vcc_lo, 0xffffff, v57
	v_sub_nc_u32_e32 v56, v63, v73
	v_cndmask_b32_e64 v63, 0, 1, vcc_lo
	v_add_co_ci_u32_e32 v56, vcc_lo, 0, v56, vcc_lo
	s_delay_alu instid0(VALU_DEP_2)
	v_lshrrev_b32_e32 v57, v63, v57
; %bb.15021:                            ;   in Loop: Header=BB6_14474 Depth=3
	s_and_not1_saveexec_b32 s13, s13
; %bb.15022:                            ;   in Loop: Header=BB6_14474 Depth=3
	s_delay_alu instid0(VALU_DEP_1)
	v_bfe_u32 v56, v57, 23, 1
; %bb.15023:                            ;   in Loop: Header=BB6_14474 Depth=3
	s_or_b32 exec_lo, exec_lo, s13
	v_lshrrev_b32_e32 v57, 20, v57
	s_delay_alu instid0(VALU_DEP_2) | instskip(SKIP_2) | instid1(VALU_DEP_2)
	v_cmp_gt_i32_e32 vcc_lo, 16, v56
	v_lshrrev_b32_e32 v60, 24, v60
	v_min_i32_e32 v63, 15, v56
	v_dual_cndmask_b32 v57, 7, v57 :: v_dual_and_b32 v60, 0x80, v60
	s_delay_alu instid0(VALU_DEP_1) | instskip(SKIP_1) | instid1(VALU_DEP_2)
	v_or_b32_e32 v56, v56, v57
	v_and_b32_e32 v73, 7, v57
	v_cmp_ne_u32_e32 vcc_lo, 0, v56
	v_lshlrev_b32_e32 v63, 3, v63
	s_delay_alu instid0(VALU_DEP_1) | instskip(NEXT) | instid1(VALU_DEP_1)
	v_or3_b32 v57, v63, v60, v73
	v_cndmask_b32_e32 v56, 0, v57, vcc_lo
.LBB6_15024:                            ;   in Loop: Header=BB6_14474 Depth=3
	s_or_b32 exec_lo, exec_lo, s34
.LBB6_15025:                            ;   in Loop: Header=BB6_14474 Depth=3
	s_delay_alu instid0(SALU_CYCLE_1) | instskip(NEXT) | instid1(SALU_CYCLE_1)
	s_or_b32 exec_lo, exec_lo, s31
	s_and_not1_b32 vcc_lo, exec_lo, s16
	s_cbranch_vccnz .LBB6_15035
; %bb.15026:                            ;   in Loop: Header=BB6_14474 Depth=3
	v_and_b32_e32 v60, 0xff, v46
	s_mov_b32 s13, 0
	s_mov_b32 s34, exec_lo
                                        ; implicit-def: $sgpr31
	s_delay_alu instid0(VALU_DEP_1)
	v_cmpx_lt_i16_e32 0x7f, v60
	s_xor_b32 s34, exec_lo, s34
	s_cbranch_execnz .LBB6_15704
; %bb.15027:                            ;   in Loop: Header=BB6_14474 Depth=3
	s_or_saveexec_b32 s34, s34
	v_mov_b32_e32 v57, s31
	s_xor_b32 exec_lo, exec_lo, s34
	s_cbranch_execnz .LBB6_15707
.LBB6_15028:                            ;   in Loop: Header=BB6_14474 Depth=3
	s_or_b32 exec_lo, exec_lo, s34
	s_and_saveexec_b32 s31, s13
	s_cbranch_execz .LBB6_15030
.LBB6_15029:                            ;   in Loop: Header=BB6_14474 Depth=3
	v_lshrrev_b16 v73, 3, v46
	s_delay_alu instid0(VALU_DEP_1) | instskip(NEXT) | instid1(VALU_DEP_1)
	v_and_b32_e32 v73, 15, v73
	v_cmp_eq_u32_e32 vcc_lo, 0, v73
	v_and_b32_e32 v57, 7, v46
	s_delay_alu instid0(VALU_DEP_1) | instskip(NEXT) | instid1(VALU_DEP_1)
	v_clz_i32_u32_e32 v60, v57
	v_min_u32_e32 v60, 32, v60
	s_delay_alu instid0(VALU_DEP_1) | instskip(SKIP_1) | instid1(VALU_DEP_1)
	v_subrev_nc_u32_e32 v63, 28, v60
	v_sub_nc_u32_e32 v60, 29, v60
	v_dual_cndmask_b32 v60, v73, v60 :: v_dual_lshlrev_b32 v63, v63, v46
	s_delay_alu instid0(VALU_DEP_1) | instskip(SKIP_1) | instid1(VALU_DEP_3)
	v_and_b32_e32 v63, 7, v63
	v_lshlrev_b32_e32 v74, 24, v46
	v_lshl_add_u32 v60, v60, 23, 0x3b800000
	s_delay_alu instid0(VALU_DEP_3) | instskip(NEXT) | instid1(VALU_DEP_3)
	v_cndmask_b32_e32 v57, v57, v63, vcc_lo
	v_and_b32_e32 v63, 0x80000000, v74
	s_delay_alu instid0(VALU_DEP_2) | instskip(NEXT) | instid1(VALU_DEP_1)
	v_lshlrev_b32_e32 v57, 20, v57
	v_or3_b32 v57, v63, v60, v57
.LBB6_15030:                            ;   in Loop: Header=BB6_14474 Depth=3
	s_or_b32 exec_lo, exec_lo, s31
	s_waitcnt vmcnt(12) lgkmcnt(12)
	v_and_b32_e32 v63, 0xff, v45
	s_mov_b32 s13, 0
	s_mov_b32 s34, exec_lo
                                        ; implicit-def: $sgpr31
	s_delay_alu instid0(VALU_DEP_1)
	v_cmpx_lt_i16_e32 0x7f, v63
	s_xor_b32 s34, exec_lo, s34
	s_cbranch_execnz .LBB6_15708
; %bb.15031:                            ;   in Loop: Header=BB6_14474 Depth=3
	s_or_saveexec_b32 s34, s34
	v_mov_b32_e32 v60, s31
	s_xor_b32 exec_lo, exec_lo, s34
	s_cbranch_execnz .LBB6_15711
.LBB6_15032:                            ;   in Loop: Header=BB6_14474 Depth=3
	s_or_b32 exec_lo, exec_lo, s34
	s_and_saveexec_b32 s31, s13
	s_cbranch_execz .LBB6_15034
.LBB6_15033:                            ;   in Loop: Header=BB6_14474 Depth=3
	v_lshrrev_b16 v74, 3, v45
	v_lshlrev_b32_e32 v75, 24, v45
	s_delay_alu instid0(VALU_DEP_2) | instskip(NEXT) | instid1(VALU_DEP_1)
	v_and_b32_e32 v74, 15, v74
	v_cmp_eq_u32_e32 vcc_lo, 0, v74
	v_and_b32_e32 v60, 7, v45
	s_delay_alu instid0(VALU_DEP_1) | instskip(NEXT) | instid1(VALU_DEP_1)
	v_clz_i32_u32_e32 v63, v60
	v_min_u32_e32 v63, 32, v63
	s_delay_alu instid0(VALU_DEP_1) | instskip(SKIP_1) | instid1(VALU_DEP_2)
	v_subrev_nc_u32_e32 v73, 28, v63
	v_sub_nc_u32_e32 v63, 29, v63
	v_lshlrev_b32_e32 v73, v73, v45
	s_delay_alu instid0(VALU_DEP_2) | instskip(NEXT) | instid1(VALU_DEP_2)
	v_cndmask_b32_e32 v63, v74, v63, vcc_lo
	v_and_b32_e32 v73, 7, v73
	s_delay_alu instid0(VALU_DEP_2) | instskip(NEXT) | instid1(VALU_DEP_2)
	v_lshl_add_u32 v63, v63, 23, 0x3b800000
	v_dual_cndmask_b32 v60, v60, v73 :: v_dual_and_b32 v73, 0x80000000, v75
	s_delay_alu instid0(VALU_DEP_1) | instskip(NEXT) | instid1(VALU_DEP_1)
	v_lshlrev_b32_e32 v60, 20, v60
	v_or3_b32 v60, v73, v63, v60
.LBB6_15034:                            ;   in Loop: Header=BB6_14474 Depth=3
	s_or_b32 exec_lo, exec_lo, s31
	s_delay_alu instid0(VALU_DEP_1) | instskip(SKIP_1) | instid1(VALU_DEP_1)
	v_dual_max_f32 v60, v60, v60 :: v_dual_max_f32 v57, v57, v57
	s_mov_b32 s13, 0
	v_max_f32_e32 v57, v57, v60
	s_branch .LBB6_15036
.LBB6_15035:                            ;   in Loop: Header=BB6_14474 Depth=3
	s_mov_b32 s13, -1
                                        ; implicit-def: $vgpr57
.LBB6_15036:                            ;   in Loop: Header=BB6_14474 Depth=3
	s_delay_alu instid0(SALU_CYCLE_1)
	s_and_b32 vcc_lo, exec_lo, s13
	s_cbranch_vccz .LBB6_15046
; %bb.15037:                            ;   in Loop: Header=BB6_14474 Depth=3
	v_and_b32_e32 v60, 0xff, v46
	s_mov_b32 s13, 0
	s_mov_b32 s34, exec_lo
                                        ; implicit-def: $sgpr31
	s_delay_alu instid0(VALU_DEP_1)
	v_cmpx_lt_i16_e32 0x7f, v60
	s_xor_b32 s34, exec_lo, s34
	s_cbranch_execnz .LBB6_15712
; %bb.15038:                            ;   in Loop: Header=BB6_14474 Depth=3
	s_or_saveexec_b32 s34, s34
	v_mov_b32_e32 v57, s31
	s_xor_b32 exec_lo, exec_lo, s34
	s_cbranch_execnz .LBB6_15715
.LBB6_15039:                            ;   in Loop: Header=BB6_14474 Depth=3
	s_or_b32 exec_lo, exec_lo, s34
	s_and_saveexec_b32 s31, s13
	s_cbranch_execz .LBB6_15041
.LBB6_15040:                            ;   in Loop: Header=BB6_14474 Depth=3
	v_lshrrev_b16 v73, 3, v46
	s_delay_alu instid0(VALU_DEP_1) | instskip(NEXT) | instid1(VALU_DEP_1)
	v_and_b32_e32 v73, 15, v73
	v_cmp_eq_u32_e32 vcc_lo, 0, v73
	v_and_b32_e32 v57, 7, v46
	s_delay_alu instid0(VALU_DEP_1) | instskip(NEXT) | instid1(VALU_DEP_1)
	v_clz_i32_u32_e32 v60, v57
	v_min_u32_e32 v60, 32, v60
	s_delay_alu instid0(VALU_DEP_1) | instskip(SKIP_1) | instid1(VALU_DEP_1)
	v_subrev_nc_u32_e32 v63, 28, v60
	v_sub_nc_u32_e32 v60, 29, v60
	v_dual_cndmask_b32 v60, v73, v60 :: v_dual_lshlrev_b32 v63, v63, v46
	s_delay_alu instid0(VALU_DEP_1) | instskip(SKIP_1) | instid1(VALU_DEP_3)
	v_and_b32_e32 v63, 7, v63
	v_lshlrev_b32_e32 v46, 24, v46
	v_lshl_add_u32 v60, v60, 23, 0x3b800000
	s_delay_alu instid0(VALU_DEP_2) | instskip(NEXT) | instid1(VALU_DEP_1)
	v_dual_cndmask_b32 v57, v57, v63 :: v_dual_and_b32 v46, 0x80000000, v46
	v_lshlrev_b32_e32 v57, 20, v57
	s_delay_alu instid0(VALU_DEP_1)
	v_or3_b32 v57, v46, v60, v57
.LBB6_15041:                            ;   in Loop: Header=BB6_14474 Depth=3
	s_or_b32 exec_lo, exec_lo, s31
	s_waitcnt vmcnt(12) lgkmcnt(12)
	v_and_b32_e32 v60, 0xff, v45
	s_mov_b32 s13, 0
	s_mov_b32 s34, exec_lo
                                        ; implicit-def: $sgpr31
	s_delay_alu instid0(VALU_DEP_1)
	v_cmpx_lt_i16_e32 0x7f, v60
	s_xor_b32 s34, exec_lo, s34
	s_cbranch_execnz .LBB6_15716
; %bb.15042:                            ;   in Loop: Header=BB6_14474 Depth=3
	s_or_saveexec_b32 s34, s34
	v_mov_b32_e32 v46, s31
	s_xor_b32 exec_lo, exec_lo, s34
	s_cbranch_execnz .LBB6_15719
.LBB6_15043:                            ;   in Loop: Header=BB6_14474 Depth=3
	s_or_b32 exec_lo, exec_lo, s34
	s_and_saveexec_b32 s31, s13
	s_cbranch_execz .LBB6_15045
.LBB6_15044:                            ;   in Loop: Header=BB6_14474 Depth=3
	v_and_b32_e32 v46, 7, v45
	v_lshrrev_b16 v73, 3, v45
	s_delay_alu instid0(VALU_DEP_2) | instskip(NEXT) | instid1(VALU_DEP_2)
	v_clz_i32_u32_e32 v60, v46
	v_and_b32_e32 v73, 15, v73
	s_delay_alu instid0(VALU_DEP_2) | instskip(NEXT) | instid1(VALU_DEP_2)
	v_min_u32_e32 v60, 32, v60
	v_cmp_eq_u32_e32 vcc_lo, 0, v73
	s_delay_alu instid0(VALU_DEP_2) | instskip(SKIP_1) | instid1(VALU_DEP_1)
	v_subrev_nc_u32_e32 v63, 28, v60
	v_sub_nc_u32_e32 v60, 29, v60
	v_dual_cndmask_b32 v60, v73, v60 :: v_dual_lshlrev_b32 v63, v63, v45
	v_lshlrev_b32_e32 v45, 24, v45
	s_delay_alu instid0(VALU_DEP_2) | instskip(NEXT) | instid1(VALU_DEP_3)
	v_and_b32_e32 v63, 7, v63
	v_lshl_add_u32 v60, v60, 23, 0x3b800000
	s_delay_alu instid0(VALU_DEP_2) | instskip(NEXT) | instid1(VALU_DEP_1)
	v_dual_cndmask_b32 v46, v46, v63 :: v_dual_and_b32 v45, 0x80000000, v45
	v_lshlrev_b32_e32 v46, 20, v46
	s_delay_alu instid0(VALU_DEP_1)
	v_or3_b32 v46, v45, v60, v46
.LBB6_15045:                            ;   in Loop: Header=BB6_14474 Depth=3
	s_or_b32 exec_lo, exec_lo, s31
	s_delay_alu instid0(VALU_DEP_1) | instskip(NEXT) | instid1(VALU_DEP_1)
	v_dual_max_f32 v45, v46, v46 :: v_dual_max_f32 v46, v57, v57
	v_min_f32_e32 v57, v46, v45
.LBB6_15046:                            ;   in Loop: Header=BB6_14474 Depth=3
	s_waitcnt vmcnt(12) lgkmcnt(12)
	s_delay_alu instid0(VALU_DEP_1) | instskip(NEXT) | instid1(VALU_DEP_1)
	v_and_b32_e32 v45, 0x7f800000, v57
	v_cmp_ne_u32_e32 vcc_lo, 0x7f800000, v45
	v_mov_b32_e32 v45, 0x80
	s_and_saveexec_b32 s31, vcc_lo
	s_cbranch_execz .LBB6_15054
; %bb.15047:                            ;   in Loop: Header=BB6_14474 Depth=3
	v_mov_b32_e32 v45, 0
	s_mov_b32 s34, exec_lo
	v_cmpx_ne_u32_e32 0, v57
	s_cbranch_execz .LBB6_15053
; %bb.15048:                            ;   in Loop: Header=BB6_14474 Depth=3
	v_bfe_u32 v45, v57, 23, 8
	v_and_b32_e32 v46, 0x7fffff, v57
	s_delay_alu instid0(VALU_DEP_2) | instskip(SKIP_1) | instid1(VALU_DEP_3)
	v_sub_nc_u32_e32 v60, 0x78, v45
	v_cmp_gt_u32_e32 vcc_lo, 0x79, v45
	v_or_b32_e32 v63, 0x800000, v46
	s_delay_alu instid0(VALU_DEP_3) | instskip(SKIP_2) | instid1(VALU_DEP_3)
	v_cndmask_b32_e32 v60, 0, v60, vcc_lo
	v_cmp_eq_u32_e32 vcc_lo, 0, v45
	v_add_nc_u32_e32 v45, 0xffffff89, v45
	v_cndmask_b32_e64 v60, v60, 0x77, vcc_lo
	v_cndmask_b32_e32 v46, v63, v46, vcc_lo
	s_delay_alu instid0(VALU_DEP_3) | instskip(NEXT) | instid1(VALU_DEP_3)
	v_cndmask_b32_e64 v45, v45, 0xffffff8a, vcc_lo
	v_lshl_add_u32 v63, 0x100000, v60, -1
	s_delay_alu instid0(VALU_DEP_3) | instskip(SKIP_1) | instid1(VALU_DEP_4)
	v_lshrrev_b32_e32 v73, v60, v46
	v_lshlrev_b32_e64 v75, v60, 0x80000
	v_add_nc_u32_e32 v60, v60, v45
	s_delay_alu instid0(VALU_DEP_4) | instskip(NEXT) | instid1(VALU_DEP_4)
	v_and_b32_e32 v46, v63, v46
	v_bfe_u32 v74, v73, 20, 1
	s_delay_alu instid0(VALU_DEP_2) | instskip(NEXT) | instid1(VALU_DEP_2)
	v_cmp_eq_u32_e64 s13, v46, v75
	v_add_nc_u32_e32 v63, -1, v74
	s_delay_alu instid0(VALU_DEP_1) | instskip(SKIP_2) | instid1(VALU_DEP_2)
	v_cndmask_b32_e64 v46, 0, v63, s13
	v_lshrrev_b32_e32 v63, 23, v73
	s_mov_b32 s13, exec_lo
	v_add_nc_u32_e32 v46, v46, v73
	s_delay_alu instid0(VALU_DEP_2) | instskip(NEXT) | instid1(VALU_DEP_2)
	v_xor_b32_e32 v63, 1, v63
	v_and_b32_e32 v45, 0xfffff, v46
	s_delay_alu instid0(VALU_DEP_1) | instskip(NEXT) | instid1(VALU_DEP_3)
	v_add_nc_u32_e32 v46, v45, v73
                                        ; implicit-def: $vgpr45
	v_cmpx_ne_u32_e64 v60, v63
	s_xor_b32 s13, exec_lo, s13
; %bb.15049:                            ;   in Loop: Header=BB6_14474 Depth=3
	s_delay_alu instid0(VALU_DEP_2) | instskip(SKIP_2) | instid1(VALU_DEP_2)
	v_cmp_lt_u32_e32 vcc_lo, 0xffffff, v46
	v_sub_nc_u32_e32 v45, v60, v63
	v_cndmask_b32_e64 v60, 0, 1, vcc_lo
	v_add_co_ci_u32_e32 v45, vcc_lo, 0, v45, vcc_lo
	s_delay_alu instid0(VALU_DEP_2)
	v_lshrrev_b32_e32 v46, v60, v46
; %bb.15050:                            ;   in Loop: Header=BB6_14474 Depth=3
	s_and_not1_saveexec_b32 s13, s13
; %bb.15051:                            ;   in Loop: Header=BB6_14474 Depth=3
	s_delay_alu instid0(VALU_DEP_1)
	v_bfe_u32 v45, v46, 23, 1
; %bb.15052:                            ;   in Loop: Header=BB6_14474 Depth=3
	s_or_b32 exec_lo, exec_lo, s13
	v_lshrrev_b32_e32 v46, 20, v46
	s_delay_alu instid0(VALU_DEP_2) | instskip(SKIP_2) | instid1(VALU_DEP_2)
	v_cmp_gt_i32_e32 vcc_lo, 16, v45
	v_lshrrev_b32_e32 v57, 24, v57
	v_min_i32_e32 v60, 15, v45
	v_dual_cndmask_b32 v46, 7, v46 :: v_dual_and_b32 v57, 0x80, v57
	s_delay_alu instid0(VALU_DEP_1) | instskip(SKIP_1) | instid1(VALU_DEP_2)
	v_or_b32_e32 v45, v45, v46
	v_and_b32_e32 v63, 7, v46
	v_cmp_ne_u32_e32 vcc_lo, 0, v45
	v_lshlrev_b32_e32 v60, 3, v60
	s_delay_alu instid0(VALU_DEP_1) | instskip(NEXT) | instid1(VALU_DEP_1)
	v_or3_b32 v46, v60, v57, v63
	v_cndmask_b32_e32 v45, 0, v46, vcc_lo
.LBB6_15053:                            ;   in Loop: Header=BB6_14474 Depth=3
	s_or_b32 exec_lo, exec_lo, s34
.LBB6_15054:                            ;   in Loop: Header=BB6_14474 Depth=3
	s_delay_alu instid0(SALU_CYCLE_1) | instskip(NEXT) | instid1(SALU_CYCLE_1)
	s_or_b32 exec_lo, exec_lo, s31
	s_and_not1_b32 vcc_lo, exec_lo, s16
	s_cbranch_vccnz .LBB6_15064
; %bb.15055:                            ;   in Loop: Header=BB6_14474 Depth=3
	v_and_b32_e32 v57, 0xff, v43
	s_mov_b32 s13, 0
	s_mov_b32 s34, exec_lo
                                        ; implicit-def: $sgpr31
	s_delay_alu instid0(VALU_DEP_1)
	v_cmpx_lt_i16_e32 0x7f, v57
	s_xor_b32 s34, exec_lo, s34
	s_cbranch_execnz .LBB6_15720
; %bb.15056:                            ;   in Loop: Header=BB6_14474 Depth=3
	s_or_saveexec_b32 s34, s34
	v_mov_b32_e32 v46, s31
	s_xor_b32 exec_lo, exec_lo, s34
	s_cbranch_execnz .LBB6_15723
.LBB6_15057:                            ;   in Loop: Header=BB6_14474 Depth=3
	s_or_b32 exec_lo, exec_lo, s34
	s_and_saveexec_b32 s31, s13
	s_cbranch_execz .LBB6_15059
.LBB6_15058:                            ;   in Loop: Header=BB6_14474 Depth=3
	v_lshrrev_b16 v63, 3, v43
	v_lshlrev_b32_e32 v73, 24, v43
	s_delay_alu instid0(VALU_DEP_2) | instskip(NEXT) | instid1(VALU_DEP_1)
	v_and_b32_e32 v63, 15, v63
	v_cmp_eq_u32_e32 vcc_lo, 0, v63
	v_and_b32_e32 v46, 7, v43
	s_delay_alu instid0(VALU_DEP_1) | instskip(NEXT) | instid1(VALU_DEP_1)
	v_clz_i32_u32_e32 v57, v46
	v_min_u32_e32 v57, 32, v57
	s_delay_alu instid0(VALU_DEP_1) | instskip(SKIP_1) | instid1(VALU_DEP_1)
	v_subrev_nc_u32_e32 v60, 28, v57
	v_sub_nc_u32_e32 v57, 29, v57
	v_dual_cndmask_b32 v57, v63, v57 :: v_dual_lshlrev_b32 v60, v60, v43
	s_delay_alu instid0(VALU_DEP_1) | instskip(NEXT) | instid1(VALU_DEP_2)
	v_and_b32_e32 v60, 7, v60
	v_lshl_add_u32 v57, v57, 23, 0x3b800000
	s_delay_alu instid0(VALU_DEP_2) | instskip(SKIP_1) | instid1(VALU_DEP_2)
	v_cndmask_b32_e32 v46, v46, v60, vcc_lo
	v_and_b32_e32 v60, 0x80000000, v73
	v_lshlrev_b32_e32 v46, 20, v46
	s_delay_alu instid0(VALU_DEP_1)
	v_or3_b32 v46, v60, v57, v46
.LBB6_15059:                            ;   in Loop: Header=BB6_14474 Depth=3
	s_or_b32 exec_lo, exec_lo, s31
	s_waitcnt vmcnt(11) lgkmcnt(11)
	v_and_b32_e32 v60, 0xff, v42
	s_mov_b32 s13, 0
	s_mov_b32 s34, exec_lo
                                        ; implicit-def: $sgpr31
	s_delay_alu instid0(VALU_DEP_1)
	v_cmpx_lt_i16_e32 0x7f, v60
	s_xor_b32 s34, exec_lo, s34
	s_cbranch_execnz .LBB6_15724
; %bb.15060:                            ;   in Loop: Header=BB6_14474 Depth=3
	s_or_saveexec_b32 s34, s34
	v_mov_b32_e32 v57, s31
	s_xor_b32 exec_lo, exec_lo, s34
	s_cbranch_execnz .LBB6_15727
.LBB6_15061:                            ;   in Loop: Header=BB6_14474 Depth=3
	s_or_b32 exec_lo, exec_lo, s34
	s_and_saveexec_b32 s31, s13
	s_cbranch_execz .LBB6_15063
.LBB6_15062:                            ;   in Loop: Header=BB6_14474 Depth=3
	v_lshrrev_b16 v73, 3, v42
	s_delay_alu instid0(VALU_DEP_1) | instskip(NEXT) | instid1(VALU_DEP_1)
	v_and_b32_e32 v73, 15, v73
	v_cmp_eq_u32_e32 vcc_lo, 0, v73
	v_and_b32_e32 v57, 7, v42
	s_delay_alu instid0(VALU_DEP_1) | instskip(NEXT) | instid1(VALU_DEP_1)
	v_clz_i32_u32_e32 v60, v57
	v_min_u32_e32 v60, 32, v60
	s_delay_alu instid0(VALU_DEP_1) | instskip(SKIP_1) | instid1(VALU_DEP_1)
	v_subrev_nc_u32_e32 v63, 28, v60
	v_sub_nc_u32_e32 v60, 29, v60
	v_dual_cndmask_b32 v60, v73, v60 :: v_dual_lshlrev_b32 v63, v63, v42
	s_delay_alu instid0(VALU_DEP_1) | instskip(SKIP_1) | instid1(VALU_DEP_3)
	v_and_b32_e32 v63, 7, v63
	v_lshlrev_b32_e32 v74, 24, v42
	v_lshl_add_u32 v60, v60, 23, 0x3b800000
	s_delay_alu instid0(VALU_DEP_3) | instskip(NEXT) | instid1(VALU_DEP_3)
	v_cndmask_b32_e32 v57, v57, v63, vcc_lo
	v_and_b32_e32 v63, 0x80000000, v74
	s_delay_alu instid0(VALU_DEP_2) | instskip(NEXT) | instid1(VALU_DEP_1)
	v_lshlrev_b32_e32 v57, 20, v57
	v_or3_b32 v57, v63, v60, v57
.LBB6_15063:                            ;   in Loop: Header=BB6_14474 Depth=3
	s_or_b32 exec_lo, exec_lo, s31
	s_delay_alu instid0(VALU_DEP_1) | instskip(SKIP_1) | instid1(VALU_DEP_1)
	v_dual_max_f32 v57, v57, v57 :: v_dual_max_f32 v46, v46, v46
	s_mov_b32 s13, 0
	v_max_f32_e32 v46, v46, v57
	s_branch .LBB6_15065
.LBB6_15064:                            ;   in Loop: Header=BB6_14474 Depth=3
	s_mov_b32 s13, -1
                                        ; implicit-def: $vgpr46
.LBB6_15065:                            ;   in Loop: Header=BB6_14474 Depth=3
	s_delay_alu instid0(SALU_CYCLE_1)
	s_and_b32 vcc_lo, exec_lo, s13
	s_cbranch_vccz .LBB6_15075
; %bb.15066:                            ;   in Loop: Header=BB6_14474 Depth=3
	v_and_b32_e32 v57, 0xff, v43
	s_mov_b32 s13, 0
	s_mov_b32 s34, exec_lo
                                        ; implicit-def: $sgpr31
	s_delay_alu instid0(VALU_DEP_1)
	v_cmpx_lt_i16_e32 0x7f, v57
	s_xor_b32 s34, exec_lo, s34
	s_cbranch_execnz .LBB6_15728
; %bb.15067:                            ;   in Loop: Header=BB6_14474 Depth=3
	s_or_saveexec_b32 s34, s34
	v_mov_b32_e32 v46, s31
	s_xor_b32 exec_lo, exec_lo, s34
	s_cbranch_execnz .LBB6_15731
.LBB6_15068:                            ;   in Loop: Header=BB6_14474 Depth=3
	s_or_b32 exec_lo, exec_lo, s34
	s_and_saveexec_b32 s31, s13
	s_cbranch_execz .LBB6_15070
.LBB6_15069:                            ;   in Loop: Header=BB6_14474 Depth=3
	v_lshrrev_b16 v63, 3, v43
	s_delay_alu instid0(VALU_DEP_1) | instskip(NEXT) | instid1(VALU_DEP_1)
	v_and_b32_e32 v63, 15, v63
	v_cmp_eq_u32_e32 vcc_lo, 0, v63
	v_and_b32_e32 v46, 7, v43
	s_delay_alu instid0(VALU_DEP_1) | instskip(NEXT) | instid1(VALU_DEP_1)
	v_clz_i32_u32_e32 v57, v46
	v_min_u32_e32 v57, 32, v57
	s_delay_alu instid0(VALU_DEP_1) | instskip(SKIP_1) | instid1(VALU_DEP_1)
	v_subrev_nc_u32_e32 v60, 28, v57
	v_sub_nc_u32_e32 v57, 29, v57
	v_dual_cndmask_b32 v57, v63, v57 :: v_dual_lshlrev_b32 v60, v60, v43
	v_lshlrev_b32_e32 v43, 24, v43
	s_delay_alu instid0(VALU_DEP_2) | instskip(NEXT) | instid1(VALU_DEP_3)
	v_and_b32_e32 v60, 7, v60
	v_lshl_add_u32 v57, v57, 23, 0x3b800000
	s_delay_alu instid0(VALU_DEP_2) | instskip(NEXT) | instid1(VALU_DEP_1)
	v_dual_cndmask_b32 v46, v46, v60 :: v_dual_and_b32 v43, 0x80000000, v43
	v_lshlrev_b32_e32 v46, 20, v46
	s_delay_alu instid0(VALU_DEP_1)
	v_or3_b32 v46, v43, v57, v46
.LBB6_15070:                            ;   in Loop: Header=BB6_14474 Depth=3
	s_or_b32 exec_lo, exec_lo, s31
	s_waitcnt vmcnt(11) lgkmcnt(11)
	v_and_b32_e32 v57, 0xff, v42
	s_mov_b32 s13, 0
	s_mov_b32 s34, exec_lo
                                        ; implicit-def: $sgpr31
	s_delay_alu instid0(VALU_DEP_1)
	v_cmpx_lt_i16_e32 0x7f, v57
	s_xor_b32 s34, exec_lo, s34
	s_cbranch_execnz .LBB6_15732
; %bb.15071:                            ;   in Loop: Header=BB6_14474 Depth=3
	s_or_saveexec_b32 s34, s34
	v_mov_b32_e32 v43, s31
	s_xor_b32 exec_lo, exec_lo, s34
	s_cbranch_execnz .LBB6_15735
.LBB6_15072:                            ;   in Loop: Header=BB6_14474 Depth=3
	s_or_b32 exec_lo, exec_lo, s34
	s_and_saveexec_b32 s31, s13
	s_cbranch_execz .LBB6_15074
.LBB6_15073:                            ;   in Loop: Header=BB6_14474 Depth=3
	v_and_b32_e32 v43, 7, v42
	v_lshrrev_b16 v63, 3, v42
	s_delay_alu instid0(VALU_DEP_2) | instskip(NEXT) | instid1(VALU_DEP_2)
	v_clz_i32_u32_e32 v57, v43
	v_and_b32_e32 v63, 15, v63
	s_delay_alu instid0(VALU_DEP_2) | instskip(NEXT) | instid1(VALU_DEP_2)
	v_min_u32_e32 v57, 32, v57
	v_cmp_eq_u32_e32 vcc_lo, 0, v63
	s_delay_alu instid0(VALU_DEP_2) | instskip(SKIP_1) | instid1(VALU_DEP_1)
	v_subrev_nc_u32_e32 v60, 28, v57
	v_sub_nc_u32_e32 v57, 29, v57
	v_dual_cndmask_b32 v57, v63, v57 :: v_dual_lshlrev_b32 v60, v60, v42
	s_delay_alu instid0(VALU_DEP_1) | instskip(SKIP_1) | instid1(VALU_DEP_3)
	v_and_b32_e32 v60, 7, v60
	v_lshlrev_b32_e32 v42, 24, v42
	v_lshl_add_u32 v57, v57, 23, 0x3b800000
	s_delay_alu instid0(VALU_DEP_2) | instskip(NEXT) | instid1(VALU_DEP_1)
	v_dual_cndmask_b32 v43, v43, v60 :: v_dual_and_b32 v42, 0x80000000, v42
	v_lshlrev_b32_e32 v43, 20, v43
	s_delay_alu instid0(VALU_DEP_1)
	v_or3_b32 v43, v42, v57, v43
.LBB6_15074:                            ;   in Loop: Header=BB6_14474 Depth=3
	s_or_b32 exec_lo, exec_lo, s31
	s_delay_alu instid0(VALU_DEP_1) | instskip(NEXT) | instid1(VALU_DEP_1)
	v_dual_max_f32 v42, v43, v43 :: v_dual_max_f32 v43, v46, v46
	v_min_f32_e32 v46, v43, v42
.LBB6_15075:                            ;   in Loop: Header=BB6_14474 Depth=3
	s_waitcnt vmcnt(11) lgkmcnt(11)
	s_delay_alu instid0(VALU_DEP_1) | instskip(NEXT) | instid1(VALU_DEP_1)
	v_and_b32_e32 v42, 0x7f800000, v46
	v_cmp_ne_u32_e32 vcc_lo, 0x7f800000, v42
	v_mov_b32_e32 v42, 0x80
	s_and_saveexec_b32 s31, vcc_lo
	s_cbranch_execz .LBB6_15083
; %bb.15076:                            ;   in Loop: Header=BB6_14474 Depth=3
	v_mov_b32_e32 v42, 0
	s_mov_b32 s34, exec_lo
	v_cmpx_ne_u32_e32 0, v46
	s_cbranch_execz .LBB6_15082
; %bb.15077:                            ;   in Loop: Header=BB6_14474 Depth=3
	v_bfe_u32 v42, v46, 23, 8
	v_and_b32_e32 v43, 0x7fffff, v46
	s_delay_alu instid0(VALU_DEP_2) | instskip(SKIP_1) | instid1(VALU_DEP_3)
	v_sub_nc_u32_e32 v57, 0x78, v42
	v_cmp_gt_u32_e32 vcc_lo, 0x79, v42
	v_or_b32_e32 v60, 0x800000, v43
	s_delay_alu instid0(VALU_DEP_3) | instskip(SKIP_2) | instid1(VALU_DEP_3)
	v_cndmask_b32_e32 v57, 0, v57, vcc_lo
	v_cmp_eq_u32_e32 vcc_lo, 0, v42
	v_add_nc_u32_e32 v42, 0xffffff89, v42
	v_cndmask_b32_e64 v57, v57, 0x77, vcc_lo
	v_cndmask_b32_e32 v43, v60, v43, vcc_lo
	s_delay_alu instid0(VALU_DEP_3) | instskip(NEXT) | instid1(VALU_DEP_3)
	v_cndmask_b32_e64 v42, v42, 0xffffff8a, vcc_lo
	v_lshl_add_u32 v60, 0x100000, v57, -1
	s_delay_alu instid0(VALU_DEP_3) | instskip(SKIP_1) | instid1(VALU_DEP_4)
	v_lshrrev_b32_e32 v63, v57, v43
	v_lshlrev_b32_e64 v74, v57, 0x80000
	v_add_nc_u32_e32 v57, v57, v42
	s_delay_alu instid0(VALU_DEP_4) | instskip(NEXT) | instid1(VALU_DEP_4)
	v_and_b32_e32 v43, v60, v43
	v_bfe_u32 v73, v63, 20, 1
	s_delay_alu instid0(VALU_DEP_2) | instskip(NEXT) | instid1(VALU_DEP_2)
	v_cmp_eq_u32_e64 s13, v43, v74
	v_add_nc_u32_e32 v60, -1, v73
	s_delay_alu instid0(VALU_DEP_1) | instskip(SKIP_2) | instid1(VALU_DEP_2)
	v_cndmask_b32_e64 v43, 0, v60, s13
	v_lshrrev_b32_e32 v60, 23, v63
	s_mov_b32 s13, exec_lo
	v_add_nc_u32_e32 v43, v43, v63
	s_delay_alu instid0(VALU_DEP_2) | instskip(NEXT) | instid1(VALU_DEP_2)
	v_xor_b32_e32 v60, 1, v60
	v_and_b32_e32 v42, 0xfffff, v43
	s_delay_alu instid0(VALU_DEP_1) | instskip(NEXT) | instid1(VALU_DEP_3)
	v_add_nc_u32_e32 v43, v42, v63
                                        ; implicit-def: $vgpr42
	v_cmpx_ne_u32_e64 v57, v60
	s_xor_b32 s13, exec_lo, s13
; %bb.15078:                            ;   in Loop: Header=BB6_14474 Depth=3
	s_delay_alu instid0(VALU_DEP_2) | instskip(SKIP_2) | instid1(VALU_DEP_2)
	v_cmp_lt_u32_e32 vcc_lo, 0xffffff, v43
	v_sub_nc_u32_e32 v42, v57, v60
	v_cndmask_b32_e64 v57, 0, 1, vcc_lo
	v_add_co_ci_u32_e32 v42, vcc_lo, 0, v42, vcc_lo
	s_delay_alu instid0(VALU_DEP_2)
	v_lshrrev_b32_e32 v43, v57, v43
; %bb.15079:                            ;   in Loop: Header=BB6_14474 Depth=3
	s_and_not1_saveexec_b32 s13, s13
; %bb.15080:                            ;   in Loop: Header=BB6_14474 Depth=3
	s_delay_alu instid0(VALU_DEP_1)
	v_bfe_u32 v42, v43, 23, 1
; %bb.15081:                            ;   in Loop: Header=BB6_14474 Depth=3
	s_or_b32 exec_lo, exec_lo, s13
	v_lshrrev_b32_e32 v43, 20, v43
	s_delay_alu instid0(VALU_DEP_2) | instskip(SKIP_2) | instid1(VALU_DEP_2)
	v_cmp_gt_i32_e32 vcc_lo, 16, v42
	v_lshrrev_b32_e32 v46, 24, v46
	v_min_i32_e32 v57, 15, v42
	v_dual_cndmask_b32 v43, 7, v43 :: v_dual_and_b32 v46, 0x80, v46
	s_delay_alu instid0(VALU_DEP_1) | instskip(SKIP_1) | instid1(VALU_DEP_2)
	v_or_b32_e32 v42, v42, v43
	v_and_b32_e32 v60, 7, v43
	v_cmp_ne_u32_e32 vcc_lo, 0, v42
	v_lshlrev_b32_e32 v57, 3, v57
	s_delay_alu instid0(VALU_DEP_1) | instskip(NEXT) | instid1(VALU_DEP_1)
	v_or3_b32 v43, v57, v46, v60
	v_cndmask_b32_e32 v42, 0, v43, vcc_lo
.LBB6_15082:                            ;   in Loop: Header=BB6_14474 Depth=3
	s_or_b32 exec_lo, exec_lo, s34
.LBB6_15083:                            ;   in Loop: Header=BB6_14474 Depth=3
	s_delay_alu instid0(SALU_CYCLE_1) | instskip(NEXT) | instid1(SALU_CYCLE_1)
	s_or_b32 exec_lo, exec_lo, s31
	s_and_not1_b32 vcc_lo, exec_lo, s16
	s_cbranch_vccnz .LBB6_15093
; %bb.15084:                            ;   in Loop: Header=BB6_14474 Depth=3
	v_and_b32_e32 v46, 0xff, v40
	s_mov_b32 s13, 0
	s_mov_b32 s34, exec_lo
                                        ; implicit-def: $sgpr31
	s_delay_alu instid0(VALU_DEP_1)
	v_cmpx_lt_i16_e32 0x7f, v46
	s_xor_b32 s34, exec_lo, s34
	s_cbranch_execnz .LBB6_15736
; %bb.15085:                            ;   in Loop: Header=BB6_14474 Depth=3
	s_or_saveexec_b32 s34, s34
	v_mov_b32_e32 v43, s31
	s_xor_b32 exec_lo, exec_lo, s34
	s_cbranch_execnz .LBB6_15739
.LBB6_15086:                            ;   in Loop: Header=BB6_14474 Depth=3
	s_or_b32 exec_lo, exec_lo, s34
	s_and_saveexec_b32 s31, s13
	s_cbranch_execz .LBB6_15088
.LBB6_15087:                            ;   in Loop: Header=BB6_14474 Depth=3
	v_lshrrev_b16 v60, 3, v40
	v_lshlrev_b32_e32 v63, 24, v40
	s_delay_alu instid0(VALU_DEP_2) | instskip(NEXT) | instid1(VALU_DEP_1)
	v_and_b32_e32 v60, 15, v60
	v_cmp_eq_u32_e32 vcc_lo, 0, v60
	v_and_b32_e32 v43, 7, v40
	s_delay_alu instid0(VALU_DEP_1) | instskip(NEXT) | instid1(VALU_DEP_1)
	v_clz_i32_u32_e32 v46, v43
	v_min_u32_e32 v46, 32, v46
	s_delay_alu instid0(VALU_DEP_1) | instskip(SKIP_1) | instid1(VALU_DEP_1)
	v_subrev_nc_u32_e32 v57, 28, v46
	v_sub_nc_u32_e32 v46, 29, v46
	v_dual_cndmask_b32 v46, v60, v46 :: v_dual_lshlrev_b32 v57, v57, v40
	s_delay_alu instid0(VALU_DEP_1) | instskip(NEXT) | instid1(VALU_DEP_2)
	v_and_b32_e32 v57, 7, v57
	v_lshl_add_u32 v46, v46, 23, 0x3b800000
	s_delay_alu instid0(VALU_DEP_2) | instskip(SKIP_1) | instid1(VALU_DEP_2)
	v_cndmask_b32_e32 v43, v43, v57, vcc_lo
	v_and_b32_e32 v57, 0x80000000, v63
	v_lshlrev_b32_e32 v43, 20, v43
	s_delay_alu instid0(VALU_DEP_1)
	v_or3_b32 v43, v57, v46, v43
.LBB6_15088:                            ;   in Loop: Header=BB6_14474 Depth=3
	s_or_b32 exec_lo, exec_lo, s31
	s_waitcnt vmcnt(10) lgkmcnt(10)
	v_and_b32_e32 v57, 0xff, v183
	s_mov_b32 s13, 0
	s_mov_b32 s34, exec_lo
                                        ; implicit-def: $sgpr31
	s_delay_alu instid0(VALU_DEP_1)
	v_cmpx_lt_i16_e32 0x7f, v57
	s_xor_b32 s34, exec_lo, s34
	s_cbranch_execnz .LBB6_15740
; %bb.15089:                            ;   in Loop: Header=BB6_14474 Depth=3
	s_or_saveexec_b32 s34, s34
	v_mov_b32_e32 v46, s31
	s_xor_b32 exec_lo, exec_lo, s34
	s_cbranch_execnz .LBB6_15743
.LBB6_15090:                            ;   in Loop: Header=BB6_14474 Depth=3
	s_or_b32 exec_lo, exec_lo, s34
	s_and_saveexec_b32 s31, s13
	s_cbranch_execz .LBB6_15092
.LBB6_15091:                            ;   in Loop: Header=BB6_14474 Depth=3
	v_lshrrev_b16 v63, 3, v183
	v_lshlrev_b32_e32 v73, 24, v183
	s_delay_alu instid0(VALU_DEP_2) | instskip(NEXT) | instid1(VALU_DEP_1)
	v_and_b32_e32 v63, 15, v63
	v_cmp_eq_u32_e32 vcc_lo, 0, v63
	v_and_b32_e32 v46, 7, v183
	s_delay_alu instid0(VALU_DEP_1) | instskip(NEXT) | instid1(VALU_DEP_1)
	v_clz_i32_u32_e32 v57, v46
	v_min_u32_e32 v57, 32, v57
	s_delay_alu instid0(VALU_DEP_1) | instskip(SKIP_1) | instid1(VALU_DEP_1)
	v_subrev_nc_u32_e32 v60, 28, v57
	v_sub_nc_u32_e32 v57, 29, v57
	v_dual_cndmask_b32 v57, v63, v57 :: v_dual_lshlrev_b32 v60, v60, v183
	s_delay_alu instid0(VALU_DEP_1) | instskip(NEXT) | instid1(VALU_DEP_2)
	v_and_b32_e32 v60, 7, v60
	v_lshl_add_u32 v57, v57, 23, 0x3b800000
	s_delay_alu instid0(VALU_DEP_2) | instskip(SKIP_1) | instid1(VALU_DEP_2)
	v_cndmask_b32_e32 v46, v46, v60, vcc_lo
	v_and_b32_e32 v60, 0x80000000, v73
	v_lshlrev_b32_e32 v46, 20, v46
	s_delay_alu instid0(VALU_DEP_1)
	v_or3_b32 v46, v60, v57, v46
.LBB6_15092:                            ;   in Loop: Header=BB6_14474 Depth=3
	s_or_b32 exec_lo, exec_lo, s31
	s_delay_alu instid0(VALU_DEP_1) | instskip(SKIP_1) | instid1(VALU_DEP_1)
	v_dual_max_f32 v46, v46, v46 :: v_dual_max_f32 v43, v43, v43
	s_mov_b32 s13, 0
	v_max_f32_e32 v43, v43, v46
	s_branch .LBB6_15094
.LBB6_15093:                            ;   in Loop: Header=BB6_14474 Depth=3
	s_mov_b32 s13, -1
                                        ; implicit-def: $vgpr43
.LBB6_15094:                            ;   in Loop: Header=BB6_14474 Depth=3
	s_delay_alu instid0(SALU_CYCLE_1)
	s_and_b32 vcc_lo, exec_lo, s13
	s_cbranch_vccz .LBB6_15104
; %bb.15095:                            ;   in Loop: Header=BB6_14474 Depth=3
	v_and_b32_e32 v46, 0xff, v40
	s_mov_b32 s13, 0
	s_mov_b32 s34, exec_lo
                                        ; implicit-def: $sgpr31
	s_delay_alu instid0(VALU_DEP_1)
	v_cmpx_lt_i16_e32 0x7f, v46
	s_xor_b32 s34, exec_lo, s34
	s_cbranch_execnz .LBB6_15744
; %bb.15096:                            ;   in Loop: Header=BB6_14474 Depth=3
	s_or_saveexec_b32 s34, s34
	v_mov_b32_e32 v43, s31
	s_xor_b32 exec_lo, exec_lo, s34
	s_cbranch_execnz .LBB6_15747
.LBB6_15097:                            ;   in Loop: Header=BB6_14474 Depth=3
	s_or_b32 exec_lo, exec_lo, s34
	s_and_saveexec_b32 s31, s13
	s_cbranch_execz .LBB6_15099
.LBB6_15098:                            ;   in Loop: Header=BB6_14474 Depth=3
	v_lshrrev_b16 v60, 3, v40
	s_delay_alu instid0(VALU_DEP_1) | instskip(NEXT) | instid1(VALU_DEP_1)
	v_and_b32_e32 v60, 15, v60
	v_cmp_eq_u32_e32 vcc_lo, 0, v60
	v_and_b32_e32 v43, 7, v40
	s_delay_alu instid0(VALU_DEP_1) | instskip(NEXT) | instid1(VALU_DEP_1)
	v_clz_i32_u32_e32 v46, v43
	v_min_u32_e32 v46, 32, v46
	s_delay_alu instid0(VALU_DEP_1) | instskip(SKIP_1) | instid1(VALU_DEP_1)
	v_subrev_nc_u32_e32 v57, 28, v46
	v_sub_nc_u32_e32 v46, 29, v46
	v_dual_cndmask_b32 v46, v60, v46 :: v_dual_lshlrev_b32 v57, v57, v40
	v_lshlrev_b32_e32 v40, 24, v40
	s_delay_alu instid0(VALU_DEP_2) | instskip(NEXT) | instid1(VALU_DEP_3)
	v_and_b32_e32 v57, 7, v57
	v_lshl_add_u32 v46, v46, 23, 0x3b800000
	s_delay_alu instid0(VALU_DEP_2) | instskip(NEXT) | instid1(VALU_DEP_1)
	v_dual_cndmask_b32 v43, v43, v57 :: v_dual_and_b32 v40, 0x80000000, v40
	v_lshlrev_b32_e32 v43, 20, v43
	s_delay_alu instid0(VALU_DEP_1)
	v_or3_b32 v43, v40, v46, v43
.LBB6_15099:                            ;   in Loop: Header=BB6_14474 Depth=3
	s_or_b32 exec_lo, exec_lo, s31
	s_waitcnt vmcnt(10) lgkmcnt(10)
	v_and_b32_e32 v46, 0xff, v183
	s_mov_b32 s13, 0
	s_mov_b32 s34, exec_lo
                                        ; implicit-def: $sgpr31
	s_delay_alu instid0(VALU_DEP_1)
	v_cmpx_lt_i16_e32 0x7f, v46
	s_xor_b32 s34, exec_lo, s34
	s_cbranch_execnz .LBB6_15748
; %bb.15100:                            ;   in Loop: Header=BB6_14474 Depth=3
	s_or_saveexec_b32 s34, s34
	v_mov_b32_e32 v40, s31
	s_xor_b32 exec_lo, exec_lo, s34
	s_cbranch_execnz .LBB6_15751
.LBB6_15101:                            ;   in Loop: Header=BB6_14474 Depth=3
	s_or_b32 exec_lo, exec_lo, s34
	s_and_saveexec_b32 s31, s13
	s_cbranch_execz .LBB6_15103
.LBB6_15102:                            ;   in Loop: Header=BB6_14474 Depth=3
	v_and_b32_e32 v40, 7, v183
	v_lshrrev_b16 v60, 3, v183
	s_delay_alu instid0(VALU_DEP_2) | instskip(NEXT) | instid1(VALU_DEP_2)
	v_clz_i32_u32_e32 v46, v40
	v_and_b32_e32 v60, 15, v60
	s_delay_alu instid0(VALU_DEP_2) | instskip(NEXT) | instid1(VALU_DEP_2)
	v_min_u32_e32 v46, 32, v46
	v_cmp_eq_u32_e32 vcc_lo, 0, v60
	s_delay_alu instid0(VALU_DEP_2) | instskip(SKIP_1) | instid1(VALU_DEP_1)
	v_subrev_nc_u32_e32 v57, 28, v46
	v_sub_nc_u32_e32 v46, 29, v46
	v_dual_cndmask_b32 v46, v60, v46 :: v_dual_lshlrev_b32 v57, v57, v183
	s_delay_alu instid0(VALU_DEP_1) | instskip(SKIP_1) | instid1(VALU_DEP_3)
	v_and_b32_e32 v57, 7, v57
	v_lshlrev_b32_e32 v183, 24, v183
	v_lshl_add_u32 v46, v46, 23, 0x3b800000
	s_delay_alu instid0(VALU_DEP_2) | instskip(NEXT) | instid1(VALU_DEP_1)
	v_dual_cndmask_b32 v40, v40, v57 :: v_dual_and_b32 v183, 0x80000000, v183
	v_lshlrev_b32_e32 v40, 20, v40
	s_delay_alu instid0(VALU_DEP_1)
	v_or3_b32 v40, v183, v46, v40
.LBB6_15103:                            ;   in Loop: Header=BB6_14474 Depth=3
	s_or_b32 exec_lo, exec_lo, s31
	s_delay_alu instid0(VALU_DEP_1) | instskip(NEXT) | instid1(VALU_DEP_1)
	v_dual_max_f32 v183, v40, v40 :: v_dual_max_f32 v40, v43, v43
	v_min_f32_e32 v43, v40, v183
.LBB6_15104:                            ;   in Loop: Header=BB6_14474 Depth=3
	s_waitcnt vmcnt(10) lgkmcnt(10)
	s_delay_alu instid0(VALU_DEP_1) | instskip(NEXT) | instid1(VALU_DEP_1)
	v_and_b32_e32 v183, 0x7f800000, v43
	v_cmp_ne_u32_e32 vcc_lo, 0x7f800000, v183
	v_mov_b32_e32 v183, 0x80
	s_and_saveexec_b32 s31, vcc_lo
	s_cbranch_execz .LBB6_15112
; %bb.15105:                            ;   in Loop: Header=BB6_14474 Depth=3
	v_mov_b32_e32 v183, 0
	s_mov_b32 s34, exec_lo
	v_cmpx_ne_u32_e32 0, v43
	s_cbranch_execz .LBB6_15111
; %bb.15106:                            ;   in Loop: Header=BB6_14474 Depth=3
	v_bfe_u32 v183, v43, 23, 8
	v_and_b32_e32 v40, 0x7fffff, v43
	s_delay_alu instid0(VALU_DEP_2) | instskip(SKIP_1) | instid1(VALU_DEP_3)
	v_sub_nc_u32_e32 v46, 0x78, v183
	v_cmp_gt_u32_e32 vcc_lo, 0x79, v183
	v_or_b32_e32 v57, 0x800000, v40
	s_delay_alu instid0(VALU_DEP_3) | instskip(SKIP_2) | instid1(VALU_DEP_3)
	v_cndmask_b32_e32 v46, 0, v46, vcc_lo
	v_cmp_eq_u32_e32 vcc_lo, 0, v183
	v_add_nc_u32_e32 v183, 0xffffff89, v183
	v_cndmask_b32_e64 v46, v46, 0x77, vcc_lo
	v_cndmask_b32_e32 v40, v57, v40, vcc_lo
	s_delay_alu instid0(VALU_DEP_3) | instskip(NEXT) | instid1(VALU_DEP_3)
	v_cndmask_b32_e64 v183, v183, 0xffffff8a, vcc_lo
	v_lshl_add_u32 v57, 0x100000, v46, -1
	s_delay_alu instid0(VALU_DEP_3) | instskip(SKIP_1) | instid1(VALU_DEP_4)
	v_lshrrev_b32_e32 v60, v46, v40
	v_lshlrev_b32_e64 v73, v46, 0x80000
	v_add_nc_u32_e32 v46, v46, v183
	s_delay_alu instid0(VALU_DEP_4) | instskip(NEXT) | instid1(VALU_DEP_4)
	v_and_b32_e32 v40, v57, v40
	v_bfe_u32 v63, v60, 20, 1
	s_delay_alu instid0(VALU_DEP_2) | instskip(NEXT) | instid1(VALU_DEP_2)
	v_cmp_eq_u32_e64 s13, v40, v73
	v_add_nc_u32_e32 v57, -1, v63
	s_delay_alu instid0(VALU_DEP_1) | instskip(SKIP_2) | instid1(VALU_DEP_2)
	v_cndmask_b32_e64 v40, 0, v57, s13
	v_lshrrev_b32_e32 v57, 23, v60
	s_mov_b32 s13, exec_lo
	v_add_nc_u32_e32 v40, v40, v60
	s_delay_alu instid0(VALU_DEP_2) | instskip(NEXT) | instid1(VALU_DEP_2)
	v_xor_b32_e32 v57, 1, v57
	v_and_b32_e32 v183, 0xfffff, v40
	s_delay_alu instid0(VALU_DEP_1) | instskip(NEXT) | instid1(VALU_DEP_3)
	v_add_nc_u32_e32 v40, v183, v60
                                        ; implicit-def: $vgpr183
	v_cmpx_ne_u32_e64 v46, v57
	s_xor_b32 s13, exec_lo, s13
; %bb.15107:                            ;   in Loop: Header=BB6_14474 Depth=3
	s_delay_alu instid0(VALU_DEP_2) | instskip(SKIP_2) | instid1(VALU_DEP_2)
	v_cmp_lt_u32_e32 vcc_lo, 0xffffff, v40
	v_sub_nc_u32_e32 v183, v46, v57
	v_cndmask_b32_e64 v46, 0, 1, vcc_lo
	v_add_co_ci_u32_e32 v183, vcc_lo, 0, v183, vcc_lo
	s_delay_alu instid0(VALU_DEP_2)
	v_lshrrev_b32_e32 v40, v46, v40
; %bb.15108:                            ;   in Loop: Header=BB6_14474 Depth=3
	s_and_not1_saveexec_b32 s13, s13
; %bb.15109:                            ;   in Loop: Header=BB6_14474 Depth=3
	s_delay_alu instid0(VALU_DEP_1)
	v_bfe_u32 v183, v40, 23, 1
; %bb.15110:                            ;   in Loop: Header=BB6_14474 Depth=3
	s_or_b32 exec_lo, exec_lo, s13
	v_lshrrev_b32_e32 v40, 20, v40
	s_delay_alu instid0(VALU_DEP_2) | instskip(SKIP_2) | instid1(VALU_DEP_2)
	v_cmp_gt_i32_e32 vcc_lo, 16, v183
	v_lshrrev_b32_e32 v43, 24, v43
	v_min_i32_e32 v46, 15, v183
	v_dual_cndmask_b32 v40, 7, v40 :: v_dual_and_b32 v43, 0x80, v43
	s_delay_alu instid0(VALU_DEP_1) | instskip(SKIP_1) | instid1(VALU_DEP_2)
	v_or_b32_e32 v183, v183, v40
	v_and_b32_e32 v57, 7, v40
	v_cmp_ne_u32_e32 vcc_lo, 0, v183
	v_lshlrev_b32_e32 v46, 3, v46
	s_delay_alu instid0(VALU_DEP_1) | instskip(NEXT) | instid1(VALU_DEP_1)
	v_or3_b32 v40, v46, v43, v57
	v_cndmask_b32_e32 v183, 0, v40, vcc_lo
.LBB6_15111:                            ;   in Loop: Header=BB6_14474 Depth=3
	s_or_b32 exec_lo, exec_lo, s34
.LBB6_15112:                            ;   in Loop: Header=BB6_14474 Depth=3
	s_delay_alu instid0(SALU_CYCLE_1) | instskip(NEXT) | instid1(SALU_CYCLE_1)
	s_or_b32 exec_lo, exec_lo, s31
	s_and_not1_b32 vcc_lo, exec_lo, s16
	s_cbranch_vccnz .LBB6_15122
; %bb.15113:                            ;   in Loop: Header=BB6_14474 Depth=3
	v_and_b32_e32 v43, 0xff, v116
	s_mov_b32 s13, 0
	s_mov_b32 s34, exec_lo
                                        ; implicit-def: $sgpr31
	s_delay_alu instid0(VALU_DEP_1)
	v_cmpx_lt_i16_e32 0x7f, v43
	s_xor_b32 s34, exec_lo, s34
	s_cbranch_execnz .LBB6_15752
; %bb.15114:                            ;   in Loop: Header=BB6_14474 Depth=3
	s_or_saveexec_b32 s34, s34
	v_mov_b32_e32 v40, s31
	s_xor_b32 exec_lo, exec_lo, s34
	s_cbranch_execnz .LBB6_15755
.LBB6_15115:                            ;   in Loop: Header=BB6_14474 Depth=3
	s_or_b32 exec_lo, exec_lo, s34
	s_and_saveexec_b32 s31, s13
	s_cbranch_execz .LBB6_15117
.LBB6_15116:                            ;   in Loop: Header=BB6_14474 Depth=3
	v_lshrrev_b16 v57, 3, v116
	v_lshlrev_b32_e32 v60, 24, v116
	s_delay_alu instid0(VALU_DEP_2) | instskip(NEXT) | instid1(VALU_DEP_1)
	v_and_b32_e32 v57, 15, v57
	v_cmp_eq_u32_e32 vcc_lo, 0, v57
	v_and_b32_e32 v40, 7, v116
	s_delay_alu instid0(VALU_DEP_1) | instskip(NEXT) | instid1(VALU_DEP_1)
	v_clz_i32_u32_e32 v43, v40
	v_min_u32_e32 v43, 32, v43
	s_delay_alu instid0(VALU_DEP_1) | instskip(SKIP_1) | instid1(VALU_DEP_1)
	v_subrev_nc_u32_e32 v46, 28, v43
	v_sub_nc_u32_e32 v43, 29, v43
	v_dual_cndmask_b32 v43, v57, v43 :: v_dual_lshlrev_b32 v46, v46, v116
	s_delay_alu instid0(VALU_DEP_1) | instskip(NEXT) | instid1(VALU_DEP_2)
	v_and_b32_e32 v46, 7, v46
	v_lshl_add_u32 v43, v43, 23, 0x3b800000
	s_delay_alu instid0(VALU_DEP_2) | instskip(SKIP_1) | instid1(VALU_DEP_2)
	v_cndmask_b32_e32 v40, v40, v46, vcc_lo
	v_and_b32_e32 v46, 0x80000000, v60
	v_lshlrev_b32_e32 v40, 20, v40
	s_delay_alu instid0(VALU_DEP_1)
	v_or3_b32 v40, v46, v43, v40
.LBB6_15117:                            ;   in Loop: Header=BB6_14474 Depth=3
	s_or_b32 exec_lo, exec_lo, s31
	s_waitcnt vmcnt(9) lgkmcnt(9)
	v_and_b32_e32 v46, 0xff, v115
	s_mov_b32 s13, 0
	s_mov_b32 s34, exec_lo
                                        ; implicit-def: $sgpr31
	s_delay_alu instid0(VALU_DEP_1)
	v_cmpx_lt_i16_e32 0x7f, v46
	s_xor_b32 s34, exec_lo, s34
	s_cbranch_execnz .LBB6_15756
; %bb.15118:                            ;   in Loop: Header=BB6_14474 Depth=3
	s_or_saveexec_b32 s34, s34
	v_mov_b32_e32 v43, s31
	s_xor_b32 exec_lo, exec_lo, s34
	s_cbranch_execnz .LBB6_15759
.LBB6_15119:                            ;   in Loop: Header=BB6_14474 Depth=3
	s_or_b32 exec_lo, exec_lo, s34
	s_and_saveexec_b32 s31, s13
	s_cbranch_execz .LBB6_15121
.LBB6_15120:                            ;   in Loop: Header=BB6_14474 Depth=3
	v_lshrrev_b16 v60, 3, v115
	v_lshlrev_b32_e32 v63, 24, v115
	s_delay_alu instid0(VALU_DEP_2) | instskip(NEXT) | instid1(VALU_DEP_1)
	v_and_b32_e32 v60, 15, v60
	v_cmp_eq_u32_e32 vcc_lo, 0, v60
	v_and_b32_e32 v43, 7, v115
	s_delay_alu instid0(VALU_DEP_1) | instskip(NEXT) | instid1(VALU_DEP_1)
	v_clz_i32_u32_e32 v46, v43
	v_min_u32_e32 v46, 32, v46
	s_delay_alu instid0(VALU_DEP_1) | instskip(SKIP_1) | instid1(VALU_DEP_1)
	v_subrev_nc_u32_e32 v57, 28, v46
	v_sub_nc_u32_e32 v46, 29, v46
	v_dual_cndmask_b32 v46, v60, v46 :: v_dual_lshlrev_b32 v57, v57, v115
	s_delay_alu instid0(VALU_DEP_1) | instskip(NEXT) | instid1(VALU_DEP_2)
	v_and_b32_e32 v57, 7, v57
	v_lshl_add_u32 v46, v46, 23, 0x3b800000
	s_delay_alu instid0(VALU_DEP_2) | instskip(SKIP_1) | instid1(VALU_DEP_2)
	v_cndmask_b32_e32 v43, v43, v57, vcc_lo
	v_and_b32_e32 v57, 0x80000000, v63
	v_lshlrev_b32_e32 v43, 20, v43
	s_delay_alu instid0(VALU_DEP_1)
	v_or3_b32 v43, v57, v46, v43
.LBB6_15121:                            ;   in Loop: Header=BB6_14474 Depth=3
	s_or_b32 exec_lo, exec_lo, s31
	s_delay_alu instid0(VALU_DEP_1) | instskip(SKIP_1) | instid1(VALU_DEP_1)
	v_dual_max_f32 v43, v43, v43 :: v_dual_max_f32 v40, v40, v40
	s_mov_b32 s13, 0
	v_max_f32_e32 v40, v40, v43
	s_branch .LBB6_15123
.LBB6_15122:                            ;   in Loop: Header=BB6_14474 Depth=3
	s_mov_b32 s13, -1
                                        ; implicit-def: $vgpr40
.LBB6_15123:                            ;   in Loop: Header=BB6_14474 Depth=3
	s_delay_alu instid0(SALU_CYCLE_1)
	s_and_b32 vcc_lo, exec_lo, s13
	s_cbranch_vccz .LBB6_15133
; %bb.15124:                            ;   in Loop: Header=BB6_14474 Depth=3
	v_and_b32_e32 v43, 0xff, v116
	s_mov_b32 s13, 0
	s_mov_b32 s34, exec_lo
                                        ; implicit-def: $sgpr31
	s_delay_alu instid0(VALU_DEP_1)
	v_cmpx_lt_i16_e32 0x7f, v43
	s_xor_b32 s34, exec_lo, s34
	s_cbranch_execnz .LBB6_15760
; %bb.15125:                            ;   in Loop: Header=BB6_14474 Depth=3
	s_or_saveexec_b32 s34, s34
	v_mov_b32_e32 v40, s31
	s_xor_b32 exec_lo, exec_lo, s34
	s_cbranch_execnz .LBB6_15763
.LBB6_15126:                            ;   in Loop: Header=BB6_14474 Depth=3
	s_or_b32 exec_lo, exec_lo, s34
	s_and_saveexec_b32 s31, s13
	s_cbranch_execz .LBB6_15128
.LBB6_15127:                            ;   in Loop: Header=BB6_14474 Depth=3
	v_lshrrev_b16 v57, 3, v116
	s_delay_alu instid0(VALU_DEP_1) | instskip(NEXT) | instid1(VALU_DEP_1)
	v_and_b32_e32 v57, 15, v57
	v_cmp_eq_u32_e32 vcc_lo, 0, v57
	v_and_b32_e32 v40, 7, v116
	s_delay_alu instid0(VALU_DEP_1) | instskip(NEXT) | instid1(VALU_DEP_1)
	v_clz_i32_u32_e32 v43, v40
	v_min_u32_e32 v43, 32, v43
	s_delay_alu instid0(VALU_DEP_1) | instskip(SKIP_1) | instid1(VALU_DEP_1)
	v_subrev_nc_u32_e32 v46, 28, v43
	v_sub_nc_u32_e32 v43, 29, v43
	v_dual_cndmask_b32 v43, v57, v43 :: v_dual_lshlrev_b32 v46, v46, v116
	v_lshlrev_b32_e32 v116, 24, v116
	s_delay_alu instid0(VALU_DEP_2) | instskip(NEXT) | instid1(VALU_DEP_3)
	v_and_b32_e32 v46, 7, v46
	v_lshl_add_u32 v43, v43, 23, 0x3b800000
	s_delay_alu instid0(VALU_DEP_3) | instskip(NEXT) | instid1(VALU_DEP_3)
	v_and_b32_e32 v116, 0x80000000, v116
	v_cndmask_b32_e32 v40, v40, v46, vcc_lo
	s_delay_alu instid0(VALU_DEP_1) | instskip(NEXT) | instid1(VALU_DEP_1)
	v_lshlrev_b32_e32 v40, 20, v40
	v_or3_b32 v40, v116, v43, v40
.LBB6_15128:                            ;   in Loop: Header=BB6_14474 Depth=3
	s_or_b32 exec_lo, exec_lo, s31
	s_waitcnt vmcnt(9) lgkmcnt(9)
	v_and_b32_e32 v43, 0xff, v115
	s_mov_b32 s13, 0
	s_mov_b32 s34, exec_lo
                                        ; implicit-def: $sgpr31
	s_delay_alu instid0(VALU_DEP_1)
	v_cmpx_lt_i16_e32 0x7f, v43
	s_xor_b32 s34, exec_lo, s34
	s_cbranch_execnz .LBB6_15764
; %bb.15129:                            ;   in Loop: Header=BB6_14474 Depth=3
	s_or_saveexec_b32 s34, s34
	v_mov_b32_e32 v116, s31
	s_xor_b32 exec_lo, exec_lo, s34
	s_cbranch_execnz .LBB6_15767
.LBB6_15130:                            ;   in Loop: Header=BB6_14474 Depth=3
	s_or_b32 exec_lo, exec_lo, s34
	s_and_saveexec_b32 s31, s13
	s_cbranch_execz .LBB6_15132
.LBB6_15131:                            ;   in Loop: Header=BB6_14474 Depth=3
	v_and_b32_e32 v116, 7, v115
	v_lshrrev_b16 v57, 3, v115
	s_delay_alu instid0(VALU_DEP_2) | instskip(NEXT) | instid1(VALU_DEP_1)
	v_clz_i32_u32_e32 v43, v116
	v_min_u32_e32 v43, 32, v43
	s_delay_alu instid0(VALU_DEP_1) | instskip(SKIP_1) | instid1(VALU_DEP_2)
	v_subrev_nc_u32_e32 v46, 28, v43
	v_sub_nc_u32_e32 v43, 29, v43
	v_lshlrev_b32_e32 v46, v46, v115
	v_lshlrev_b32_e32 v115, 24, v115
	s_delay_alu instid0(VALU_DEP_2) | instskip(SKIP_1) | instid1(VALU_DEP_3)
	v_and_b32_e32 v46, 7, v46
	v_and_b32_e32 v57, 15, v57
	;; [unrolled: 1-line block ×3, first 2 shown]
	s_delay_alu instid0(VALU_DEP_2) | instskip(NEXT) | instid1(VALU_DEP_4)
	v_cmp_eq_u32_e32 vcc_lo, 0, v57
	v_dual_cndmask_b32 v116, v116, v46 :: v_dual_cndmask_b32 v43, v57, v43
	s_delay_alu instid0(VALU_DEP_1) | instskip(NEXT) | instid1(VALU_DEP_2)
	v_lshlrev_b32_e32 v116, 20, v116
	v_lshl_add_u32 v43, v43, 23, 0x3b800000
	s_delay_alu instid0(VALU_DEP_1)
	v_or3_b32 v116, v115, v43, v116
.LBB6_15132:                            ;   in Loop: Header=BB6_14474 Depth=3
	s_or_b32 exec_lo, exec_lo, s31
	s_delay_alu instid0(VALU_DEP_1) | instskip(SKIP_1) | instid1(VALU_DEP_1)
	v_max_f32_e32 v115, v116, v116
	v_max_f32_e32 v116, v40, v40
	v_min_f32_e32 v40, v116, v115
.LBB6_15133:                            ;   in Loop: Header=BB6_14474 Depth=3
	s_waitcnt vmcnt(9) lgkmcnt(9)
	s_delay_alu instid0(VALU_DEP_1) | instskip(NEXT) | instid1(VALU_DEP_1)
	v_and_b32_e32 v115, 0x7f800000, v40
	v_cmp_ne_u32_e32 vcc_lo, 0x7f800000, v115
	v_mov_b32_e32 v115, 0x80
	s_and_saveexec_b32 s31, vcc_lo
	s_cbranch_execz .LBB6_15141
; %bb.15134:                            ;   in Loop: Header=BB6_14474 Depth=3
	v_mov_b32_e32 v115, 0
	s_mov_b32 s34, exec_lo
	v_cmpx_ne_u32_e32 0, v40
	s_cbranch_execz .LBB6_15140
; %bb.15135:                            ;   in Loop: Header=BB6_14474 Depth=3
	v_bfe_u32 v115, v40, 23, 8
	s_delay_alu instid0(VALU_DEP_1) | instskip(SKIP_1) | instid1(VALU_DEP_2)
	v_sub_nc_u32_e32 v43, 0x78, v115
	v_cmp_gt_u32_e32 vcc_lo, 0x79, v115
	v_dual_cndmask_b32 v43, 0, v43 :: v_dual_and_b32 v116, 0x7fffff, v40
	s_delay_alu instid0(VALU_DEP_1) | instskip(SKIP_2) | instid1(VALU_DEP_4)
	v_or_b32_e32 v46, 0x800000, v116
	v_cmp_eq_u32_e32 vcc_lo, 0, v115
	v_add_nc_u32_e32 v115, 0xffffff89, v115
	v_cndmask_b32_e64 v43, v43, 0x77, vcc_lo
	s_delay_alu instid0(VALU_DEP_4) | instskip(NEXT) | instid1(VALU_DEP_3)
	v_cndmask_b32_e32 v116, v46, v116, vcc_lo
	v_cndmask_b32_e64 v115, v115, 0xffffff8a, vcc_lo
	s_delay_alu instid0(VALU_DEP_3) | instskip(NEXT) | instid1(VALU_DEP_3)
	v_lshl_add_u32 v46, 0x100000, v43, -1
	v_lshrrev_b32_e32 v57, v43, v116
	v_lshlrev_b32_e64 v63, v43, 0x80000
	s_delay_alu instid0(VALU_DEP_4) | instskip(NEXT) | instid1(VALU_DEP_4)
	v_add_nc_u32_e32 v43, v43, v115
	v_and_b32_e32 v116, v46, v116
	s_delay_alu instid0(VALU_DEP_4) | instskip(NEXT) | instid1(VALU_DEP_2)
	v_bfe_u32 v60, v57, 20, 1
	v_cmp_eq_u32_e64 s13, v116, v63
	s_delay_alu instid0(VALU_DEP_2) | instskip(NEXT) | instid1(VALU_DEP_1)
	v_add_nc_u32_e32 v46, -1, v60
	v_cndmask_b32_e64 v116, 0, v46, s13
	v_lshrrev_b32_e32 v46, 23, v57
	s_mov_b32 s13, exec_lo
	s_delay_alu instid0(VALU_DEP_2) | instskip(NEXT) | instid1(VALU_DEP_2)
	v_add_nc_u32_e32 v116, v116, v57
	v_xor_b32_e32 v46, 1, v46
	s_delay_alu instid0(VALU_DEP_2) | instskip(NEXT) | instid1(VALU_DEP_1)
	v_and_b32_e32 v115, 0xfffff, v116
	v_add_nc_u32_e32 v116, v115, v57
                                        ; implicit-def: $vgpr115
	s_delay_alu instid0(VALU_DEP_3)
	v_cmpx_ne_u32_e64 v43, v46
	s_xor_b32 s13, exec_lo, s13
; %bb.15136:                            ;   in Loop: Header=BB6_14474 Depth=3
	s_delay_alu instid0(VALU_DEP_2) | instskip(SKIP_2) | instid1(VALU_DEP_2)
	v_cmp_lt_u32_e32 vcc_lo, 0xffffff, v116
	v_sub_nc_u32_e32 v115, v43, v46
	v_cndmask_b32_e64 v43, 0, 1, vcc_lo
	v_add_co_ci_u32_e32 v115, vcc_lo, 0, v115, vcc_lo
	s_delay_alu instid0(VALU_DEP_2)
	v_lshrrev_b32_e32 v116, v43, v116
; %bb.15137:                            ;   in Loop: Header=BB6_14474 Depth=3
	s_and_not1_saveexec_b32 s13, s13
; %bb.15138:                            ;   in Loop: Header=BB6_14474 Depth=3
	s_delay_alu instid0(VALU_DEP_1)
	v_bfe_u32 v115, v116, 23, 1
; %bb.15139:                            ;   in Loop: Header=BB6_14474 Depth=3
	s_or_b32 exec_lo, exec_lo, s13
	v_lshrrev_b32_e32 v116, 20, v116
	s_delay_alu instid0(VALU_DEP_2) | instskip(SKIP_2) | instid1(VALU_DEP_4)
	v_cmp_gt_i32_e32 vcc_lo, 16, v115
	v_lshrrev_b32_e32 v40, 24, v40
	v_min_i32_e32 v43, 15, v115
	v_cndmask_b32_e32 v116, 7, v116, vcc_lo
	s_delay_alu instid0(VALU_DEP_3) | instskip(NEXT) | instid1(VALU_DEP_3)
	v_and_b32_e32 v40, 0x80, v40
	v_lshlrev_b32_e32 v43, 3, v43
	s_delay_alu instid0(VALU_DEP_3) | instskip(SKIP_1) | instid1(VALU_DEP_2)
	v_and_b32_e32 v46, 7, v116
	v_or_b32_e32 v115, v115, v116
	v_or3_b32 v116, v43, v40, v46
	s_delay_alu instid0(VALU_DEP_2) | instskip(NEXT) | instid1(VALU_DEP_2)
	v_cmp_ne_u32_e32 vcc_lo, 0, v115
	v_cndmask_b32_e32 v115, 0, v116, vcc_lo
.LBB6_15140:                            ;   in Loop: Header=BB6_14474 Depth=3
	s_or_b32 exec_lo, exec_lo, s34
.LBB6_15141:                            ;   in Loop: Header=BB6_14474 Depth=3
	s_delay_alu instid0(SALU_CYCLE_1) | instskip(NEXT) | instid1(SALU_CYCLE_1)
	s_or_b32 exec_lo, exec_lo, s31
	s_and_not1_b32 vcc_lo, exec_lo, s16
	s_cbranch_vccnz .LBB6_15151
; %bb.15142:                            ;   in Loop: Header=BB6_14474 Depth=3
	v_and_b32_e32 v40, 0xff, v113
	s_mov_b32 s13, 0
	s_mov_b32 s34, exec_lo
                                        ; implicit-def: $sgpr31
	s_delay_alu instid0(VALU_DEP_1)
	v_cmpx_lt_i16_e32 0x7f, v40
	s_xor_b32 s34, exec_lo, s34
	s_cbranch_execnz .LBB6_15768
; %bb.15143:                            ;   in Loop: Header=BB6_14474 Depth=3
	s_or_saveexec_b32 s34, s34
	v_mov_b32_e32 v116, s31
	s_xor_b32 exec_lo, exec_lo, s34
	s_cbranch_execnz .LBB6_15771
.LBB6_15144:                            ;   in Loop: Header=BB6_14474 Depth=3
	s_or_b32 exec_lo, exec_lo, s34
	s_and_saveexec_b32 s31, s13
	s_cbranch_execz .LBB6_15146
.LBB6_15145:                            ;   in Loop: Header=BB6_14474 Depth=3
	v_and_b32_e32 v116, 7, v113
	v_lshrrev_b16 v46, 3, v113
	s_delay_alu instid0(VALU_DEP_2) | instskip(NEXT) | instid1(VALU_DEP_2)
	v_clz_i32_u32_e32 v40, v116
	v_and_b32_e32 v46, 15, v46
	s_delay_alu instid0(VALU_DEP_2) | instskip(NEXT) | instid1(VALU_DEP_2)
	v_min_u32_e32 v40, 32, v40
	v_cmp_eq_u32_e32 vcc_lo, 0, v46
	s_delay_alu instid0(VALU_DEP_2) | instskip(SKIP_1) | instid1(VALU_DEP_1)
	v_subrev_nc_u32_e32 v43, 28, v40
	v_sub_nc_u32_e32 v40, 29, v40
	v_dual_cndmask_b32 v40, v46, v40 :: v_dual_lshlrev_b32 v43, v43, v113
	s_delay_alu instid0(VALU_DEP_1) | instskip(SKIP_1) | instid1(VALU_DEP_3)
	v_and_b32_e32 v43, 7, v43
	v_lshlrev_b32_e32 v57, 24, v113
	v_lshl_add_u32 v40, v40, 23, 0x3b800000
	s_delay_alu instid0(VALU_DEP_2) | instskip(NEXT) | instid1(VALU_DEP_1)
	v_dual_cndmask_b32 v116, v116, v43 :: v_dual_and_b32 v43, 0x80000000, v57
	v_lshlrev_b32_e32 v116, 20, v116
	s_delay_alu instid0(VALU_DEP_1)
	v_or3_b32 v116, v43, v40, v116
.LBB6_15146:                            ;   in Loop: Header=BB6_14474 Depth=3
	s_or_b32 exec_lo, exec_lo, s31
	s_waitcnt vmcnt(8) lgkmcnt(8)
	v_and_b32_e32 v43, 0xff, v112
	s_mov_b32 s13, 0
	s_mov_b32 s34, exec_lo
                                        ; implicit-def: $sgpr31
	s_delay_alu instid0(VALU_DEP_1)
	v_cmpx_lt_i16_e32 0x7f, v43
	s_xor_b32 s34, exec_lo, s34
	s_cbranch_execnz .LBB6_15772
; %bb.15147:                            ;   in Loop: Header=BB6_14474 Depth=3
	s_or_saveexec_b32 s34, s34
	v_mov_b32_e32 v40, s31
	s_xor_b32 exec_lo, exec_lo, s34
	s_cbranch_execnz .LBB6_15775
.LBB6_15148:                            ;   in Loop: Header=BB6_14474 Depth=3
	s_or_b32 exec_lo, exec_lo, s34
	s_and_saveexec_b32 s31, s13
	s_cbranch_execz .LBB6_15150
.LBB6_15149:                            ;   in Loop: Header=BB6_14474 Depth=3
	v_lshrrev_b16 v57, 3, v112
	v_lshlrev_b32_e32 v60, 24, v112
	s_delay_alu instid0(VALU_DEP_2) | instskip(NEXT) | instid1(VALU_DEP_1)
	v_and_b32_e32 v57, 15, v57
	v_cmp_eq_u32_e32 vcc_lo, 0, v57
	v_and_b32_e32 v40, 7, v112
	s_delay_alu instid0(VALU_DEP_1) | instskip(NEXT) | instid1(VALU_DEP_1)
	v_clz_i32_u32_e32 v43, v40
	v_min_u32_e32 v43, 32, v43
	s_delay_alu instid0(VALU_DEP_1) | instskip(SKIP_1) | instid1(VALU_DEP_1)
	v_subrev_nc_u32_e32 v46, 28, v43
	v_sub_nc_u32_e32 v43, 29, v43
	v_dual_cndmask_b32 v43, v57, v43 :: v_dual_lshlrev_b32 v46, v46, v112
	s_delay_alu instid0(VALU_DEP_1) | instskip(NEXT) | instid1(VALU_DEP_2)
	v_and_b32_e32 v46, 7, v46
	v_lshl_add_u32 v43, v43, 23, 0x3b800000
	s_delay_alu instid0(VALU_DEP_2) | instskip(SKIP_1) | instid1(VALU_DEP_2)
	v_cndmask_b32_e32 v40, v40, v46, vcc_lo
	v_and_b32_e32 v46, 0x80000000, v60
	v_lshlrev_b32_e32 v40, 20, v40
	s_delay_alu instid0(VALU_DEP_1)
	v_or3_b32 v40, v46, v43, v40
.LBB6_15150:                            ;   in Loop: Header=BB6_14474 Depth=3
	s_or_b32 exec_lo, exec_lo, s31
	s_delay_alu instid0(VALU_DEP_1) | instskip(SKIP_2) | instid1(VALU_DEP_1)
	v_max_f32_e32 v40, v40, v40
	v_max_f32_e32 v116, v116, v116
	s_mov_b32 s13, 0
	v_max_f32_e32 v116, v116, v40
	s_branch .LBB6_15152
.LBB6_15151:                            ;   in Loop: Header=BB6_14474 Depth=3
	s_mov_b32 s13, -1
                                        ; implicit-def: $vgpr116
.LBB6_15152:                            ;   in Loop: Header=BB6_14474 Depth=3
	s_delay_alu instid0(SALU_CYCLE_1)
	s_and_b32 vcc_lo, exec_lo, s13
	s_cbranch_vccz .LBB6_15162
; %bb.15153:                            ;   in Loop: Header=BB6_14474 Depth=3
	v_and_b32_e32 v40, 0xff, v113
	s_mov_b32 s13, 0
	s_mov_b32 s34, exec_lo
                                        ; implicit-def: $sgpr31
	s_delay_alu instid0(VALU_DEP_1)
	v_cmpx_lt_i16_e32 0x7f, v40
	s_xor_b32 s34, exec_lo, s34
	s_cbranch_execnz .LBB6_15776
; %bb.15154:                            ;   in Loop: Header=BB6_14474 Depth=3
	s_or_saveexec_b32 s34, s34
	v_mov_b32_e32 v116, s31
	s_xor_b32 exec_lo, exec_lo, s34
	s_cbranch_execnz .LBB6_15779
.LBB6_15155:                            ;   in Loop: Header=BB6_14474 Depth=3
	s_or_b32 exec_lo, exec_lo, s34
	s_and_saveexec_b32 s31, s13
	s_cbranch_execz .LBB6_15157
.LBB6_15156:                            ;   in Loop: Header=BB6_14474 Depth=3
	v_and_b32_e32 v116, 7, v113
	v_lshrrev_b16 v46, 3, v113
	s_delay_alu instid0(VALU_DEP_2) | instskip(NEXT) | instid1(VALU_DEP_2)
	v_clz_i32_u32_e32 v40, v116
	v_and_b32_e32 v46, 15, v46
	s_delay_alu instid0(VALU_DEP_2) | instskip(NEXT) | instid1(VALU_DEP_2)
	v_min_u32_e32 v40, 32, v40
	v_cmp_eq_u32_e32 vcc_lo, 0, v46
	s_delay_alu instid0(VALU_DEP_2) | instskip(SKIP_1) | instid1(VALU_DEP_1)
	v_subrev_nc_u32_e32 v43, 28, v40
	v_sub_nc_u32_e32 v40, 29, v40
	v_dual_cndmask_b32 v40, v46, v40 :: v_dual_lshlrev_b32 v43, v43, v113
	s_delay_alu instid0(VALU_DEP_1) | instskip(SKIP_1) | instid1(VALU_DEP_3)
	v_and_b32_e32 v43, 7, v43
	v_lshlrev_b32_e32 v113, 24, v113
	v_lshl_add_u32 v40, v40, 23, 0x3b800000
	s_delay_alu instid0(VALU_DEP_2) | instskip(NEXT) | instid1(VALU_DEP_1)
	v_dual_cndmask_b32 v116, v116, v43 :: v_dual_and_b32 v113, 0x80000000, v113
	v_lshlrev_b32_e32 v116, 20, v116
	s_delay_alu instid0(VALU_DEP_1)
	v_or3_b32 v116, v113, v40, v116
.LBB6_15157:                            ;   in Loop: Header=BB6_14474 Depth=3
	s_or_b32 exec_lo, exec_lo, s31
	s_waitcnt vmcnt(8) lgkmcnt(8)
	v_and_b32_e32 v40, 0xff, v112
	s_mov_b32 s13, 0
	s_mov_b32 s34, exec_lo
                                        ; implicit-def: $sgpr31
	s_delay_alu instid0(VALU_DEP_1)
	v_cmpx_lt_i16_e32 0x7f, v40
	s_xor_b32 s34, exec_lo, s34
	s_cbranch_execnz .LBB6_15780
; %bb.15158:                            ;   in Loop: Header=BB6_14474 Depth=3
	s_or_saveexec_b32 s34, s34
	v_mov_b32_e32 v113, s31
	s_xor_b32 exec_lo, exec_lo, s34
	s_cbranch_execnz .LBB6_15783
.LBB6_15159:                            ;   in Loop: Header=BB6_14474 Depth=3
	s_or_b32 exec_lo, exec_lo, s34
	s_and_saveexec_b32 s31, s13
	s_cbranch_execz .LBB6_15161
.LBB6_15160:                            ;   in Loop: Header=BB6_14474 Depth=3
	v_and_b32_e32 v113, 7, v112
	v_lshrrev_b16 v46, 3, v112
	s_delay_alu instid0(VALU_DEP_2) | instskip(NEXT) | instid1(VALU_DEP_1)
	v_clz_i32_u32_e32 v40, v113
	v_min_u32_e32 v40, 32, v40
	s_delay_alu instid0(VALU_DEP_1) | instskip(SKIP_1) | instid1(VALU_DEP_2)
	v_subrev_nc_u32_e32 v43, 28, v40
	v_sub_nc_u32_e32 v40, 29, v40
	v_lshlrev_b32_e32 v43, v43, v112
	v_lshlrev_b32_e32 v112, 24, v112
	s_delay_alu instid0(VALU_DEP_2) | instskip(SKIP_1) | instid1(VALU_DEP_3)
	v_and_b32_e32 v43, 7, v43
	v_and_b32_e32 v46, 15, v46
	;; [unrolled: 1-line block ×3, first 2 shown]
	s_delay_alu instid0(VALU_DEP_2) | instskip(NEXT) | instid1(VALU_DEP_4)
	v_cmp_eq_u32_e32 vcc_lo, 0, v46
	v_dual_cndmask_b32 v113, v113, v43 :: v_dual_cndmask_b32 v40, v46, v40
	s_delay_alu instid0(VALU_DEP_1) | instskip(NEXT) | instid1(VALU_DEP_2)
	v_lshlrev_b32_e32 v113, 20, v113
	v_lshl_add_u32 v40, v40, 23, 0x3b800000
	s_delay_alu instid0(VALU_DEP_1)
	v_or3_b32 v113, v112, v40, v113
.LBB6_15161:                            ;   in Loop: Header=BB6_14474 Depth=3
	s_or_b32 exec_lo, exec_lo, s31
	s_delay_alu instid0(VALU_DEP_1) | instskip(NEXT) | instid1(VALU_DEP_1)
	v_dual_max_f32 v112, v113, v113 :: v_dual_max_f32 v113, v116, v116
	v_min_f32_e32 v116, v113, v112
.LBB6_15162:                            ;   in Loop: Header=BB6_14474 Depth=3
	s_waitcnt vmcnt(8) lgkmcnt(8)
	s_delay_alu instid0(VALU_DEP_1) | instskip(NEXT) | instid1(VALU_DEP_1)
	v_and_b32_e32 v112, 0x7f800000, v116
	v_cmp_ne_u32_e32 vcc_lo, 0x7f800000, v112
	v_mov_b32_e32 v112, 0x80
	s_and_saveexec_b32 s31, vcc_lo
	s_cbranch_execz .LBB6_15170
; %bb.15163:                            ;   in Loop: Header=BB6_14474 Depth=3
	v_mov_b32_e32 v112, 0
	s_mov_b32 s34, exec_lo
	v_cmpx_ne_u32_e32 0, v116
	s_cbranch_execz .LBB6_15169
; %bb.15164:                            ;   in Loop: Header=BB6_14474 Depth=3
	v_bfe_u32 v112, v116, 23, 8
	v_and_b32_e32 v113, 0x7fffff, v116
	s_delay_alu instid0(VALU_DEP_2) | instskip(SKIP_1) | instid1(VALU_DEP_3)
	v_sub_nc_u32_e32 v40, 0x78, v112
	v_cmp_gt_u32_e32 vcc_lo, 0x79, v112
	v_or_b32_e32 v43, 0x800000, v113
	s_delay_alu instid0(VALU_DEP_3) | instskip(SKIP_1) | instid1(VALU_DEP_3)
	v_cndmask_b32_e32 v40, 0, v40, vcc_lo
	v_cmp_eq_u32_e32 vcc_lo, 0, v112
	v_dual_cndmask_b32 v113, v43, v113 :: v_dual_add_nc_u32 v112, 0xffffff89, v112
	s_delay_alu instid0(VALU_DEP_3) | instskip(NEXT) | instid1(VALU_DEP_2)
	v_cndmask_b32_e64 v40, v40, 0x77, vcc_lo
	v_cndmask_b32_e64 v112, v112, 0xffffff8a, vcc_lo
	s_delay_alu instid0(VALU_DEP_2) | instskip(SKIP_2) | instid1(VALU_DEP_4)
	v_lshrrev_b32_e32 v46, v40, v113
	v_lshl_add_u32 v43, 0x100000, v40, -1
	v_lshlrev_b32_e64 v60, v40, 0x80000
	v_add_nc_u32_e32 v40, v40, v112
	s_delay_alu instid0(VALU_DEP_4) | instskip(NEXT) | instid1(VALU_DEP_4)
	v_bfe_u32 v57, v46, 20, 1
	v_and_b32_e32 v113, v43, v113
	s_delay_alu instid0(VALU_DEP_2) | instskip(NEXT) | instid1(VALU_DEP_2)
	v_add_nc_u32_e32 v43, -1, v57
	v_cmp_eq_u32_e64 s13, v113, v60
	s_delay_alu instid0(VALU_DEP_1) | instskip(SKIP_2) | instid1(VALU_DEP_2)
	v_cndmask_b32_e64 v113, 0, v43, s13
	v_lshrrev_b32_e32 v43, 23, v46
	s_mov_b32 s13, exec_lo
	v_add_nc_u32_e32 v113, v113, v46
	s_delay_alu instid0(VALU_DEP_2) | instskip(NEXT) | instid1(VALU_DEP_2)
	v_xor_b32_e32 v43, 1, v43
	v_and_b32_e32 v112, 0xfffff, v113
	s_delay_alu instid0(VALU_DEP_1) | instskip(NEXT) | instid1(VALU_DEP_3)
	v_add_nc_u32_e32 v113, v112, v46
                                        ; implicit-def: $vgpr112
	v_cmpx_ne_u32_e64 v40, v43
	s_xor_b32 s13, exec_lo, s13
; %bb.15165:                            ;   in Loop: Header=BB6_14474 Depth=3
	s_delay_alu instid0(VALU_DEP_2) | instskip(SKIP_2) | instid1(VALU_DEP_2)
	v_cmp_lt_u32_e32 vcc_lo, 0xffffff, v113
	v_sub_nc_u32_e32 v112, v40, v43
	v_cndmask_b32_e64 v40, 0, 1, vcc_lo
	v_add_co_ci_u32_e32 v112, vcc_lo, 0, v112, vcc_lo
	s_delay_alu instid0(VALU_DEP_2)
	v_lshrrev_b32_e32 v113, v40, v113
; %bb.15166:                            ;   in Loop: Header=BB6_14474 Depth=3
	s_and_not1_saveexec_b32 s13, s13
; %bb.15167:                            ;   in Loop: Header=BB6_14474 Depth=3
	s_delay_alu instid0(VALU_DEP_1)
	v_bfe_u32 v112, v113, 23, 1
; %bb.15168:                            ;   in Loop: Header=BB6_14474 Depth=3
	s_or_b32 exec_lo, exec_lo, s13
	v_lshrrev_b32_e32 v113, 20, v113
	s_delay_alu instid0(VALU_DEP_2) | instskip(SKIP_2) | instid1(VALU_DEP_2)
	v_cmp_gt_i32_e32 vcc_lo, 16, v112
	v_lshrrev_b32_e32 v116, 24, v116
	v_min_i32_e32 v40, 15, v112
	v_dual_cndmask_b32 v113, 7, v113 :: v_dual_and_b32 v116, 0x80, v116
	s_delay_alu instid0(VALU_DEP_2) | instskip(NEXT) | instid1(VALU_DEP_2)
	v_lshlrev_b32_e32 v40, 3, v40
	v_and_b32_e32 v43, 7, v113
	v_or_b32_e32 v112, v112, v113
	s_delay_alu instid0(VALU_DEP_2) | instskip(NEXT) | instid1(VALU_DEP_2)
	v_or3_b32 v113, v40, v116, v43
	v_cmp_ne_u32_e32 vcc_lo, 0, v112
	s_delay_alu instid0(VALU_DEP_2)
	v_cndmask_b32_e32 v112, 0, v113, vcc_lo
.LBB6_15169:                            ;   in Loop: Header=BB6_14474 Depth=3
	s_or_b32 exec_lo, exec_lo, s34
.LBB6_15170:                            ;   in Loop: Header=BB6_14474 Depth=3
	s_delay_alu instid0(SALU_CYCLE_1) | instskip(NEXT) | instid1(SALU_CYCLE_1)
	s_or_b32 exec_lo, exec_lo, s31
	s_and_not1_b32 vcc_lo, exec_lo, s16
	s_cbranch_vccnz .LBB6_15180
; %bb.15171:                            ;   in Loop: Header=BB6_14474 Depth=3
	v_and_b32_e32 v116, 0xff, v101
	s_mov_b32 s13, 0
	s_mov_b32 s34, exec_lo
                                        ; implicit-def: $sgpr31
	s_delay_alu instid0(VALU_DEP_1)
	v_cmpx_lt_i16_e32 0x7f, v116
	s_xor_b32 s34, exec_lo, s34
	s_cbranch_execnz .LBB6_15784
; %bb.15172:                            ;   in Loop: Header=BB6_14474 Depth=3
	s_or_saveexec_b32 s34, s34
	v_mov_b32_e32 v113, s31
	s_xor_b32 exec_lo, exec_lo, s34
	s_cbranch_execnz .LBB6_15787
.LBB6_15173:                            ;   in Loop: Header=BB6_14474 Depth=3
	s_or_b32 exec_lo, exec_lo, s34
	s_and_saveexec_b32 s31, s13
	s_cbranch_execz .LBB6_15175
.LBB6_15174:                            ;   in Loop: Header=BB6_14474 Depth=3
	v_lshrrev_b16 v43, 3, v101
	s_delay_alu instid0(VALU_DEP_1) | instskip(NEXT) | instid1(VALU_DEP_1)
	v_and_b32_e32 v43, 15, v43
	v_cmp_eq_u32_e32 vcc_lo, 0, v43
	v_and_b32_e32 v113, 7, v101
	s_delay_alu instid0(VALU_DEP_1) | instskip(NEXT) | instid1(VALU_DEP_1)
	v_clz_i32_u32_e32 v116, v113
	v_min_u32_e32 v116, 32, v116
	s_delay_alu instid0(VALU_DEP_1) | instskip(SKIP_1) | instid1(VALU_DEP_2)
	v_subrev_nc_u32_e32 v40, 28, v116
	v_sub_nc_u32_e32 v116, 29, v116
	v_lshlrev_b32_e32 v40, v40, v101
	s_delay_alu instid0(VALU_DEP_2) | instskip(NEXT) | instid1(VALU_DEP_2)
	v_cndmask_b32_e32 v116, v43, v116, vcc_lo
	v_and_b32_e32 v40, 7, v40
	v_lshlrev_b32_e32 v46, 24, v101
	s_delay_alu instid0(VALU_DEP_3) | instskip(NEXT) | instid1(VALU_DEP_2)
	v_lshl_add_u32 v116, v116, 23, 0x3b800000
	v_dual_cndmask_b32 v113, v113, v40 :: v_dual_and_b32 v40, 0x80000000, v46
	s_delay_alu instid0(VALU_DEP_1) | instskip(NEXT) | instid1(VALU_DEP_1)
	v_lshlrev_b32_e32 v113, 20, v113
	v_or3_b32 v113, v40, v116, v113
.LBB6_15175:                            ;   in Loop: Header=BB6_14474 Depth=3
	s_or_b32 exec_lo, exec_lo, s31
	s_waitcnt vmcnt(7) lgkmcnt(7)
	v_and_b32_e32 v40, 0xff, v51
	s_mov_b32 s13, 0
	s_mov_b32 s34, exec_lo
                                        ; implicit-def: $sgpr31
	s_delay_alu instid0(VALU_DEP_1)
	v_cmpx_lt_i16_e32 0x7f, v40
	s_xor_b32 s34, exec_lo, s34
	s_cbranch_execnz .LBB6_15788
; %bb.15176:                            ;   in Loop: Header=BB6_14474 Depth=3
	s_or_saveexec_b32 s34, s34
	v_mov_b32_e32 v116, s31
	s_xor_b32 exec_lo, exec_lo, s34
	s_cbranch_execnz .LBB6_15791
.LBB6_15177:                            ;   in Loop: Header=BB6_14474 Depth=3
	s_or_b32 exec_lo, exec_lo, s34
	s_and_saveexec_b32 s31, s13
	s_cbranch_execz .LBB6_15179
.LBB6_15178:                            ;   in Loop: Header=BB6_14474 Depth=3
	v_and_b32_e32 v116, 7, v51
	v_lshrrev_b16 v46, 3, v51
	v_lshlrev_b32_e32 v57, 24, v51
	s_delay_alu instid0(VALU_DEP_3) | instskip(NEXT) | instid1(VALU_DEP_3)
	v_clz_i32_u32_e32 v40, v116
	v_and_b32_e32 v46, 15, v46
	s_delay_alu instid0(VALU_DEP_2) | instskip(NEXT) | instid1(VALU_DEP_2)
	v_min_u32_e32 v40, 32, v40
	v_cmp_eq_u32_e32 vcc_lo, 0, v46
	s_delay_alu instid0(VALU_DEP_2) | instskip(SKIP_1) | instid1(VALU_DEP_1)
	v_subrev_nc_u32_e32 v43, 28, v40
	v_sub_nc_u32_e32 v40, 29, v40
	v_dual_cndmask_b32 v40, v46, v40 :: v_dual_lshlrev_b32 v43, v43, v51
	s_delay_alu instid0(VALU_DEP_1) | instskip(NEXT) | instid1(VALU_DEP_2)
	v_and_b32_e32 v43, 7, v43
	v_lshl_add_u32 v40, v40, 23, 0x3b800000
	s_delay_alu instid0(VALU_DEP_2) | instskip(NEXT) | instid1(VALU_DEP_1)
	v_dual_cndmask_b32 v116, v116, v43 :: v_dual_and_b32 v43, 0x80000000, v57
	v_lshlrev_b32_e32 v116, 20, v116
	s_delay_alu instid0(VALU_DEP_1)
	v_or3_b32 v116, v43, v40, v116
.LBB6_15179:                            ;   in Loop: Header=BB6_14474 Depth=3
	s_or_b32 exec_lo, exec_lo, s31
	s_delay_alu instid0(VALU_DEP_1) | instskip(SKIP_1) | instid1(VALU_DEP_1)
	v_dual_max_f32 v116, v116, v116 :: v_dual_max_f32 v113, v113, v113
	s_mov_b32 s13, 0
	v_max_f32_e32 v113, v113, v116
	s_branch .LBB6_15181
.LBB6_15180:                            ;   in Loop: Header=BB6_14474 Depth=3
	s_mov_b32 s13, -1
                                        ; implicit-def: $vgpr113
.LBB6_15181:                            ;   in Loop: Header=BB6_14474 Depth=3
	s_delay_alu instid0(SALU_CYCLE_1)
	s_and_b32 vcc_lo, exec_lo, s13
	s_cbranch_vccz .LBB6_15191
; %bb.15182:                            ;   in Loop: Header=BB6_14474 Depth=3
	v_and_b32_e32 v116, 0xff, v101
	s_mov_b32 s13, 0
	s_mov_b32 s34, exec_lo
                                        ; implicit-def: $sgpr31
	s_delay_alu instid0(VALU_DEP_1)
	v_cmpx_lt_i16_e32 0x7f, v116
	s_xor_b32 s34, exec_lo, s34
	s_cbranch_execnz .LBB6_15792
; %bb.15183:                            ;   in Loop: Header=BB6_14474 Depth=3
	s_or_saveexec_b32 s34, s34
	v_mov_b32_e32 v113, s31
	s_xor_b32 exec_lo, exec_lo, s34
	s_cbranch_execnz .LBB6_15795
.LBB6_15184:                            ;   in Loop: Header=BB6_14474 Depth=3
	s_or_b32 exec_lo, exec_lo, s34
	s_and_saveexec_b32 s31, s13
	s_cbranch_execz .LBB6_15186
.LBB6_15185:                            ;   in Loop: Header=BB6_14474 Depth=3
	v_lshrrev_b16 v43, 3, v101
	s_delay_alu instid0(VALU_DEP_1) | instskip(NEXT) | instid1(VALU_DEP_1)
	v_and_b32_e32 v43, 15, v43
	v_cmp_eq_u32_e32 vcc_lo, 0, v43
	v_and_b32_e32 v113, 7, v101
	s_delay_alu instid0(VALU_DEP_1) | instskip(NEXT) | instid1(VALU_DEP_1)
	v_clz_i32_u32_e32 v116, v113
	v_min_u32_e32 v116, 32, v116
	s_delay_alu instid0(VALU_DEP_1) | instskip(SKIP_1) | instid1(VALU_DEP_2)
	v_subrev_nc_u32_e32 v40, 28, v116
	v_sub_nc_u32_e32 v116, 29, v116
	v_lshlrev_b32_e32 v40, v40, v101
	s_delay_alu instid0(VALU_DEP_2) | instskip(NEXT) | instid1(VALU_DEP_2)
	v_dual_cndmask_b32 v116, v43, v116 :: v_dual_lshlrev_b32 v101, 24, v101
	v_and_b32_e32 v40, 7, v40
	s_delay_alu instid0(VALU_DEP_2) | instskip(NEXT) | instid1(VALU_DEP_3)
	v_lshl_add_u32 v116, v116, 23, 0x3b800000
	v_and_b32_e32 v101, 0x80000000, v101
	s_delay_alu instid0(VALU_DEP_3) | instskip(NEXT) | instid1(VALU_DEP_1)
	v_cndmask_b32_e32 v113, v113, v40, vcc_lo
	v_lshlrev_b32_e32 v113, 20, v113
	s_delay_alu instid0(VALU_DEP_1)
	v_or3_b32 v113, v101, v116, v113
.LBB6_15186:                            ;   in Loop: Header=BB6_14474 Depth=3
	s_or_b32 exec_lo, exec_lo, s31
	s_waitcnt vmcnt(7) lgkmcnt(7)
	v_and_b32_e32 v116, 0xff, v51
	s_mov_b32 s13, 0
	s_mov_b32 s34, exec_lo
                                        ; implicit-def: $sgpr31
	s_delay_alu instid0(VALU_DEP_1)
	v_cmpx_lt_i16_e32 0x7f, v116
	s_xor_b32 s34, exec_lo, s34
	s_cbranch_execnz .LBB6_15796
; %bb.15187:                            ;   in Loop: Header=BB6_14474 Depth=3
	s_or_saveexec_b32 s34, s34
	v_mov_b32_e32 v101, s31
	s_xor_b32 exec_lo, exec_lo, s34
	s_cbranch_execnz .LBB6_15799
.LBB6_15188:                            ;   in Loop: Header=BB6_14474 Depth=3
	s_or_b32 exec_lo, exec_lo, s34
	s_and_saveexec_b32 s31, s13
	s_cbranch_execz .LBB6_15190
.LBB6_15189:                            ;   in Loop: Header=BB6_14474 Depth=3
	v_lshrrev_b16 v43, 3, v51
	s_delay_alu instid0(VALU_DEP_1) | instskip(NEXT) | instid1(VALU_DEP_1)
	v_and_b32_e32 v43, 15, v43
	v_cmp_eq_u32_e32 vcc_lo, 0, v43
	v_and_b32_e32 v101, 7, v51
	s_delay_alu instid0(VALU_DEP_1) | instskip(NEXT) | instid1(VALU_DEP_1)
	v_clz_i32_u32_e32 v116, v101
	v_min_u32_e32 v116, 32, v116
	s_delay_alu instid0(VALU_DEP_1) | instskip(SKIP_1) | instid1(VALU_DEP_2)
	v_subrev_nc_u32_e32 v40, 28, v116
	v_sub_nc_u32_e32 v116, 29, v116
	v_lshlrev_b32_e32 v40, v40, v51
	s_delay_alu instid0(VALU_DEP_2) | instskip(NEXT) | instid1(VALU_DEP_2)
	v_dual_cndmask_b32 v116, v43, v116 :: v_dual_lshlrev_b32 v51, 24, v51
	v_and_b32_e32 v40, 7, v40
	s_delay_alu instid0(VALU_DEP_2) | instskip(NEXT) | instid1(VALU_DEP_3)
	v_lshl_add_u32 v116, v116, 23, 0x3b800000
	v_and_b32_e32 v51, 0x80000000, v51
	s_delay_alu instid0(VALU_DEP_3) | instskip(NEXT) | instid1(VALU_DEP_1)
	v_cndmask_b32_e32 v101, v101, v40, vcc_lo
	v_lshlrev_b32_e32 v101, 20, v101
	s_delay_alu instid0(VALU_DEP_1)
	v_or3_b32 v101, v51, v116, v101
.LBB6_15190:                            ;   in Loop: Header=BB6_14474 Depth=3
	s_or_b32 exec_lo, exec_lo, s31
	s_delay_alu instid0(VALU_DEP_1) | instskip(SKIP_1) | instid1(VALU_DEP_1)
	v_max_f32_e32 v51, v101, v101
	v_max_f32_e32 v101, v113, v113
	v_min_f32_e32 v113, v101, v51
.LBB6_15191:                            ;   in Loop: Header=BB6_14474 Depth=3
	s_waitcnt vmcnt(7) lgkmcnt(7)
	s_delay_alu instid0(VALU_DEP_1) | instskip(NEXT) | instid1(VALU_DEP_1)
	v_and_b32_e32 v51, 0x7f800000, v113
	v_cmp_ne_u32_e32 vcc_lo, 0x7f800000, v51
	v_mov_b32_e32 v51, 0x80
	s_and_saveexec_b32 s31, vcc_lo
	s_cbranch_execz .LBB6_15199
; %bb.15192:                            ;   in Loop: Header=BB6_14474 Depth=3
	v_mov_b32_e32 v51, 0
	s_mov_b32 s34, exec_lo
	v_cmpx_ne_u32_e32 0, v113
	s_cbranch_execz .LBB6_15198
; %bb.15193:                            ;   in Loop: Header=BB6_14474 Depth=3
	v_bfe_u32 v51, v113, 23, 8
	s_delay_alu instid0(VALU_DEP_1) | instskip(SKIP_1) | instid1(VALU_DEP_2)
	v_sub_nc_u32_e32 v116, 0x78, v51
	v_cmp_gt_u32_e32 vcc_lo, 0x79, v51
	v_dual_cndmask_b32 v116, 0, v116 :: v_dual_and_b32 v101, 0x7fffff, v113
	s_delay_alu instid0(VALU_DEP_1) | instskip(SKIP_2) | instid1(VALU_DEP_4)
	v_or_b32_e32 v40, 0x800000, v101
	v_cmp_eq_u32_e32 vcc_lo, 0, v51
	v_add_nc_u32_e32 v51, 0xffffff89, v51
	v_cndmask_b32_e64 v116, v116, 0x77, vcc_lo
	s_delay_alu instid0(VALU_DEP_4) | instskip(NEXT) | instid1(VALU_DEP_3)
	v_cndmask_b32_e32 v101, v40, v101, vcc_lo
	v_cndmask_b32_e64 v51, v51, 0xffffff8a, vcc_lo
	s_delay_alu instid0(VALU_DEP_3) | instskip(NEXT) | instid1(VALU_DEP_3)
	v_lshl_add_u32 v40, 0x100000, v116, -1
	v_lshrrev_b32_e32 v43, v116, v101
	v_lshlrev_b32_e64 v57, v116, 0x80000
	s_delay_alu instid0(VALU_DEP_4) | instskip(NEXT) | instid1(VALU_DEP_4)
	v_add_nc_u32_e32 v116, v116, v51
	v_and_b32_e32 v101, v40, v101
	s_delay_alu instid0(VALU_DEP_4) | instskip(NEXT) | instid1(VALU_DEP_2)
	v_bfe_u32 v46, v43, 20, 1
	v_cmp_eq_u32_e64 s13, v101, v57
	s_delay_alu instid0(VALU_DEP_2) | instskip(NEXT) | instid1(VALU_DEP_1)
	v_add_nc_u32_e32 v40, -1, v46
	v_cndmask_b32_e64 v101, 0, v40, s13
	v_lshrrev_b32_e32 v40, 23, v43
	s_mov_b32 s13, exec_lo
	s_delay_alu instid0(VALU_DEP_2) | instskip(NEXT) | instid1(VALU_DEP_2)
	v_add_nc_u32_e32 v101, v101, v43
	v_xor_b32_e32 v40, 1, v40
	s_delay_alu instid0(VALU_DEP_2) | instskip(NEXT) | instid1(VALU_DEP_1)
	v_and_b32_e32 v51, 0xfffff, v101
	v_add_nc_u32_e32 v101, v51, v43
                                        ; implicit-def: $vgpr51
	s_delay_alu instid0(VALU_DEP_3)
	v_cmpx_ne_u32_e64 v116, v40
	s_xor_b32 s13, exec_lo, s13
; %bb.15194:                            ;   in Loop: Header=BB6_14474 Depth=3
	s_delay_alu instid0(VALU_DEP_2) | instskip(SKIP_2) | instid1(VALU_DEP_2)
	v_cmp_lt_u32_e32 vcc_lo, 0xffffff, v101
	v_sub_nc_u32_e32 v51, v116, v40
	v_cndmask_b32_e64 v116, 0, 1, vcc_lo
	v_add_co_ci_u32_e32 v51, vcc_lo, 0, v51, vcc_lo
	s_delay_alu instid0(VALU_DEP_2)
	v_lshrrev_b32_e32 v101, v116, v101
; %bb.15195:                            ;   in Loop: Header=BB6_14474 Depth=3
	s_and_not1_saveexec_b32 s13, s13
; %bb.15196:                            ;   in Loop: Header=BB6_14474 Depth=3
	s_delay_alu instid0(VALU_DEP_1)
	v_bfe_u32 v51, v101, 23, 1
; %bb.15197:                            ;   in Loop: Header=BB6_14474 Depth=3
	s_or_b32 exec_lo, exec_lo, s13
	v_lshrrev_b32_e32 v101, 20, v101
	s_delay_alu instid0(VALU_DEP_2) | instskip(SKIP_2) | instid1(VALU_DEP_4)
	v_cmp_gt_i32_e32 vcc_lo, 16, v51
	v_lshrrev_b32_e32 v113, 24, v113
	v_min_i32_e32 v116, 15, v51
	v_cndmask_b32_e32 v101, 7, v101, vcc_lo
	s_delay_alu instid0(VALU_DEP_3) | instskip(NEXT) | instid1(VALU_DEP_3)
	v_and_b32_e32 v113, 0x80, v113
	v_lshlrev_b32_e32 v116, 3, v116
	s_delay_alu instid0(VALU_DEP_3) | instskip(SKIP_1) | instid1(VALU_DEP_2)
	v_and_b32_e32 v40, 7, v101
	v_or_b32_e32 v51, v51, v101
	v_or3_b32 v101, v116, v113, v40
	s_delay_alu instid0(VALU_DEP_2) | instskip(NEXT) | instid1(VALU_DEP_2)
	v_cmp_ne_u32_e32 vcc_lo, 0, v51
	v_cndmask_b32_e32 v51, 0, v101, vcc_lo
.LBB6_15198:                            ;   in Loop: Header=BB6_14474 Depth=3
	s_or_b32 exec_lo, exec_lo, s34
.LBB6_15199:                            ;   in Loop: Header=BB6_14474 Depth=3
	s_delay_alu instid0(SALU_CYCLE_1) | instskip(NEXT) | instid1(SALU_CYCLE_1)
	s_or_b32 exec_lo, exec_lo, s31
	s_and_not1_b32 vcc_lo, exec_lo, s16
	s_cbranch_vccnz .LBB6_15209
; %bb.15200:                            ;   in Loop: Header=BB6_14474 Depth=3
	v_and_b32_e32 v113, 0xff, v49
	s_mov_b32 s13, 0
	s_mov_b32 s34, exec_lo
                                        ; implicit-def: $sgpr31
	s_delay_alu instid0(VALU_DEP_1)
	v_cmpx_lt_i16_e32 0x7f, v113
	s_xor_b32 s34, exec_lo, s34
	s_cbranch_execnz .LBB6_15800
; %bb.15201:                            ;   in Loop: Header=BB6_14474 Depth=3
	s_or_saveexec_b32 s34, s34
	v_mov_b32_e32 v101, s31
	s_xor_b32 exec_lo, exec_lo, s34
	s_cbranch_execnz .LBB6_15803
.LBB6_15202:                            ;   in Loop: Header=BB6_14474 Depth=3
	s_or_b32 exec_lo, exec_lo, s34
	s_and_saveexec_b32 s31, s13
	s_cbranch_execz .LBB6_15204
.LBB6_15203:                            ;   in Loop: Header=BB6_14474 Depth=3
	v_and_b32_e32 v101, 7, v49
	v_lshrrev_b16 v40, 3, v49
	v_lshlrev_b32_e32 v43, 24, v49
	s_delay_alu instid0(VALU_DEP_3) | instskip(NEXT) | instid1(VALU_DEP_3)
	v_clz_i32_u32_e32 v113, v101
	v_and_b32_e32 v40, 15, v40
	s_delay_alu instid0(VALU_DEP_2) | instskip(NEXT) | instid1(VALU_DEP_2)
	v_min_u32_e32 v113, 32, v113
	v_cmp_eq_u32_e32 vcc_lo, 0, v40
	s_delay_alu instid0(VALU_DEP_2) | instskip(SKIP_1) | instid1(VALU_DEP_2)
	v_subrev_nc_u32_e32 v116, 28, v113
	v_sub_nc_u32_e32 v113, 29, v113
	v_lshlrev_b32_e32 v116, v116, v49
	s_delay_alu instid0(VALU_DEP_1) | instskip(NEXT) | instid1(VALU_DEP_1)
	v_dual_cndmask_b32 v113, v40, v113 :: v_dual_and_b32 v116, 7, v116
	v_lshl_add_u32 v113, v113, 23, 0x3b800000
	s_delay_alu instid0(VALU_DEP_2) | instskip(NEXT) | instid1(VALU_DEP_1)
	v_dual_cndmask_b32 v101, v101, v116 :: v_dual_and_b32 v116, 0x80000000, v43
	v_lshlrev_b32_e32 v101, 20, v101
	s_delay_alu instid0(VALU_DEP_1)
	v_or3_b32 v101, v116, v113, v101
.LBB6_15204:                            ;   in Loop: Header=BB6_14474 Depth=3
	s_or_b32 exec_lo, exec_lo, s31
	s_waitcnt vmcnt(6) lgkmcnt(6)
	v_and_b32_e32 v116, 0xff, v48
	s_mov_b32 s13, 0
	s_mov_b32 s34, exec_lo
                                        ; implicit-def: $sgpr31
	s_delay_alu instid0(VALU_DEP_1)
	v_cmpx_lt_i16_e32 0x7f, v116
	s_xor_b32 s34, exec_lo, s34
	s_cbranch_execnz .LBB6_15804
; %bb.15205:                            ;   in Loop: Header=BB6_14474 Depth=3
	s_or_saveexec_b32 s34, s34
	v_mov_b32_e32 v113, s31
	s_xor_b32 exec_lo, exec_lo, s34
	s_cbranch_execnz .LBB6_15807
.LBB6_15206:                            ;   in Loop: Header=BB6_14474 Depth=3
	s_or_b32 exec_lo, exec_lo, s34
	s_and_saveexec_b32 s31, s13
	s_cbranch_execz .LBB6_15208
.LBB6_15207:                            ;   in Loop: Header=BB6_14474 Depth=3
	v_and_b32_e32 v113, 7, v48
	v_lshrrev_b16 v43, 3, v48
	v_lshlrev_b32_e32 v46, 24, v48
	s_delay_alu instid0(VALU_DEP_3) | instskip(NEXT) | instid1(VALU_DEP_3)
	v_clz_i32_u32_e32 v116, v113
	v_and_b32_e32 v43, 15, v43
	s_delay_alu instid0(VALU_DEP_2) | instskip(NEXT) | instid1(VALU_DEP_2)
	v_min_u32_e32 v116, 32, v116
	v_cmp_eq_u32_e32 vcc_lo, 0, v43
	s_delay_alu instid0(VALU_DEP_2) | instskip(SKIP_1) | instid1(VALU_DEP_2)
	v_subrev_nc_u32_e32 v40, 28, v116
	v_sub_nc_u32_e32 v116, 29, v116
	v_lshlrev_b32_e32 v40, v40, v48
	s_delay_alu instid0(VALU_DEP_1) | instskip(NEXT) | instid1(VALU_DEP_1)
	v_and_b32_e32 v40, 7, v40
	v_dual_cndmask_b32 v113, v113, v40 :: v_dual_and_b32 v40, 0x80000000, v46
	s_delay_alu instid0(VALU_DEP_1) | instskip(NEXT) | instid1(VALU_DEP_1)
	v_dual_cndmask_b32 v116, v43, v116 :: v_dual_lshlrev_b32 v113, 20, v113
	v_lshl_add_u32 v116, v116, 23, 0x3b800000
	s_delay_alu instid0(VALU_DEP_1)
	v_or3_b32 v113, v40, v116, v113
.LBB6_15208:                            ;   in Loop: Header=BB6_14474 Depth=3
	s_or_b32 exec_lo, exec_lo, s31
	s_delay_alu instid0(VALU_DEP_1) | instskip(SKIP_2) | instid1(VALU_DEP_1)
	v_max_f32_e32 v113, v113, v113
	v_max_f32_e32 v101, v101, v101
	s_mov_b32 s13, 0
	v_max_f32_e32 v101, v101, v113
	s_branch .LBB6_15210
.LBB6_15209:                            ;   in Loop: Header=BB6_14474 Depth=3
	s_mov_b32 s13, -1
                                        ; implicit-def: $vgpr101
.LBB6_15210:                            ;   in Loop: Header=BB6_14474 Depth=3
	s_delay_alu instid0(SALU_CYCLE_1)
	s_and_b32 vcc_lo, exec_lo, s13
	s_cbranch_vccz .LBB6_15220
; %bb.15211:                            ;   in Loop: Header=BB6_14474 Depth=3
	v_and_b32_e32 v113, 0xff, v49
	s_mov_b32 s13, 0
	s_mov_b32 s34, exec_lo
                                        ; implicit-def: $sgpr31
	s_delay_alu instid0(VALU_DEP_1)
	v_cmpx_lt_i16_e32 0x7f, v113
	s_xor_b32 s34, exec_lo, s34
	s_cbranch_execnz .LBB6_15808
; %bb.15212:                            ;   in Loop: Header=BB6_14474 Depth=3
	s_or_saveexec_b32 s34, s34
	v_mov_b32_e32 v101, s31
	s_xor_b32 exec_lo, exec_lo, s34
	s_cbranch_execnz .LBB6_15811
.LBB6_15213:                            ;   in Loop: Header=BB6_14474 Depth=3
	s_or_b32 exec_lo, exec_lo, s34
	s_and_saveexec_b32 s31, s13
	s_cbranch_execz .LBB6_15215
.LBB6_15214:                            ;   in Loop: Header=BB6_14474 Depth=3
	v_and_b32_e32 v101, 7, v49
	v_lshrrev_b16 v40, 3, v49
	s_delay_alu instid0(VALU_DEP_2) | instskip(NEXT) | instid1(VALU_DEP_2)
	v_clz_i32_u32_e32 v113, v101
	v_and_b32_e32 v40, 15, v40
	s_delay_alu instid0(VALU_DEP_2) | instskip(NEXT) | instid1(VALU_DEP_2)
	v_min_u32_e32 v113, 32, v113
	v_cmp_eq_u32_e32 vcc_lo, 0, v40
	s_delay_alu instid0(VALU_DEP_2) | instskip(SKIP_1) | instid1(VALU_DEP_2)
	v_subrev_nc_u32_e32 v116, 28, v113
	v_sub_nc_u32_e32 v113, 29, v113
	v_lshlrev_b32_e32 v116, v116, v49
	v_lshlrev_b32_e32 v49, 24, v49
	s_delay_alu instid0(VALU_DEP_2) | instskip(NEXT) | instid1(VALU_DEP_2)
	v_dual_cndmask_b32 v113, v40, v113 :: v_dual_and_b32 v116, 7, v116
	v_and_b32_e32 v49, 0x80000000, v49
	s_delay_alu instid0(VALU_DEP_2) | instskip(NEXT) | instid1(VALU_DEP_3)
	v_lshl_add_u32 v113, v113, 23, 0x3b800000
	v_cndmask_b32_e32 v101, v101, v116, vcc_lo
	s_delay_alu instid0(VALU_DEP_1) | instskip(NEXT) | instid1(VALU_DEP_1)
	v_lshlrev_b32_e32 v101, 20, v101
	v_or3_b32 v101, v49, v113, v101
.LBB6_15215:                            ;   in Loop: Header=BB6_14474 Depth=3
	s_or_b32 exec_lo, exec_lo, s31
	s_waitcnt vmcnt(6) lgkmcnt(6)
	v_and_b32_e32 v113, 0xff, v48
	s_mov_b32 s13, 0
	s_mov_b32 s34, exec_lo
                                        ; implicit-def: $sgpr31
	s_delay_alu instid0(VALU_DEP_1)
	v_cmpx_lt_i16_e32 0x7f, v113
	s_xor_b32 s34, exec_lo, s34
	s_cbranch_execnz .LBB6_15812
; %bb.15216:                            ;   in Loop: Header=BB6_14474 Depth=3
	s_or_saveexec_b32 s34, s34
	v_mov_b32_e32 v49, s31
	s_xor_b32 exec_lo, exec_lo, s34
	s_cbranch_execnz .LBB6_15815
.LBB6_15217:                            ;   in Loop: Header=BB6_14474 Depth=3
	s_or_b32 exec_lo, exec_lo, s34
	s_and_saveexec_b32 s31, s13
	s_cbranch_execz .LBB6_15219
.LBB6_15218:                            ;   in Loop: Header=BB6_14474 Depth=3
	v_and_b32_e32 v49, 7, v48
	v_lshrrev_b16 v40, 3, v48
	s_delay_alu instid0(VALU_DEP_2) | instskip(NEXT) | instid1(VALU_DEP_2)
	v_clz_i32_u32_e32 v113, v49
	v_and_b32_e32 v40, 15, v40
	s_delay_alu instid0(VALU_DEP_2) | instskip(NEXT) | instid1(VALU_DEP_2)
	v_min_u32_e32 v113, 32, v113
	v_cmp_eq_u32_e32 vcc_lo, 0, v40
	s_delay_alu instid0(VALU_DEP_2) | instskip(SKIP_1) | instid1(VALU_DEP_2)
	v_subrev_nc_u32_e32 v116, 28, v113
	v_sub_nc_u32_e32 v113, 29, v113
	v_lshlrev_b32_e32 v116, v116, v48
	s_delay_alu instid0(VALU_DEP_2) | instskip(NEXT) | instid1(VALU_DEP_2)
	v_dual_cndmask_b32 v113, v40, v113 :: v_dual_lshlrev_b32 v48, 24, v48
	v_and_b32_e32 v116, 7, v116
	s_delay_alu instid0(VALU_DEP_2) | instskip(NEXT) | instid1(VALU_DEP_3)
	v_and_b32_e32 v48, 0x80000000, v48
	v_lshl_add_u32 v113, v113, 23, 0x3b800000
	s_delay_alu instid0(VALU_DEP_3) | instskip(NEXT) | instid1(VALU_DEP_1)
	v_cndmask_b32_e32 v49, v49, v116, vcc_lo
	v_lshlrev_b32_e32 v49, 20, v49
	s_delay_alu instid0(VALU_DEP_1)
	v_or3_b32 v49, v48, v113, v49
.LBB6_15219:                            ;   in Loop: Header=BB6_14474 Depth=3
	s_or_b32 exec_lo, exec_lo, s31
	s_delay_alu instid0(VALU_DEP_1) | instskip(SKIP_1) | instid1(VALU_DEP_1)
	v_max_f32_e32 v48, v49, v49
	v_max_f32_e32 v49, v101, v101
	v_min_f32_e32 v101, v49, v48
.LBB6_15220:                            ;   in Loop: Header=BB6_14474 Depth=3
	s_waitcnt vmcnt(6) lgkmcnt(6)
	s_delay_alu instid0(VALU_DEP_1) | instskip(NEXT) | instid1(VALU_DEP_1)
	v_and_b32_e32 v48, 0x7f800000, v101
	v_cmp_ne_u32_e32 vcc_lo, 0x7f800000, v48
	v_mov_b32_e32 v48, 0x80
	s_and_saveexec_b32 s31, vcc_lo
	s_cbranch_execz .LBB6_15228
; %bb.15221:                            ;   in Loop: Header=BB6_14474 Depth=3
	v_mov_b32_e32 v48, 0
	s_mov_b32 s34, exec_lo
	v_cmpx_ne_u32_e32 0, v101
	s_cbranch_execz .LBB6_15227
; %bb.15222:                            ;   in Loop: Header=BB6_14474 Depth=3
	v_bfe_u32 v48, v101, 23, 8
	v_and_b32_e32 v49, 0x7fffff, v101
	s_delay_alu instid0(VALU_DEP_2) | instskip(SKIP_1) | instid1(VALU_DEP_3)
	v_sub_nc_u32_e32 v113, 0x78, v48
	v_cmp_gt_u32_e32 vcc_lo, 0x79, v48
	v_or_b32_e32 v116, 0x800000, v49
	s_delay_alu instid0(VALU_DEP_3) | instskip(SKIP_2) | instid1(VALU_DEP_3)
	v_cndmask_b32_e32 v113, 0, v113, vcc_lo
	v_cmp_eq_u32_e32 vcc_lo, 0, v48
	v_add_nc_u32_e32 v48, 0xffffff89, v48
	v_cndmask_b32_e64 v113, v113, 0x77, vcc_lo
	v_cndmask_b32_e32 v49, v116, v49, vcc_lo
	s_delay_alu instid0(VALU_DEP_3) | instskip(NEXT) | instid1(VALU_DEP_3)
	v_cndmask_b32_e64 v48, v48, 0xffffff8a, vcc_lo
	v_lshl_add_u32 v116, 0x100000, v113, -1
	s_delay_alu instid0(VALU_DEP_3) | instskip(SKIP_1) | instid1(VALU_DEP_4)
	v_lshrrev_b32_e32 v40, v113, v49
	v_lshlrev_b32_e64 v46, v113, 0x80000
	v_add_nc_u32_e32 v113, v113, v48
	s_delay_alu instid0(VALU_DEP_4) | instskip(NEXT) | instid1(VALU_DEP_4)
	v_and_b32_e32 v49, v116, v49
	v_bfe_u32 v43, v40, 20, 1
	s_delay_alu instid0(VALU_DEP_2) | instskip(NEXT) | instid1(VALU_DEP_2)
	v_cmp_eq_u32_e64 s13, v49, v46
	v_add_nc_u32_e32 v116, -1, v43
	s_delay_alu instid0(VALU_DEP_1) | instskip(SKIP_2) | instid1(VALU_DEP_2)
	v_cndmask_b32_e64 v49, 0, v116, s13
	v_lshrrev_b32_e32 v116, 23, v40
	s_mov_b32 s13, exec_lo
	v_add_nc_u32_e32 v49, v49, v40
	s_delay_alu instid0(VALU_DEP_2) | instskip(NEXT) | instid1(VALU_DEP_2)
	v_xor_b32_e32 v116, 1, v116
	v_and_b32_e32 v48, 0xfffff, v49
	s_delay_alu instid0(VALU_DEP_1) | instskip(NEXT) | instid1(VALU_DEP_3)
	v_add_nc_u32_e32 v49, v48, v40
                                        ; implicit-def: $vgpr48
	v_cmpx_ne_u32_e64 v113, v116
	s_xor_b32 s13, exec_lo, s13
; %bb.15223:                            ;   in Loop: Header=BB6_14474 Depth=3
	s_delay_alu instid0(VALU_DEP_2) | instskip(SKIP_2) | instid1(VALU_DEP_2)
	v_cmp_lt_u32_e32 vcc_lo, 0xffffff, v49
	v_sub_nc_u32_e32 v48, v113, v116
	v_cndmask_b32_e64 v113, 0, 1, vcc_lo
	v_add_co_ci_u32_e32 v48, vcc_lo, 0, v48, vcc_lo
	s_delay_alu instid0(VALU_DEP_2)
	v_lshrrev_b32_e32 v49, v113, v49
; %bb.15224:                            ;   in Loop: Header=BB6_14474 Depth=3
	s_and_not1_saveexec_b32 s13, s13
; %bb.15225:                            ;   in Loop: Header=BB6_14474 Depth=3
	s_delay_alu instid0(VALU_DEP_1)
	v_bfe_u32 v48, v49, 23, 1
; %bb.15226:                            ;   in Loop: Header=BB6_14474 Depth=3
	s_or_b32 exec_lo, exec_lo, s13
	v_lshrrev_b32_e32 v49, 20, v49
	s_delay_alu instid0(VALU_DEP_2) | instskip(SKIP_2) | instid1(VALU_DEP_4)
	v_cmp_gt_i32_e32 vcc_lo, 16, v48
	v_lshrrev_b32_e32 v101, 24, v101
	v_min_i32_e32 v113, 15, v48
	v_cndmask_b32_e32 v49, 7, v49, vcc_lo
	s_delay_alu instid0(VALU_DEP_3) | instskip(NEXT) | instid1(VALU_DEP_3)
	v_and_b32_e32 v101, 0x80, v101
	v_lshlrev_b32_e32 v113, 3, v113
	s_delay_alu instid0(VALU_DEP_3) | instskip(SKIP_1) | instid1(VALU_DEP_2)
	v_and_b32_e32 v116, 7, v49
	v_or_b32_e32 v48, v48, v49
	v_or3_b32 v49, v113, v101, v116
	s_delay_alu instid0(VALU_DEP_2) | instskip(NEXT) | instid1(VALU_DEP_2)
	v_cmp_ne_u32_e32 vcc_lo, 0, v48
	v_cndmask_b32_e32 v48, 0, v49, vcc_lo
.LBB6_15227:                            ;   in Loop: Header=BB6_14474 Depth=3
	s_or_b32 exec_lo, exec_lo, s34
.LBB6_15228:                            ;   in Loop: Header=BB6_14474 Depth=3
	s_delay_alu instid0(SALU_CYCLE_1) | instskip(NEXT) | instid1(SALU_CYCLE_1)
	s_or_b32 exec_lo, exec_lo, s31
	s_and_not1_b32 vcc_lo, exec_lo, s16
	s_cbranch_vccnz .LBB6_15238
; %bb.15229:                            ;   in Loop: Header=BB6_14474 Depth=3
	v_and_b32_e32 v101, 0xff, v38
	s_mov_b32 s13, 0
	s_mov_b32 s34, exec_lo
                                        ; implicit-def: $sgpr31
	s_delay_alu instid0(VALU_DEP_1)
	v_cmpx_lt_i16_e32 0x7f, v101
	s_xor_b32 s34, exec_lo, s34
	s_cbranch_execnz .LBB6_15816
; %bb.15230:                            ;   in Loop: Header=BB6_14474 Depth=3
	s_or_saveexec_b32 s34, s34
	v_mov_b32_e32 v49, s31
	s_xor_b32 exec_lo, exec_lo, s34
	s_cbranch_execnz .LBB6_15819
.LBB6_15231:                            ;   in Loop: Header=BB6_14474 Depth=3
	s_or_b32 exec_lo, exec_lo, s34
	s_and_saveexec_b32 s31, s13
	s_cbranch_execz .LBB6_15233
.LBB6_15232:                            ;   in Loop: Header=BB6_14474 Depth=3
	v_and_b32_e32 v49, 7, v38
	v_lshrrev_b16 v116, 3, v38
	s_delay_alu instid0(VALU_DEP_2) | instskip(NEXT) | instid1(VALU_DEP_1)
	v_clz_i32_u32_e32 v101, v49
	v_min_u32_e32 v101, 32, v101
	s_delay_alu instid0(VALU_DEP_1) | instskip(SKIP_1) | instid1(VALU_DEP_2)
	v_subrev_nc_u32_e32 v113, 28, v101
	v_sub_nc_u32_e32 v101, 29, v101
	v_lshlrev_b32_e32 v113, v113, v38
	s_delay_alu instid0(VALU_DEP_1) | instskip(SKIP_1) | instid1(VALU_DEP_1)
	v_and_b32_e32 v113, 7, v113
	v_and_b32_e32 v116, 15, v116
	v_cmp_eq_u32_e32 vcc_lo, 0, v116
	s_delay_alu instid0(VALU_DEP_3) | instskip(SKIP_1) | instid1(VALU_DEP_2)
	v_dual_cndmask_b32 v49, v49, v113 :: v_dual_lshlrev_b32 v40, 24, v38
	v_cndmask_b32_e32 v101, v116, v101, vcc_lo
	v_lshlrev_b32_e32 v49, 20, v49
	s_delay_alu instid0(VALU_DEP_3) | instskip(NEXT) | instid1(VALU_DEP_3)
	v_and_b32_e32 v113, 0x80000000, v40
	v_lshl_add_u32 v101, v101, 23, 0x3b800000
	s_delay_alu instid0(VALU_DEP_1)
	v_or3_b32 v49, v113, v101, v49
.LBB6_15233:                            ;   in Loop: Header=BB6_14474 Depth=3
	s_or_b32 exec_lo, exec_lo, s31
	s_waitcnt vmcnt(5) lgkmcnt(5)
	v_and_b32_e32 v113, 0xff, v37
	s_mov_b32 s13, 0
	s_mov_b32 s34, exec_lo
                                        ; implicit-def: $sgpr31
	s_delay_alu instid0(VALU_DEP_1)
	v_cmpx_lt_i16_e32 0x7f, v113
	s_xor_b32 s34, exec_lo, s34
	s_cbranch_execnz .LBB6_15820
; %bb.15234:                            ;   in Loop: Header=BB6_14474 Depth=3
	s_or_saveexec_b32 s34, s34
	v_mov_b32_e32 v101, s31
	s_xor_b32 exec_lo, exec_lo, s34
	s_cbranch_execnz .LBB6_15823
.LBB6_15235:                            ;   in Loop: Header=BB6_14474 Depth=3
	s_or_b32 exec_lo, exec_lo, s34
	s_and_saveexec_b32 s31, s13
	s_cbranch_execz .LBB6_15237
.LBB6_15236:                            ;   in Loop: Header=BB6_14474 Depth=3
	v_and_b32_e32 v101, 7, v37
	v_lshrrev_b16 v40, 3, v37
	v_lshlrev_b32_e32 v43, 24, v37
	s_delay_alu instid0(VALU_DEP_3) | instskip(NEXT) | instid1(VALU_DEP_3)
	v_clz_i32_u32_e32 v113, v101
	v_and_b32_e32 v40, 15, v40
	s_delay_alu instid0(VALU_DEP_2) | instskip(NEXT) | instid1(VALU_DEP_2)
	v_min_u32_e32 v113, 32, v113
	v_cmp_eq_u32_e32 vcc_lo, 0, v40
	s_delay_alu instid0(VALU_DEP_2) | instskip(SKIP_1) | instid1(VALU_DEP_2)
	v_subrev_nc_u32_e32 v116, 28, v113
	v_sub_nc_u32_e32 v113, 29, v113
	v_lshlrev_b32_e32 v116, v116, v37
	s_delay_alu instid0(VALU_DEP_1) | instskip(NEXT) | instid1(VALU_DEP_1)
	v_dual_cndmask_b32 v113, v40, v113 :: v_dual_and_b32 v116, 7, v116
	v_lshl_add_u32 v113, v113, 23, 0x3b800000
	s_delay_alu instid0(VALU_DEP_2) | instskip(NEXT) | instid1(VALU_DEP_1)
	v_dual_cndmask_b32 v101, v101, v116 :: v_dual_and_b32 v116, 0x80000000, v43
	v_lshlrev_b32_e32 v101, 20, v101
	s_delay_alu instid0(VALU_DEP_1)
	v_or3_b32 v101, v116, v113, v101
.LBB6_15237:                            ;   in Loop: Header=BB6_14474 Depth=3
	s_or_b32 exec_lo, exec_lo, s31
	s_delay_alu instid0(VALU_DEP_1) | instskip(SKIP_2) | instid1(VALU_DEP_1)
	v_max_f32_e32 v101, v101, v101
	v_max_f32_e32 v49, v49, v49
	s_mov_b32 s13, 0
	v_max_f32_e32 v49, v49, v101
	s_branch .LBB6_15239
.LBB6_15238:                            ;   in Loop: Header=BB6_14474 Depth=3
	s_mov_b32 s13, -1
                                        ; implicit-def: $vgpr49
.LBB6_15239:                            ;   in Loop: Header=BB6_14474 Depth=3
	s_delay_alu instid0(SALU_CYCLE_1)
	s_and_b32 vcc_lo, exec_lo, s13
	s_cbranch_vccz .LBB6_15249
; %bb.15240:                            ;   in Loop: Header=BB6_14474 Depth=3
	v_and_b32_e32 v101, 0xff, v38
	s_mov_b32 s13, 0
	s_mov_b32 s34, exec_lo
                                        ; implicit-def: $sgpr31
	s_delay_alu instid0(VALU_DEP_1)
	v_cmpx_lt_i16_e32 0x7f, v101
	s_xor_b32 s34, exec_lo, s34
	s_cbranch_execnz .LBB6_15824
; %bb.15241:                            ;   in Loop: Header=BB6_14474 Depth=3
	s_or_saveexec_b32 s34, s34
	v_mov_b32_e32 v49, s31
	s_xor_b32 exec_lo, exec_lo, s34
	s_cbranch_execnz .LBB6_15827
.LBB6_15242:                            ;   in Loop: Header=BB6_14474 Depth=3
	s_or_b32 exec_lo, exec_lo, s34
	s_and_saveexec_b32 s31, s13
	s_cbranch_execz .LBB6_15244
.LBB6_15243:                            ;   in Loop: Header=BB6_14474 Depth=3
	v_and_b32_e32 v49, 7, v38
	v_lshrrev_b16 v116, 3, v38
	s_delay_alu instid0(VALU_DEP_2) | instskip(NEXT) | instid1(VALU_DEP_1)
	v_clz_i32_u32_e32 v101, v49
	v_min_u32_e32 v101, 32, v101
	s_delay_alu instid0(VALU_DEP_1) | instskip(SKIP_1) | instid1(VALU_DEP_2)
	v_subrev_nc_u32_e32 v113, 28, v101
	v_sub_nc_u32_e32 v101, 29, v101
	v_lshlrev_b32_e32 v113, v113, v38
	s_delay_alu instid0(VALU_DEP_1) | instskip(SKIP_1) | instid1(VALU_DEP_1)
	v_and_b32_e32 v113, 7, v113
	v_and_b32_e32 v116, 15, v116
	v_cmp_eq_u32_e32 vcc_lo, 0, v116
	s_delay_alu instid0(VALU_DEP_3) | instskip(SKIP_1) | instid1(VALU_DEP_2)
	v_dual_cndmask_b32 v49, v49, v113 :: v_dual_lshlrev_b32 v38, 24, v38
	v_cndmask_b32_e32 v101, v116, v101, vcc_lo
	v_lshlrev_b32_e32 v49, 20, v49
	s_delay_alu instid0(VALU_DEP_3) | instskip(NEXT) | instid1(VALU_DEP_3)
	v_and_b32_e32 v38, 0x80000000, v38
	v_lshl_add_u32 v101, v101, 23, 0x3b800000
	s_delay_alu instid0(VALU_DEP_1)
	v_or3_b32 v49, v38, v101, v49
.LBB6_15244:                            ;   in Loop: Header=BB6_14474 Depth=3
	s_or_b32 exec_lo, exec_lo, s31
	s_waitcnt vmcnt(5) lgkmcnt(5)
	v_and_b32_e32 v101, 0xff, v37
	s_mov_b32 s13, 0
	s_mov_b32 s34, exec_lo
                                        ; implicit-def: $sgpr31
	s_delay_alu instid0(VALU_DEP_1)
	v_cmpx_lt_i16_e32 0x7f, v101
	s_xor_b32 s34, exec_lo, s34
	s_cbranch_execnz .LBB6_15828
; %bb.15245:                            ;   in Loop: Header=BB6_14474 Depth=3
	s_or_saveexec_b32 s34, s34
	v_mov_b32_e32 v38, s31
	s_xor_b32 exec_lo, exec_lo, s34
	s_cbranch_execnz .LBB6_15831
.LBB6_15246:                            ;   in Loop: Header=BB6_14474 Depth=3
	s_or_b32 exec_lo, exec_lo, s34
	s_and_saveexec_b32 s31, s13
	s_cbranch_execz .LBB6_15248
.LBB6_15247:                            ;   in Loop: Header=BB6_14474 Depth=3
	v_and_b32_e32 v38, 7, v37
	v_lshrrev_b16 v116, 3, v37
	s_delay_alu instid0(VALU_DEP_2) | instskip(NEXT) | instid1(VALU_DEP_2)
	v_clz_i32_u32_e32 v101, v38
	v_and_b32_e32 v116, 15, v116
	s_delay_alu instid0(VALU_DEP_2) | instskip(NEXT) | instid1(VALU_DEP_2)
	v_min_u32_e32 v101, 32, v101
	v_cmp_eq_u32_e32 vcc_lo, 0, v116
	s_delay_alu instid0(VALU_DEP_2) | instskip(SKIP_1) | instid1(VALU_DEP_2)
	v_subrev_nc_u32_e32 v113, 28, v101
	v_sub_nc_u32_e32 v101, 29, v101
	v_lshlrev_b32_e32 v113, v113, v37
	v_lshlrev_b32_e32 v37, 24, v37
	s_delay_alu instid0(VALU_DEP_2) | instskip(NEXT) | instid1(VALU_DEP_2)
	v_and_b32_e32 v113, 7, v113
	v_and_b32_e32 v37, 0x80000000, v37
	s_delay_alu instid0(VALU_DEP_2) | instskip(NEXT) | instid1(VALU_DEP_1)
	v_cndmask_b32_e32 v38, v38, v113, vcc_lo
	v_dual_cndmask_b32 v101, v116, v101 :: v_dual_lshlrev_b32 v38, 20, v38
	s_delay_alu instid0(VALU_DEP_1) | instskip(NEXT) | instid1(VALU_DEP_1)
	v_lshl_add_u32 v101, v101, 23, 0x3b800000
	v_or3_b32 v38, v37, v101, v38
.LBB6_15248:                            ;   in Loop: Header=BB6_14474 Depth=3
	s_or_b32 exec_lo, exec_lo, s31
	s_delay_alu instid0(VALU_DEP_1) | instskip(NEXT) | instid1(VALU_DEP_1)
	v_dual_max_f32 v37, v38, v38 :: v_dual_max_f32 v38, v49, v49
	v_min_f32_e32 v49, v38, v37
.LBB6_15249:                            ;   in Loop: Header=BB6_14474 Depth=3
	s_waitcnt vmcnt(5) lgkmcnt(5)
	s_delay_alu instid0(VALU_DEP_1) | instskip(NEXT) | instid1(VALU_DEP_1)
	v_and_b32_e32 v37, 0x7f800000, v49
	v_cmp_ne_u32_e32 vcc_lo, 0x7f800000, v37
	v_mov_b32_e32 v37, 0x80
	s_and_saveexec_b32 s31, vcc_lo
	s_cbranch_execz .LBB6_15257
; %bb.15250:                            ;   in Loop: Header=BB6_14474 Depth=3
	v_mov_b32_e32 v37, 0
	s_mov_b32 s34, exec_lo
	v_cmpx_ne_u32_e32 0, v49
	s_cbranch_execz .LBB6_15256
; %bb.15251:                            ;   in Loop: Header=BB6_14474 Depth=3
	v_bfe_u32 v37, v49, 23, 8
	v_and_b32_e32 v38, 0x7fffff, v49
	s_delay_alu instid0(VALU_DEP_2) | instskip(SKIP_1) | instid1(VALU_DEP_3)
	v_sub_nc_u32_e32 v101, 0x78, v37
	v_cmp_gt_u32_e32 vcc_lo, 0x79, v37
	v_or_b32_e32 v113, 0x800000, v38
	s_delay_alu instid0(VALU_DEP_3) | instskip(SKIP_1) | instid1(VALU_DEP_3)
	v_cndmask_b32_e32 v101, 0, v101, vcc_lo
	v_cmp_eq_u32_e32 vcc_lo, 0, v37
	v_dual_cndmask_b32 v38, v113, v38 :: v_dual_add_nc_u32 v37, 0xffffff89, v37
	s_delay_alu instid0(VALU_DEP_3) | instskip(NEXT) | instid1(VALU_DEP_2)
	v_cndmask_b32_e64 v101, v101, 0x77, vcc_lo
	v_cndmask_b32_e64 v37, v37, 0xffffff8a, vcc_lo
	s_delay_alu instid0(VALU_DEP_2) | instskip(SKIP_2) | instid1(VALU_DEP_4)
	v_lshrrev_b32_e32 v116, v101, v38
	v_lshl_add_u32 v113, 0x100000, v101, -1
	v_lshlrev_b32_e64 v43, v101, 0x80000
	v_add_nc_u32_e32 v101, v101, v37
	s_delay_alu instid0(VALU_DEP_4) | instskip(NEXT) | instid1(VALU_DEP_4)
	v_bfe_u32 v40, v116, 20, 1
	v_and_b32_e32 v38, v113, v38
	s_delay_alu instid0(VALU_DEP_2) | instskip(NEXT) | instid1(VALU_DEP_2)
	v_add_nc_u32_e32 v113, -1, v40
	v_cmp_eq_u32_e64 s13, v38, v43
	s_delay_alu instid0(VALU_DEP_1) | instskip(SKIP_2) | instid1(VALU_DEP_2)
	v_cndmask_b32_e64 v38, 0, v113, s13
	v_lshrrev_b32_e32 v113, 23, v116
	s_mov_b32 s13, exec_lo
	v_add_nc_u32_e32 v38, v38, v116
	s_delay_alu instid0(VALU_DEP_2) | instskip(NEXT) | instid1(VALU_DEP_2)
	v_xor_b32_e32 v113, 1, v113
	v_and_b32_e32 v37, 0xfffff, v38
	s_delay_alu instid0(VALU_DEP_1) | instskip(NEXT) | instid1(VALU_DEP_3)
	v_add_nc_u32_e32 v38, v37, v116
                                        ; implicit-def: $vgpr37
	v_cmpx_ne_u32_e64 v101, v113
	s_xor_b32 s13, exec_lo, s13
; %bb.15252:                            ;   in Loop: Header=BB6_14474 Depth=3
	s_delay_alu instid0(VALU_DEP_2) | instskip(SKIP_2) | instid1(VALU_DEP_2)
	v_cmp_lt_u32_e32 vcc_lo, 0xffffff, v38
	v_sub_nc_u32_e32 v37, v101, v113
	v_cndmask_b32_e64 v101, 0, 1, vcc_lo
	v_add_co_ci_u32_e32 v37, vcc_lo, 0, v37, vcc_lo
	s_delay_alu instid0(VALU_DEP_2)
	v_lshrrev_b32_e32 v38, v101, v38
; %bb.15253:                            ;   in Loop: Header=BB6_14474 Depth=3
	s_and_not1_saveexec_b32 s13, s13
; %bb.15254:                            ;   in Loop: Header=BB6_14474 Depth=3
	s_delay_alu instid0(VALU_DEP_1)
	v_bfe_u32 v37, v38, 23, 1
; %bb.15255:                            ;   in Loop: Header=BB6_14474 Depth=3
	s_or_b32 exec_lo, exec_lo, s13
	v_lshrrev_b32_e32 v38, 20, v38
	s_delay_alu instid0(VALU_DEP_2) | instskip(SKIP_2) | instid1(VALU_DEP_2)
	v_cmp_gt_i32_e32 vcc_lo, 16, v37
	v_lshrrev_b32_e32 v49, 24, v49
	v_min_i32_e32 v101, 15, v37
	v_dual_cndmask_b32 v38, 7, v38 :: v_dual_and_b32 v49, 0x80, v49
	s_delay_alu instid0(VALU_DEP_2) | instskip(NEXT) | instid1(VALU_DEP_2)
	v_lshlrev_b32_e32 v101, 3, v101
	v_and_b32_e32 v113, 7, v38
	v_or_b32_e32 v37, v37, v38
	s_delay_alu instid0(VALU_DEP_2) | instskip(NEXT) | instid1(VALU_DEP_2)
	v_or3_b32 v38, v101, v49, v113
	v_cmp_ne_u32_e32 vcc_lo, 0, v37
	s_delay_alu instid0(VALU_DEP_2)
	v_cndmask_b32_e32 v37, 0, v38, vcc_lo
.LBB6_15256:                            ;   in Loop: Header=BB6_14474 Depth=3
	s_or_b32 exec_lo, exec_lo, s34
.LBB6_15257:                            ;   in Loop: Header=BB6_14474 Depth=3
	s_delay_alu instid0(SALU_CYCLE_1) | instskip(NEXT) | instid1(SALU_CYCLE_1)
	s_or_b32 exec_lo, exec_lo, s31
	s_and_not1_b32 vcc_lo, exec_lo, s16
	s_cbranch_vccnz .LBB6_15267
; %bb.15258:                            ;   in Loop: Header=BB6_14474 Depth=3
	v_and_b32_e32 v49, 0xff, v35
	s_mov_b32 s13, 0
	s_mov_b32 s34, exec_lo
                                        ; implicit-def: $sgpr31
	s_delay_alu instid0(VALU_DEP_1)
	v_cmpx_lt_i16_e32 0x7f, v49
	s_xor_b32 s34, exec_lo, s34
	s_cbranch_execnz .LBB6_15832
; %bb.15259:                            ;   in Loop: Header=BB6_14474 Depth=3
	s_or_saveexec_b32 s34, s34
	v_mov_b32_e32 v38, s31
	s_xor_b32 exec_lo, exec_lo, s34
	s_cbranch_execnz .LBB6_15835
.LBB6_15260:                            ;   in Loop: Header=BB6_14474 Depth=3
	s_or_b32 exec_lo, exec_lo, s34
	s_and_saveexec_b32 s31, s13
	s_cbranch_execz .LBB6_15262
.LBB6_15261:                            ;   in Loop: Header=BB6_14474 Depth=3
	v_lshrrev_b16 v113, 3, v35
	v_lshlrev_b32_e32 v116, 24, v35
	s_delay_alu instid0(VALU_DEP_2) | instskip(NEXT) | instid1(VALU_DEP_1)
	v_and_b32_e32 v113, 15, v113
	v_cmp_eq_u32_e32 vcc_lo, 0, v113
	v_and_b32_e32 v38, 7, v35
	s_delay_alu instid0(VALU_DEP_1) | instskip(NEXT) | instid1(VALU_DEP_1)
	v_clz_i32_u32_e32 v49, v38
	v_min_u32_e32 v49, 32, v49
	s_delay_alu instid0(VALU_DEP_1) | instskip(SKIP_1) | instid1(VALU_DEP_2)
	v_subrev_nc_u32_e32 v101, 28, v49
	v_sub_nc_u32_e32 v49, 29, v49
	v_lshlrev_b32_e32 v101, v101, v35
	s_delay_alu instid0(VALU_DEP_2) | instskip(NEXT) | instid1(VALU_DEP_2)
	v_cndmask_b32_e32 v49, v113, v49, vcc_lo
	v_and_b32_e32 v101, 7, v101
	s_delay_alu instid0(VALU_DEP_2) | instskip(NEXT) | instid1(VALU_DEP_2)
	v_lshl_add_u32 v49, v49, 23, 0x3b800000
	v_dual_cndmask_b32 v38, v38, v101 :: v_dual_and_b32 v101, 0x80000000, v116
	s_delay_alu instid0(VALU_DEP_1) | instskip(NEXT) | instid1(VALU_DEP_1)
	v_lshlrev_b32_e32 v38, 20, v38
	v_or3_b32 v38, v101, v49, v38
.LBB6_15262:                            ;   in Loop: Header=BB6_14474 Depth=3
	s_or_b32 exec_lo, exec_lo, s31
	s_waitcnt vmcnt(4) lgkmcnt(4)
	v_and_b32_e32 v101, 0xff, v34
	s_mov_b32 s13, 0
	s_mov_b32 s34, exec_lo
                                        ; implicit-def: $sgpr31
	s_delay_alu instid0(VALU_DEP_1)
	v_cmpx_lt_i16_e32 0x7f, v101
	s_xor_b32 s34, exec_lo, s34
	s_cbranch_execnz .LBB6_15836
; %bb.15263:                            ;   in Loop: Header=BB6_14474 Depth=3
	s_or_saveexec_b32 s34, s34
	v_mov_b32_e32 v49, s31
	s_xor_b32 exec_lo, exec_lo, s34
	s_cbranch_execnz .LBB6_15839
.LBB6_15264:                            ;   in Loop: Header=BB6_14474 Depth=3
	s_or_b32 exec_lo, exec_lo, s34
	s_and_saveexec_b32 s31, s13
	s_cbranch_execz .LBB6_15266
.LBB6_15265:                            ;   in Loop: Header=BB6_14474 Depth=3
	v_and_b32_e32 v49, 7, v34
	v_lshrrev_b16 v116, 3, v34
	s_delay_alu instid0(VALU_DEP_2) | instskip(NEXT) | instid1(VALU_DEP_1)
	v_clz_i32_u32_e32 v101, v49
	v_min_u32_e32 v101, 32, v101
	s_delay_alu instid0(VALU_DEP_1) | instskip(SKIP_1) | instid1(VALU_DEP_2)
	v_subrev_nc_u32_e32 v113, 28, v101
	v_sub_nc_u32_e32 v101, 29, v101
	v_lshlrev_b32_e32 v113, v113, v34
	s_delay_alu instid0(VALU_DEP_1) | instskip(SKIP_1) | instid1(VALU_DEP_1)
	v_and_b32_e32 v113, 7, v113
	v_and_b32_e32 v116, 15, v116
	v_cmp_eq_u32_e32 vcc_lo, 0, v116
	s_delay_alu instid0(VALU_DEP_3) | instskip(SKIP_1) | instid1(VALU_DEP_2)
	v_dual_cndmask_b32 v49, v49, v113 :: v_dual_lshlrev_b32 v40, 24, v34
	v_cndmask_b32_e32 v101, v116, v101, vcc_lo
	v_lshlrev_b32_e32 v49, 20, v49
	s_delay_alu instid0(VALU_DEP_3) | instskip(NEXT) | instid1(VALU_DEP_3)
	v_and_b32_e32 v113, 0x80000000, v40
	v_lshl_add_u32 v101, v101, 23, 0x3b800000
	s_delay_alu instid0(VALU_DEP_1)
	v_or3_b32 v49, v113, v101, v49
.LBB6_15266:                            ;   in Loop: Header=BB6_14474 Depth=3
	s_or_b32 exec_lo, exec_lo, s31
	s_delay_alu instid0(VALU_DEP_1) | instskip(SKIP_1) | instid1(VALU_DEP_1)
	v_dual_max_f32 v49, v49, v49 :: v_dual_max_f32 v38, v38, v38
	s_mov_b32 s13, 0
	v_max_f32_e32 v38, v38, v49
	s_branch .LBB6_15268
.LBB6_15267:                            ;   in Loop: Header=BB6_14474 Depth=3
	s_mov_b32 s13, -1
                                        ; implicit-def: $vgpr38
.LBB6_15268:                            ;   in Loop: Header=BB6_14474 Depth=3
	s_delay_alu instid0(SALU_CYCLE_1)
	s_and_b32 vcc_lo, exec_lo, s13
	s_cbranch_vccz .LBB6_15278
; %bb.15269:                            ;   in Loop: Header=BB6_14474 Depth=3
	v_and_b32_e32 v49, 0xff, v35
	s_mov_b32 s13, 0
	s_mov_b32 s34, exec_lo
                                        ; implicit-def: $sgpr31
	s_delay_alu instid0(VALU_DEP_1)
	v_cmpx_lt_i16_e32 0x7f, v49
	s_xor_b32 s34, exec_lo, s34
	s_cbranch_execnz .LBB6_15840
; %bb.15270:                            ;   in Loop: Header=BB6_14474 Depth=3
	s_or_saveexec_b32 s34, s34
	v_mov_b32_e32 v38, s31
	s_xor_b32 exec_lo, exec_lo, s34
	s_cbranch_execnz .LBB6_15843
.LBB6_15271:                            ;   in Loop: Header=BB6_14474 Depth=3
	s_or_b32 exec_lo, exec_lo, s34
	s_and_saveexec_b32 s31, s13
	s_cbranch_execz .LBB6_15273
.LBB6_15272:                            ;   in Loop: Header=BB6_14474 Depth=3
	v_lshrrev_b16 v113, 3, v35
	s_delay_alu instid0(VALU_DEP_1) | instskip(NEXT) | instid1(VALU_DEP_1)
	v_and_b32_e32 v113, 15, v113
	v_cmp_eq_u32_e32 vcc_lo, 0, v113
	v_and_b32_e32 v38, 7, v35
	s_delay_alu instid0(VALU_DEP_1) | instskip(NEXT) | instid1(VALU_DEP_1)
	v_clz_i32_u32_e32 v49, v38
	v_min_u32_e32 v49, 32, v49
	s_delay_alu instid0(VALU_DEP_1) | instskip(SKIP_1) | instid1(VALU_DEP_2)
	v_subrev_nc_u32_e32 v101, 28, v49
	v_sub_nc_u32_e32 v49, 29, v49
	v_lshlrev_b32_e32 v101, v101, v35
	s_delay_alu instid0(VALU_DEP_2) | instskip(NEXT) | instid1(VALU_DEP_2)
	v_cndmask_b32_e32 v49, v113, v49, vcc_lo
	v_and_b32_e32 v101, 7, v101
	v_lshlrev_b32_e32 v35, 24, v35
	s_delay_alu instid0(VALU_DEP_3) | instskip(NEXT) | instid1(VALU_DEP_2)
	v_lshl_add_u32 v49, v49, 23, 0x3b800000
	v_dual_cndmask_b32 v38, v38, v101 :: v_dual_and_b32 v35, 0x80000000, v35
	s_delay_alu instid0(VALU_DEP_1) | instskip(NEXT) | instid1(VALU_DEP_1)
	v_lshlrev_b32_e32 v38, 20, v38
	v_or3_b32 v38, v35, v49, v38
.LBB6_15273:                            ;   in Loop: Header=BB6_14474 Depth=3
	s_or_b32 exec_lo, exec_lo, s31
	s_waitcnt vmcnt(4) lgkmcnt(4)
	v_and_b32_e32 v49, 0xff, v34
	s_mov_b32 s13, 0
	s_mov_b32 s34, exec_lo
                                        ; implicit-def: $sgpr31
	s_delay_alu instid0(VALU_DEP_1)
	v_cmpx_lt_i16_e32 0x7f, v49
	s_xor_b32 s34, exec_lo, s34
	s_cbranch_execnz .LBB6_15844
; %bb.15274:                            ;   in Loop: Header=BB6_14474 Depth=3
	s_or_saveexec_b32 s34, s34
	v_mov_b32_e32 v35, s31
	s_xor_b32 exec_lo, exec_lo, s34
	s_cbranch_execnz .LBB6_15847
.LBB6_15275:                            ;   in Loop: Header=BB6_14474 Depth=3
	s_or_b32 exec_lo, exec_lo, s34
	s_and_saveexec_b32 s31, s13
	s_cbranch_execz .LBB6_15277
.LBB6_15276:                            ;   in Loop: Header=BB6_14474 Depth=3
	v_and_b32_e32 v35, 7, v34
	v_lshrrev_b16 v113, 3, v34
	s_delay_alu instid0(VALU_DEP_2) | instskip(NEXT) | instid1(VALU_DEP_2)
	v_clz_i32_u32_e32 v49, v35
	v_and_b32_e32 v113, 15, v113
	s_delay_alu instid0(VALU_DEP_2) | instskip(NEXT) | instid1(VALU_DEP_2)
	v_min_u32_e32 v49, 32, v49
	v_cmp_eq_u32_e32 vcc_lo, 0, v113
	s_delay_alu instid0(VALU_DEP_2) | instskip(SKIP_1) | instid1(VALU_DEP_2)
	v_subrev_nc_u32_e32 v101, 28, v49
	v_sub_nc_u32_e32 v49, 29, v49
	v_lshlrev_b32_e32 v101, v101, v34
	s_delay_alu instid0(VALU_DEP_2) | instskip(NEXT) | instid1(VALU_DEP_2)
	v_dual_cndmask_b32 v49, v113, v49 :: v_dual_lshlrev_b32 v34, 24, v34
	v_and_b32_e32 v101, 7, v101
	s_delay_alu instid0(VALU_DEP_2) | instskip(NEXT) | instid1(VALU_DEP_3)
	v_and_b32_e32 v34, 0x80000000, v34
	v_lshl_add_u32 v49, v49, 23, 0x3b800000
	s_delay_alu instid0(VALU_DEP_3) | instskip(NEXT) | instid1(VALU_DEP_1)
	v_cndmask_b32_e32 v35, v35, v101, vcc_lo
	v_lshlrev_b32_e32 v35, 20, v35
	s_delay_alu instid0(VALU_DEP_1)
	v_or3_b32 v35, v34, v49, v35
.LBB6_15277:                            ;   in Loop: Header=BB6_14474 Depth=3
	s_or_b32 exec_lo, exec_lo, s31
	s_delay_alu instid0(VALU_DEP_1) | instskip(NEXT) | instid1(VALU_DEP_1)
	v_dual_max_f32 v34, v35, v35 :: v_dual_max_f32 v35, v38, v38
	v_min_f32_e32 v38, v35, v34
.LBB6_15278:                            ;   in Loop: Header=BB6_14474 Depth=3
	s_waitcnt vmcnt(4) lgkmcnt(4)
	s_delay_alu instid0(VALU_DEP_1) | instskip(NEXT) | instid1(VALU_DEP_1)
	v_and_b32_e32 v34, 0x7f800000, v38
	v_cmp_ne_u32_e32 vcc_lo, 0x7f800000, v34
	v_mov_b32_e32 v34, 0x80
	s_and_saveexec_b32 s31, vcc_lo
	s_cbranch_execz .LBB6_15286
; %bb.15279:                            ;   in Loop: Header=BB6_14474 Depth=3
	v_mov_b32_e32 v34, 0
	s_mov_b32 s34, exec_lo
	v_cmpx_ne_u32_e32 0, v38
	s_cbranch_execz .LBB6_15285
; %bb.15280:                            ;   in Loop: Header=BB6_14474 Depth=3
	v_bfe_u32 v34, v38, 23, 8
	v_and_b32_e32 v35, 0x7fffff, v38
	s_delay_alu instid0(VALU_DEP_2) | instskip(SKIP_1) | instid1(VALU_DEP_3)
	v_sub_nc_u32_e32 v49, 0x78, v34
	v_cmp_gt_u32_e32 vcc_lo, 0x79, v34
	v_or_b32_e32 v101, 0x800000, v35
	s_delay_alu instid0(VALU_DEP_3) | instskip(SKIP_2) | instid1(VALU_DEP_3)
	v_cndmask_b32_e32 v49, 0, v49, vcc_lo
	v_cmp_eq_u32_e32 vcc_lo, 0, v34
	v_add_nc_u32_e32 v34, 0xffffff89, v34
	v_cndmask_b32_e64 v49, v49, 0x77, vcc_lo
	v_cndmask_b32_e32 v35, v101, v35, vcc_lo
	s_delay_alu instid0(VALU_DEP_3) | instskip(NEXT) | instid1(VALU_DEP_3)
	v_cndmask_b32_e64 v34, v34, 0xffffff8a, vcc_lo
	v_lshl_add_u32 v101, 0x100000, v49, -1
	s_delay_alu instid0(VALU_DEP_3) | instskip(SKIP_1) | instid1(VALU_DEP_4)
	v_lshrrev_b32_e32 v113, v49, v35
	v_lshlrev_b32_e64 v40, v49, 0x80000
	v_add_nc_u32_e32 v49, v49, v34
	s_delay_alu instid0(VALU_DEP_4) | instskip(NEXT) | instid1(VALU_DEP_4)
	v_and_b32_e32 v35, v101, v35
	v_bfe_u32 v116, v113, 20, 1
	s_delay_alu instid0(VALU_DEP_2) | instskip(NEXT) | instid1(VALU_DEP_2)
	v_cmp_eq_u32_e64 s13, v35, v40
	v_add_nc_u32_e32 v101, -1, v116
	s_delay_alu instid0(VALU_DEP_1) | instskip(SKIP_2) | instid1(VALU_DEP_2)
	v_cndmask_b32_e64 v35, 0, v101, s13
	v_lshrrev_b32_e32 v101, 23, v113
	s_mov_b32 s13, exec_lo
	v_add_nc_u32_e32 v35, v35, v113
	s_delay_alu instid0(VALU_DEP_2) | instskip(NEXT) | instid1(VALU_DEP_2)
	v_xor_b32_e32 v101, 1, v101
	v_and_b32_e32 v34, 0xfffff, v35
	s_delay_alu instid0(VALU_DEP_1) | instskip(NEXT) | instid1(VALU_DEP_3)
	v_add_nc_u32_e32 v35, v34, v113
                                        ; implicit-def: $vgpr34
	v_cmpx_ne_u32_e64 v49, v101
	s_xor_b32 s13, exec_lo, s13
; %bb.15281:                            ;   in Loop: Header=BB6_14474 Depth=3
	s_delay_alu instid0(VALU_DEP_2) | instskip(SKIP_2) | instid1(VALU_DEP_2)
	v_cmp_lt_u32_e32 vcc_lo, 0xffffff, v35
	v_sub_nc_u32_e32 v34, v49, v101
	v_cndmask_b32_e64 v49, 0, 1, vcc_lo
	v_add_co_ci_u32_e32 v34, vcc_lo, 0, v34, vcc_lo
	s_delay_alu instid0(VALU_DEP_2)
	v_lshrrev_b32_e32 v35, v49, v35
; %bb.15282:                            ;   in Loop: Header=BB6_14474 Depth=3
	s_and_not1_saveexec_b32 s13, s13
; %bb.15283:                            ;   in Loop: Header=BB6_14474 Depth=3
	s_delay_alu instid0(VALU_DEP_1)
	v_bfe_u32 v34, v35, 23, 1
; %bb.15284:                            ;   in Loop: Header=BB6_14474 Depth=3
	s_or_b32 exec_lo, exec_lo, s13
	v_lshrrev_b32_e32 v35, 20, v35
	s_delay_alu instid0(VALU_DEP_2) | instskip(SKIP_2) | instid1(VALU_DEP_2)
	v_cmp_gt_i32_e32 vcc_lo, 16, v34
	v_lshrrev_b32_e32 v38, 24, v38
	v_min_i32_e32 v49, 15, v34
	v_dual_cndmask_b32 v35, 7, v35 :: v_dual_and_b32 v38, 0x80, v38
	s_delay_alu instid0(VALU_DEP_1) | instskip(SKIP_1) | instid1(VALU_DEP_2)
	v_or_b32_e32 v34, v34, v35
	v_and_b32_e32 v101, 7, v35
	v_cmp_ne_u32_e32 vcc_lo, 0, v34
	v_lshlrev_b32_e32 v49, 3, v49
	s_delay_alu instid0(VALU_DEP_1) | instskip(NEXT) | instid1(VALU_DEP_1)
	v_or3_b32 v35, v49, v38, v101
	v_cndmask_b32_e32 v34, 0, v35, vcc_lo
.LBB6_15285:                            ;   in Loop: Header=BB6_14474 Depth=3
	s_or_b32 exec_lo, exec_lo, s34
.LBB6_15286:                            ;   in Loop: Header=BB6_14474 Depth=3
	s_delay_alu instid0(SALU_CYCLE_1) | instskip(NEXT) | instid1(SALU_CYCLE_1)
	s_or_b32 exec_lo, exec_lo, s31
	s_and_not1_b32 vcc_lo, exec_lo, s16
	s_cbranch_vccnz .LBB6_15296
; %bb.15287:                            ;   in Loop: Header=BB6_14474 Depth=3
	v_and_b32_e32 v38, 0xff, v32
	s_mov_b32 s13, 0
	s_mov_b32 s34, exec_lo
                                        ; implicit-def: $sgpr31
	s_delay_alu instid0(VALU_DEP_1)
	v_cmpx_lt_i16_e32 0x7f, v38
	s_xor_b32 s34, exec_lo, s34
	s_cbranch_execnz .LBB6_15848
; %bb.15288:                            ;   in Loop: Header=BB6_14474 Depth=3
	s_or_saveexec_b32 s34, s34
	v_mov_b32_e32 v35, s31
	s_xor_b32 exec_lo, exec_lo, s34
	s_cbranch_execnz .LBB6_15851
.LBB6_15289:                            ;   in Loop: Header=BB6_14474 Depth=3
	s_or_b32 exec_lo, exec_lo, s34
	s_and_saveexec_b32 s31, s13
	s_cbranch_execz .LBB6_15291
.LBB6_15290:                            ;   in Loop: Header=BB6_14474 Depth=3
	v_lshrrev_b16 v101, 3, v32
	v_lshlrev_b32_e32 v113, 24, v32
	s_delay_alu instid0(VALU_DEP_2) | instskip(NEXT) | instid1(VALU_DEP_1)
	v_and_b32_e32 v101, 15, v101
	v_cmp_eq_u32_e32 vcc_lo, 0, v101
	v_and_b32_e32 v35, 7, v32
	s_delay_alu instid0(VALU_DEP_1) | instskip(NEXT) | instid1(VALU_DEP_1)
	v_clz_i32_u32_e32 v38, v35
	v_min_u32_e32 v38, 32, v38
	s_delay_alu instid0(VALU_DEP_1) | instskip(SKIP_1) | instid1(VALU_DEP_2)
	v_subrev_nc_u32_e32 v49, 28, v38
	v_sub_nc_u32_e32 v38, 29, v38
	v_lshlrev_b32_e32 v49, v49, v32
	s_delay_alu instid0(VALU_DEP_1) | instskip(NEXT) | instid1(VALU_DEP_1)
	v_dual_cndmask_b32 v38, v101, v38 :: v_dual_and_b32 v49, 7, v49
	v_lshl_add_u32 v38, v38, 23, 0x3b800000
	s_delay_alu instid0(VALU_DEP_2) | instskip(SKIP_1) | instid1(VALU_DEP_2)
	v_cndmask_b32_e32 v35, v35, v49, vcc_lo
	v_and_b32_e32 v49, 0x80000000, v113
	v_lshlrev_b32_e32 v35, 20, v35
	s_delay_alu instid0(VALU_DEP_1)
	v_or3_b32 v35, v49, v38, v35
.LBB6_15291:                            ;   in Loop: Header=BB6_14474 Depth=3
	s_or_b32 exec_lo, exec_lo, s31
	s_waitcnt vmcnt(3) lgkmcnt(3)
	v_and_b32_e32 v49, 0xff, v27
	s_mov_b32 s13, 0
	s_mov_b32 s34, exec_lo
                                        ; implicit-def: $sgpr31
	s_delay_alu instid0(VALU_DEP_1)
	v_cmpx_lt_i16_e32 0x7f, v49
	s_xor_b32 s34, exec_lo, s34
	s_cbranch_execnz .LBB6_15852
; %bb.15292:                            ;   in Loop: Header=BB6_14474 Depth=3
	s_or_saveexec_b32 s34, s34
	v_mov_b32_e32 v38, s31
	s_xor_b32 exec_lo, exec_lo, s34
	s_cbranch_execnz .LBB6_15855
.LBB6_15293:                            ;   in Loop: Header=BB6_14474 Depth=3
	s_or_b32 exec_lo, exec_lo, s34
	s_and_saveexec_b32 s31, s13
	s_cbranch_execz .LBB6_15295
.LBB6_15294:                            ;   in Loop: Header=BB6_14474 Depth=3
	v_lshrrev_b16 v113, 3, v27
	v_lshlrev_b32_e32 v116, 24, v27
	s_delay_alu instid0(VALU_DEP_2) | instskip(NEXT) | instid1(VALU_DEP_1)
	v_and_b32_e32 v113, 15, v113
	v_cmp_eq_u32_e32 vcc_lo, 0, v113
	v_and_b32_e32 v38, 7, v27
	s_delay_alu instid0(VALU_DEP_1) | instskip(NEXT) | instid1(VALU_DEP_1)
	v_clz_i32_u32_e32 v49, v38
	v_min_u32_e32 v49, 32, v49
	s_delay_alu instid0(VALU_DEP_1) | instskip(SKIP_1) | instid1(VALU_DEP_2)
	v_subrev_nc_u32_e32 v101, 28, v49
	v_sub_nc_u32_e32 v49, 29, v49
	v_lshlrev_b32_e32 v101, v101, v27
	s_delay_alu instid0(VALU_DEP_2) | instskip(NEXT) | instid1(VALU_DEP_2)
	v_cndmask_b32_e32 v49, v113, v49, vcc_lo
	v_and_b32_e32 v101, 7, v101
	s_delay_alu instid0(VALU_DEP_2) | instskip(NEXT) | instid1(VALU_DEP_2)
	v_lshl_add_u32 v49, v49, 23, 0x3b800000
	v_dual_cndmask_b32 v38, v38, v101 :: v_dual_and_b32 v101, 0x80000000, v116
	s_delay_alu instid0(VALU_DEP_1) | instskip(NEXT) | instid1(VALU_DEP_1)
	v_lshlrev_b32_e32 v38, 20, v38
	v_or3_b32 v38, v101, v49, v38
.LBB6_15295:                            ;   in Loop: Header=BB6_14474 Depth=3
	s_or_b32 exec_lo, exec_lo, s31
	s_delay_alu instid0(VALU_DEP_1) | instskip(SKIP_1) | instid1(VALU_DEP_1)
	v_dual_max_f32 v38, v38, v38 :: v_dual_max_f32 v35, v35, v35
	s_mov_b32 s13, 0
	v_max_f32_e32 v35, v35, v38
	s_branch .LBB6_15297
.LBB6_15296:                            ;   in Loop: Header=BB6_14474 Depth=3
	s_mov_b32 s13, -1
                                        ; implicit-def: $vgpr35
.LBB6_15297:                            ;   in Loop: Header=BB6_14474 Depth=3
	s_delay_alu instid0(SALU_CYCLE_1)
	s_and_b32 vcc_lo, exec_lo, s13
	s_cbranch_vccz .LBB6_15307
; %bb.15298:                            ;   in Loop: Header=BB6_14474 Depth=3
	v_and_b32_e32 v38, 0xff, v32
	s_mov_b32 s13, 0
	s_mov_b32 s34, exec_lo
                                        ; implicit-def: $sgpr31
	s_delay_alu instid0(VALU_DEP_1)
	v_cmpx_lt_i16_e32 0x7f, v38
	s_xor_b32 s34, exec_lo, s34
	s_cbranch_execnz .LBB6_15856
; %bb.15299:                            ;   in Loop: Header=BB6_14474 Depth=3
	s_or_saveexec_b32 s34, s34
	v_mov_b32_e32 v35, s31
	s_xor_b32 exec_lo, exec_lo, s34
	s_cbranch_execnz .LBB6_15859
.LBB6_15300:                            ;   in Loop: Header=BB6_14474 Depth=3
	s_or_b32 exec_lo, exec_lo, s34
	s_and_saveexec_b32 s31, s13
	s_cbranch_execz .LBB6_15302
.LBB6_15301:                            ;   in Loop: Header=BB6_14474 Depth=3
	v_lshrrev_b16 v101, 3, v32
	s_delay_alu instid0(VALU_DEP_1) | instskip(NEXT) | instid1(VALU_DEP_1)
	v_and_b32_e32 v101, 15, v101
	v_cmp_eq_u32_e32 vcc_lo, 0, v101
	v_and_b32_e32 v35, 7, v32
	s_delay_alu instid0(VALU_DEP_1) | instskip(NEXT) | instid1(VALU_DEP_1)
	v_clz_i32_u32_e32 v38, v35
	v_min_u32_e32 v38, 32, v38
	s_delay_alu instid0(VALU_DEP_1) | instskip(SKIP_1) | instid1(VALU_DEP_2)
	v_subrev_nc_u32_e32 v49, 28, v38
	v_sub_nc_u32_e32 v38, 29, v38
	v_lshlrev_b32_e32 v49, v49, v32
	s_delay_alu instid0(VALU_DEP_1) | instskip(SKIP_1) | instid1(VALU_DEP_2)
	v_dual_cndmask_b32 v38, v101, v38 :: v_dual_and_b32 v49, 7, v49
	v_lshlrev_b32_e32 v32, 24, v32
	v_lshl_add_u32 v38, v38, 23, 0x3b800000
	s_delay_alu instid0(VALU_DEP_2) | instskip(NEXT) | instid1(VALU_DEP_1)
	v_dual_cndmask_b32 v35, v35, v49 :: v_dual_and_b32 v32, 0x80000000, v32
	v_lshlrev_b32_e32 v35, 20, v35
	s_delay_alu instid0(VALU_DEP_1)
	v_or3_b32 v35, v32, v38, v35
.LBB6_15302:                            ;   in Loop: Header=BB6_14474 Depth=3
	s_or_b32 exec_lo, exec_lo, s31
	s_waitcnt vmcnt(3) lgkmcnt(3)
	v_and_b32_e32 v38, 0xff, v27
	s_mov_b32 s13, 0
	s_mov_b32 s34, exec_lo
                                        ; implicit-def: $sgpr31
	s_delay_alu instid0(VALU_DEP_1)
	v_cmpx_lt_i16_e32 0x7f, v38
	s_xor_b32 s34, exec_lo, s34
	s_cbranch_execnz .LBB6_15860
; %bb.15303:                            ;   in Loop: Header=BB6_14474 Depth=3
	s_or_saveexec_b32 s34, s34
	v_mov_b32_e32 v32, s31
	s_xor_b32 exec_lo, exec_lo, s34
	s_cbranch_execnz .LBB6_15863
.LBB6_15304:                            ;   in Loop: Header=BB6_14474 Depth=3
	s_or_b32 exec_lo, exec_lo, s34
	s_and_saveexec_b32 s31, s13
	s_cbranch_execz .LBB6_15306
.LBB6_15305:                            ;   in Loop: Header=BB6_14474 Depth=3
	v_and_b32_e32 v32, 7, v27
	v_lshrrev_b16 v101, 3, v27
	s_delay_alu instid0(VALU_DEP_2) | instskip(NEXT) | instid1(VALU_DEP_2)
	v_clz_i32_u32_e32 v38, v32
	v_and_b32_e32 v101, 15, v101
	s_delay_alu instid0(VALU_DEP_2) | instskip(NEXT) | instid1(VALU_DEP_2)
	v_min_u32_e32 v38, 32, v38
	v_cmp_eq_u32_e32 vcc_lo, 0, v101
	s_delay_alu instid0(VALU_DEP_2) | instskip(SKIP_1) | instid1(VALU_DEP_2)
	v_subrev_nc_u32_e32 v49, 28, v38
	v_sub_nc_u32_e32 v38, 29, v38
	v_lshlrev_b32_e32 v49, v49, v27
	s_delay_alu instid0(VALU_DEP_1) | instskip(SKIP_1) | instid1(VALU_DEP_2)
	v_dual_cndmask_b32 v38, v101, v38 :: v_dual_and_b32 v49, 7, v49
	v_lshlrev_b32_e32 v27, 24, v27
	v_lshl_add_u32 v38, v38, 23, 0x3b800000
	s_delay_alu instid0(VALU_DEP_2) | instskip(NEXT) | instid1(VALU_DEP_1)
	v_dual_cndmask_b32 v32, v32, v49 :: v_dual_and_b32 v27, 0x80000000, v27
	v_lshlrev_b32_e32 v32, 20, v32
	s_delay_alu instid0(VALU_DEP_1)
	v_or3_b32 v32, v27, v38, v32
.LBB6_15306:                            ;   in Loop: Header=BB6_14474 Depth=3
	s_or_b32 exec_lo, exec_lo, s31
	s_delay_alu instid0(VALU_DEP_1) | instskip(NEXT) | instid1(VALU_DEP_1)
	v_dual_max_f32 v27, v32, v32 :: v_dual_max_f32 v32, v35, v35
	v_min_f32_e32 v35, v32, v27
.LBB6_15307:                            ;   in Loop: Header=BB6_14474 Depth=3
	s_waitcnt vmcnt(3) lgkmcnt(3)
	s_delay_alu instid0(VALU_DEP_1) | instskip(NEXT) | instid1(VALU_DEP_1)
	v_and_b32_e32 v27, 0x7f800000, v35
	v_cmp_ne_u32_e32 vcc_lo, 0x7f800000, v27
	v_mov_b32_e32 v27, 0x80
	s_and_saveexec_b32 s31, vcc_lo
	s_cbranch_execz .LBB6_15315
; %bb.15308:                            ;   in Loop: Header=BB6_14474 Depth=3
	v_mov_b32_e32 v27, 0
	s_mov_b32 s34, exec_lo
	v_cmpx_ne_u32_e32 0, v35
	s_cbranch_execz .LBB6_15314
; %bb.15309:                            ;   in Loop: Header=BB6_14474 Depth=3
	v_bfe_u32 v27, v35, 23, 8
	v_and_b32_e32 v32, 0x7fffff, v35
	s_delay_alu instid0(VALU_DEP_2) | instskip(SKIP_1) | instid1(VALU_DEP_3)
	v_sub_nc_u32_e32 v38, 0x78, v27
	v_cmp_gt_u32_e32 vcc_lo, 0x79, v27
	v_or_b32_e32 v49, 0x800000, v32
	s_delay_alu instid0(VALU_DEP_3) | instskip(SKIP_2) | instid1(VALU_DEP_3)
	v_cndmask_b32_e32 v38, 0, v38, vcc_lo
	v_cmp_eq_u32_e32 vcc_lo, 0, v27
	v_add_nc_u32_e32 v27, 0xffffff89, v27
	v_cndmask_b32_e64 v38, v38, 0x77, vcc_lo
	v_cndmask_b32_e32 v32, v49, v32, vcc_lo
	s_delay_alu instid0(VALU_DEP_3) | instskip(NEXT) | instid1(VALU_DEP_3)
	v_cndmask_b32_e64 v27, v27, 0xffffff8a, vcc_lo
	v_lshl_add_u32 v49, 0x100000, v38, -1
	s_delay_alu instid0(VALU_DEP_3) | instskip(SKIP_1) | instid1(VALU_DEP_4)
	v_lshrrev_b32_e32 v101, v38, v32
	v_lshlrev_b32_e64 v116, v38, 0x80000
	v_add_nc_u32_e32 v38, v38, v27
	s_delay_alu instid0(VALU_DEP_4) | instskip(NEXT) | instid1(VALU_DEP_4)
	v_and_b32_e32 v32, v49, v32
	v_bfe_u32 v113, v101, 20, 1
	s_delay_alu instid0(VALU_DEP_2) | instskip(NEXT) | instid1(VALU_DEP_2)
	v_cmp_eq_u32_e64 s13, v32, v116
	v_add_nc_u32_e32 v49, -1, v113
	s_delay_alu instid0(VALU_DEP_1) | instskip(SKIP_2) | instid1(VALU_DEP_2)
	v_cndmask_b32_e64 v32, 0, v49, s13
	v_lshrrev_b32_e32 v49, 23, v101
	s_mov_b32 s13, exec_lo
	v_add_nc_u32_e32 v32, v32, v101
	s_delay_alu instid0(VALU_DEP_2) | instskip(NEXT) | instid1(VALU_DEP_2)
	v_xor_b32_e32 v49, 1, v49
	v_and_b32_e32 v27, 0xfffff, v32
	s_delay_alu instid0(VALU_DEP_1) | instskip(NEXT) | instid1(VALU_DEP_3)
	v_add_nc_u32_e32 v32, v27, v101
                                        ; implicit-def: $vgpr27
	v_cmpx_ne_u32_e64 v38, v49
	s_xor_b32 s13, exec_lo, s13
; %bb.15310:                            ;   in Loop: Header=BB6_14474 Depth=3
	s_delay_alu instid0(VALU_DEP_2) | instskip(SKIP_2) | instid1(VALU_DEP_2)
	v_cmp_lt_u32_e32 vcc_lo, 0xffffff, v32
	v_sub_nc_u32_e32 v27, v38, v49
	v_cndmask_b32_e64 v38, 0, 1, vcc_lo
	v_add_co_ci_u32_e32 v27, vcc_lo, 0, v27, vcc_lo
	s_delay_alu instid0(VALU_DEP_2)
	v_lshrrev_b32_e32 v32, v38, v32
; %bb.15311:                            ;   in Loop: Header=BB6_14474 Depth=3
	s_and_not1_saveexec_b32 s13, s13
; %bb.15312:                            ;   in Loop: Header=BB6_14474 Depth=3
	s_delay_alu instid0(VALU_DEP_1)
	v_bfe_u32 v27, v32, 23, 1
; %bb.15313:                            ;   in Loop: Header=BB6_14474 Depth=3
	s_or_b32 exec_lo, exec_lo, s13
	v_lshrrev_b32_e32 v32, 20, v32
	s_delay_alu instid0(VALU_DEP_2) | instskip(SKIP_2) | instid1(VALU_DEP_2)
	v_cmp_gt_i32_e32 vcc_lo, 16, v27
	v_lshrrev_b32_e32 v35, 24, v35
	v_min_i32_e32 v38, 15, v27
	v_dual_cndmask_b32 v32, 7, v32 :: v_dual_and_b32 v35, 0x80, v35
	s_delay_alu instid0(VALU_DEP_1) | instskip(SKIP_1) | instid1(VALU_DEP_2)
	v_or_b32_e32 v27, v27, v32
	v_and_b32_e32 v49, 7, v32
	v_cmp_ne_u32_e32 vcc_lo, 0, v27
	v_lshlrev_b32_e32 v38, 3, v38
	s_delay_alu instid0(VALU_DEP_1) | instskip(NEXT) | instid1(VALU_DEP_1)
	v_or3_b32 v32, v38, v35, v49
	v_cndmask_b32_e32 v27, 0, v32, vcc_lo
.LBB6_15314:                            ;   in Loop: Header=BB6_14474 Depth=3
	s_or_b32 exec_lo, exec_lo, s34
.LBB6_15315:                            ;   in Loop: Header=BB6_14474 Depth=3
	s_delay_alu instid0(SALU_CYCLE_1) | instskip(NEXT) | instid1(SALU_CYCLE_1)
	s_or_b32 exec_lo, exec_lo, s31
	s_and_not1_b32 vcc_lo, exec_lo, s16
	s_cbranch_vccnz .LBB6_15325
; %bb.15316:                            ;   in Loop: Header=BB6_14474 Depth=3
	v_and_b32_e32 v35, 0xff, v25
	s_mov_b32 s13, 0
	s_mov_b32 s34, exec_lo
                                        ; implicit-def: $sgpr31
	s_delay_alu instid0(VALU_DEP_1)
	v_cmpx_lt_i16_e32 0x7f, v35
	s_xor_b32 s34, exec_lo, s34
	s_cbranch_execnz .LBB6_15864
; %bb.15317:                            ;   in Loop: Header=BB6_14474 Depth=3
	s_or_saveexec_b32 s34, s34
	v_mov_b32_e32 v32, s31
	s_xor_b32 exec_lo, exec_lo, s34
	s_cbranch_execnz .LBB6_15867
.LBB6_15318:                            ;   in Loop: Header=BB6_14474 Depth=3
	s_or_b32 exec_lo, exec_lo, s34
	s_and_saveexec_b32 s31, s13
	s_cbranch_execz .LBB6_15320
.LBB6_15319:                            ;   in Loop: Header=BB6_14474 Depth=3
	v_lshrrev_b16 v49, 3, v25
	v_lshlrev_b32_e32 v101, 24, v25
	s_delay_alu instid0(VALU_DEP_2) | instskip(NEXT) | instid1(VALU_DEP_1)
	v_and_b32_e32 v49, 15, v49
	v_cmp_eq_u32_e32 vcc_lo, 0, v49
	v_and_b32_e32 v32, 7, v25
	s_delay_alu instid0(VALU_DEP_1) | instskip(NEXT) | instid1(VALU_DEP_1)
	v_clz_i32_u32_e32 v35, v32
	v_min_u32_e32 v35, 32, v35
	s_delay_alu instid0(VALU_DEP_1) | instskip(SKIP_1) | instid1(VALU_DEP_1)
	v_subrev_nc_u32_e32 v38, 28, v35
	v_sub_nc_u32_e32 v35, 29, v35
	v_dual_cndmask_b32 v35, v49, v35 :: v_dual_lshlrev_b32 v38, v38, v25
	s_delay_alu instid0(VALU_DEP_1) | instskip(NEXT) | instid1(VALU_DEP_2)
	v_and_b32_e32 v38, 7, v38
	v_lshl_add_u32 v35, v35, 23, 0x3b800000
	s_delay_alu instid0(VALU_DEP_2) | instskip(SKIP_1) | instid1(VALU_DEP_2)
	v_cndmask_b32_e32 v32, v32, v38, vcc_lo
	v_and_b32_e32 v38, 0x80000000, v101
	v_lshlrev_b32_e32 v32, 20, v32
	s_delay_alu instid0(VALU_DEP_1)
	v_or3_b32 v32, v38, v35, v32
.LBB6_15320:                            ;   in Loop: Header=BB6_14474 Depth=3
	s_or_b32 exec_lo, exec_lo, s31
	s_waitcnt vmcnt(2) lgkmcnt(2)
	v_and_b32_e32 v38, 0xff, v24
	s_mov_b32 s13, 0
	s_mov_b32 s34, exec_lo
                                        ; implicit-def: $sgpr31
	s_delay_alu instid0(VALU_DEP_1)
	v_cmpx_lt_i16_e32 0x7f, v38
	s_xor_b32 s34, exec_lo, s34
	s_cbranch_execnz .LBB6_15868
; %bb.15321:                            ;   in Loop: Header=BB6_14474 Depth=3
	s_or_saveexec_b32 s34, s34
	v_mov_b32_e32 v35, s31
	s_xor_b32 exec_lo, exec_lo, s34
	s_cbranch_execnz .LBB6_15871
.LBB6_15322:                            ;   in Loop: Header=BB6_14474 Depth=3
	s_or_b32 exec_lo, exec_lo, s34
	s_and_saveexec_b32 s31, s13
	s_cbranch_execz .LBB6_15324
.LBB6_15323:                            ;   in Loop: Header=BB6_14474 Depth=3
	v_lshrrev_b16 v101, 3, v24
	v_lshlrev_b32_e32 v113, 24, v24
	s_delay_alu instid0(VALU_DEP_2) | instskip(NEXT) | instid1(VALU_DEP_1)
	v_and_b32_e32 v101, 15, v101
	v_cmp_eq_u32_e32 vcc_lo, 0, v101
	v_and_b32_e32 v35, 7, v24
	s_delay_alu instid0(VALU_DEP_1) | instskip(NEXT) | instid1(VALU_DEP_1)
	v_clz_i32_u32_e32 v38, v35
	v_min_u32_e32 v38, 32, v38
	s_delay_alu instid0(VALU_DEP_1) | instskip(SKIP_1) | instid1(VALU_DEP_2)
	v_subrev_nc_u32_e32 v49, 28, v38
	v_sub_nc_u32_e32 v38, 29, v38
	v_lshlrev_b32_e32 v49, v49, v24
	s_delay_alu instid0(VALU_DEP_1) | instskip(NEXT) | instid1(VALU_DEP_1)
	v_dual_cndmask_b32 v38, v101, v38 :: v_dual_and_b32 v49, 7, v49
	v_lshl_add_u32 v38, v38, 23, 0x3b800000
	s_delay_alu instid0(VALU_DEP_2) | instskip(SKIP_1) | instid1(VALU_DEP_2)
	v_cndmask_b32_e32 v35, v35, v49, vcc_lo
	v_and_b32_e32 v49, 0x80000000, v113
	v_lshlrev_b32_e32 v35, 20, v35
	s_delay_alu instid0(VALU_DEP_1)
	v_or3_b32 v35, v49, v38, v35
.LBB6_15324:                            ;   in Loop: Header=BB6_14474 Depth=3
	s_or_b32 exec_lo, exec_lo, s31
	s_delay_alu instid0(VALU_DEP_1) | instskip(SKIP_1) | instid1(VALU_DEP_1)
	v_dual_max_f32 v35, v35, v35 :: v_dual_max_f32 v32, v32, v32
	s_mov_b32 s13, 0
	v_max_f32_e32 v32, v32, v35
	s_branch .LBB6_15326
.LBB6_15325:                            ;   in Loop: Header=BB6_14474 Depth=3
	s_mov_b32 s13, -1
                                        ; implicit-def: $vgpr32
.LBB6_15326:                            ;   in Loop: Header=BB6_14474 Depth=3
	s_delay_alu instid0(SALU_CYCLE_1)
	s_and_b32 vcc_lo, exec_lo, s13
	s_cbranch_vccz .LBB6_15336
; %bb.15327:                            ;   in Loop: Header=BB6_14474 Depth=3
	v_and_b32_e32 v35, 0xff, v25
	s_mov_b32 s13, 0
	s_mov_b32 s34, exec_lo
                                        ; implicit-def: $sgpr31
	s_delay_alu instid0(VALU_DEP_1)
	v_cmpx_lt_i16_e32 0x7f, v35
	s_xor_b32 s34, exec_lo, s34
	s_cbranch_execnz .LBB6_15872
; %bb.15328:                            ;   in Loop: Header=BB6_14474 Depth=3
	s_or_saveexec_b32 s34, s34
	v_mov_b32_e32 v32, s31
	s_xor_b32 exec_lo, exec_lo, s34
	s_cbranch_execnz .LBB6_15875
.LBB6_15329:                            ;   in Loop: Header=BB6_14474 Depth=3
	s_or_b32 exec_lo, exec_lo, s34
	s_and_saveexec_b32 s31, s13
	s_cbranch_execz .LBB6_15331
.LBB6_15330:                            ;   in Loop: Header=BB6_14474 Depth=3
	v_lshrrev_b16 v49, 3, v25
	s_delay_alu instid0(VALU_DEP_1) | instskip(NEXT) | instid1(VALU_DEP_1)
	v_and_b32_e32 v49, 15, v49
	v_cmp_eq_u32_e32 vcc_lo, 0, v49
	v_and_b32_e32 v32, 7, v25
	s_delay_alu instid0(VALU_DEP_1) | instskip(NEXT) | instid1(VALU_DEP_1)
	v_clz_i32_u32_e32 v35, v32
	v_min_u32_e32 v35, 32, v35
	s_delay_alu instid0(VALU_DEP_1) | instskip(SKIP_1) | instid1(VALU_DEP_1)
	v_subrev_nc_u32_e32 v38, 28, v35
	v_sub_nc_u32_e32 v35, 29, v35
	v_dual_cndmask_b32 v35, v49, v35 :: v_dual_lshlrev_b32 v38, v38, v25
	v_lshlrev_b32_e32 v25, 24, v25
	s_delay_alu instid0(VALU_DEP_2) | instskip(NEXT) | instid1(VALU_DEP_3)
	v_and_b32_e32 v38, 7, v38
	v_lshl_add_u32 v35, v35, 23, 0x3b800000
	s_delay_alu instid0(VALU_DEP_2) | instskip(NEXT) | instid1(VALU_DEP_1)
	v_dual_cndmask_b32 v32, v32, v38 :: v_dual_and_b32 v25, 0x80000000, v25
	v_lshlrev_b32_e32 v32, 20, v32
	s_delay_alu instid0(VALU_DEP_1)
	v_or3_b32 v32, v25, v35, v32
.LBB6_15331:                            ;   in Loop: Header=BB6_14474 Depth=3
	s_or_b32 exec_lo, exec_lo, s31
	s_waitcnt vmcnt(2) lgkmcnt(2)
	v_and_b32_e32 v35, 0xff, v24
	s_mov_b32 s13, 0
	s_mov_b32 s34, exec_lo
                                        ; implicit-def: $sgpr31
	s_delay_alu instid0(VALU_DEP_1)
	v_cmpx_lt_i16_e32 0x7f, v35
	s_xor_b32 s34, exec_lo, s34
	s_cbranch_execnz .LBB6_15876
; %bb.15332:                            ;   in Loop: Header=BB6_14474 Depth=3
	s_or_saveexec_b32 s34, s34
	v_mov_b32_e32 v25, s31
	s_xor_b32 exec_lo, exec_lo, s34
	s_cbranch_execnz .LBB6_15879
.LBB6_15333:                            ;   in Loop: Header=BB6_14474 Depth=3
	s_or_b32 exec_lo, exec_lo, s34
	s_and_saveexec_b32 s31, s13
	s_cbranch_execz .LBB6_15335
.LBB6_15334:                            ;   in Loop: Header=BB6_14474 Depth=3
	v_and_b32_e32 v25, 7, v24
	v_lshrrev_b16 v49, 3, v24
	s_delay_alu instid0(VALU_DEP_2) | instskip(NEXT) | instid1(VALU_DEP_2)
	v_clz_i32_u32_e32 v35, v25
	v_and_b32_e32 v49, 15, v49
	s_delay_alu instid0(VALU_DEP_2) | instskip(NEXT) | instid1(VALU_DEP_2)
	v_min_u32_e32 v35, 32, v35
	v_cmp_eq_u32_e32 vcc_lo, 0, v49
	s_delay_alu instid0(VALU_DEP_2) | instskip(SKIP_1) | instid1(VALU_DEP_1)
	v_subrev_nc_u32_e32 v38, 28, v35
	v_sub_nc_u32_e32 v35, 29, v35
	v_dual_cndmask_b32 v35, v49, v35 :: v_dual_lshlrev_b32 v38, v38, v24
	s_delay_alu instid0(VALU_DEP_1) | instskip(SKIP_1) | instid1(VALU_DEP_3)
	v_and_b32_e32 v38, 7, v38
	v_lshlrev_b32_e32 v24, 24, v24
	v_lshl_add_u32 v35, v35, 23, 0x3b800000
	s_delay_alu instid0(VALU_DEP_2) | instskip(NEXT) | instid1(VALU_DEP_1)
	v_dual_cndmask_b32 v25, v25, v38 :: v_dual_and_b32 v24, 0x80000000, v24
	v_lshlrev_b32_e32 v25, 20, v25
	s_delay_alu instid0(VALU_DEP_1)
	v_or3_b32 v25, v24, v35, v25
.LBB6_15335:                            ;   in Loop: Header=BB6_14474 Depth=3
	s_or_b32 exec_lo, exec_lo, s31
	s_delay_alu instid0(VALU_DEP_1) | instskip(NEXT) | instid1(VALU_DEP_1)
	v_dual_max_f32 v24, v25, v25 :: v_dual_max_f32 v25, v32, v32
	v_min_f32_e32 v32, v25, v24
.LBB6_15336:                            ;   in Loop: Header=BB6_14474 Depth=3
	s_waitcnt vmcnt(2) lgkmcnt(2)
	s_delay_alu instid0(VALU_DEP_1) | instskip(NEXT) | instid1(VALU_DEP_1)
	v_and_b32_e32 v24, 0x7f800000, v32
	v_cmp_ne_u32_e32 vcc_lo, 0x7f800000, v24
	v_mov_b32_e32 v24, 0x80
	s_and_saveexec_b32 s31, vcc_lo
	s_cbranch_execz .LBB6_15344
; %bb.15337:                            ;   in Loop: Header=BB6_14474 Depth=3
	v_mov_b32_e32 v24, 0
	s_mov_b32 s34, exec_lo
	v_cmpx_ne_u32_e32 0, v32
	s_cbranch_execz .LBB6_15343
; %bb.15338:                            ;   in Loop: Header=BB6_14474 Depth=3
	v_bfe_u32 v24, v32, 23, 8
	v_and_b32_e32 v25, 0x7fffff, v32
	s_delay_alu instid0(VALU_DEP_2) | instskip(SKIP_1) | instid1(VALU_DEP_3)
	v_sub_nc_u32_e32 v35, 0x78, v24
	v_cmp_gt_u32_e32 vcc_lo, 0x79, v24
	v_or_b32_e32 v38, 0x800000, v25
	s_delay_alu instid0(VALU_DEP_3) | instskip(SKIP_2) | instid1(VALU_DEP_3)
	v_cndmask_b32_e32 v35, 0, v35, vcc_lo
	v_cmp_eq_u32_e32 vcc_lo, 0, v24
	v_add_nc_u32_e32 v24, 0xffffff89, v24
	v_cndmask_b32_e64 v35, v35, 0x77, vcc_lo
	v_cndmask_b32_e32 v25, v38, v25, vcc_lo
	s_delay_alu instid0(VALU_DEP_3) | instskip(NEXT) | instid1(VALU_DEP_3)
	v_cndmask_b32_e64 v24, v24, 0xffffff8a, vcc_lo
	v_lshl_add_u32 v38, 0x100000, v35, -1
	s_delay_alu instid0(VALU_DEP_3) | instskip(SKIP_1) | instid1(VALU_DEP_4)
	v_lshrrev_b32_e32 v49, v35, v25
	v_lshlrev_b32_e64 v113, v35, 0x80000
	v_add_nc_u32_e32 v35, v35, v24
	s_delay_alu instid0(VALU_DEP_4) | instskip(NEXT) | instid1(VALU_DEP_4)
	v_and_b32_e32 v25, v38, v25
	v_bfe_u32 v101, v49, 20, 1
	s_delay_alu instid0(VALU_DEP_2) | instskip(NEXT) | instid1(VALU_DEP_2)
	v_cmp_eq_u32_e64 s13, v25, v113
	v_add_nc_u32_e32 v38, -1, v101
	s_delay_alu instid0(VALU_DEP_1) | instskip(SKIP_2) | instid1(VALU_DEP_2)
	v_cndmask_b32_e64 v25, 0, v38, s13
	v_lshrrev_b32_e32 v38, 23, v49
	s_mov_b32 s13, exec_lo
	v_add_nc_u32_e32 v25, v25, v49
	s_delay_alu instid0(VALU_DEP_2) | instskip(NEXT) | instid1(VALU_DEP_2)
	v_xor_b32_e32 v38, 1, v38
	v_and_b32_e32 v24, 0xfffff, v25
	s_delay_alu instid0(VALU_DEP_1) | instskip(NEXT) | instid1(VALU_DEP_3)
	v_add_nc_u32_e32 v25, v24, v49
                                        ; implicit-def: $vgpr24
	v_cmpx_ne_u32_e64 v35, v38
	s_xor_b32 s13, exec_lo, s13
; %bb.15339:                            ;   in Loop: Header=BB6_14474 Depth=3
	s_delay_alu instid0(VALU_DEP_2) | instskip(SKIP_2) | instid1(VALU_DEP_2)
	v_cmp_lt_u32_e32 vcc_lo, 0xffffff, v25
	v_sub_nc_u32_e32 v24, v35, v38
	v_cndmask_b32_e64 v35, 0, 1, vcc_lo
	v_add_co_ci_u32_e32 v24, vcc_lo, 0, v24, vcc_lo
	s_delay_alu instid0(VALU_DEP_2)
	v_lshrrev_b32_e32 v25, v35, v25
; %bb.15340:                            ;   in Loop: Header=BB6_14474 Depth=3
	s_and_not1_saveexec_b32 s13, s13
; %bb.15341:                            ;   in Loop: Header=BB6_14474 Depth=3
	s_delay_alu instid0(VALU_DEP_1)
	v_bfe_u32 v24, v25, 23, 1
; %bb.15342:                            ;   in Loop: Header=BB6_14474 Depth=3
	s_or_b32 exec_lo, exec_lo, s13
	v_lshrrev_b32_e32 v25, 20, v25
	s_delay_alu instid0(VALU_DEP_2) | instskip(SKIP_2) | instid1(VALU_DEP_2)
	v_cmp_gt_i32_e32 vcc_lo, 16, v24
	v_lshrrev_b32_e32 v32, 24, v32
	v_min_i32_e32 v35, 15, v24
	v_dual_cndmask_b32 v25, 7, v25 :: v_dual_and_b32 v32, 0x80, v32
	s_delay_alu instid0(VALU_DEP_1) | instskip(SKIP_1) | instid1(VALU_DEP_2)
	v_or_b32_e32 v24, v24, v25
	v_and_b32_e32 v38, 7, v25
	v_cmp_ne_u32_e32 vcc_lo, 0, v24
	v_lshlrev_b32_e32 v35, 3, v35
	s_delay_alu instid0(VALU_DEP_1) | instskip(NEXT) | instid1(VALU_DEP_1)
	v_or3_b32 v25, v35, v32, v38
	v_cndmask_b32_e32 v24, 0, v25, vcc_lo
.LBB6_15343:                            ;   in Loop: Header=BB6_14474 Depth=3
	s_or_b32 exec_lo, exec_lo, s34
.LBB6_15344:                            ;   in Loop: Header=BB6_14474 Depth=3
	s_delay_alu instid0(SALU_CYCLE_1) | instskip(NEXT) | instid1(SALU_CYCLE_1)
	s_or_b32 exec_lo, exec_lo, s31
	s_and_not1_b32 vcc_lo, exec_lo, s16
	s_cbranch_vccnz .LBB6_15354
; %bb.15345:                            ;   in Loop: Header=BB6_14474 Depth=3
	v_and_b32_e32 v32, 0xff, v22
	s_mov_b32 s13, 0
	s_mov_b32 s34, exec_lo
                                        ; implicit-def: $sgpr31
	s_delay_alu instid0(VALU_DEP_1)
	v_cmpx_lt_i16_e32 0x7f, v32
	s_xor_b32 s34, exec_lo, s34
	s_cbranch_execnz .LBB6_15880
; %bb.15346:                            ;   in Loop: Header=BB6_14474 Depth=3
	s_or_saveexec_b32 s34, s34
	v_mov_b32_e32 v25, s31
	s_xor_b32 exec_lo, exec_lo, s34
	s_cbranch_execnz .LBB6_15883
.LBB6_15347:                            ;   in Loop: Header=BB6_14474 Depth=3
	s_or_b32 exec_lo, exec_lo, s34
	s_and_saveexec_b32 s31, s13
	s_cbranch_execz .LBB6_15349
.LBB6_15348:                            ;   in Loop: Header=BB6_14474 Depth=3
	v_lshrrev_b16 v38, 3, v22
	v_lshlrev_b32_e32 v49, 24, v22
	s_delay_alu instid0(VALU_DEP_2) | instskip(NEXT) | instid1(VALU_DEP_1)
	v_and_b32_e32 v38, 15, v38
	v_cmp_eq_u32_e32 vcc_lo, 0, v38
	v_and_b32_e32 v25, 7, v22
	s_delay_alu instid0(VALU_DEP_1) | instskip(NEXT) | instid1(VALU_DEP_1)
	v_clz_i32_u32_e32 v32, v25
	v_min_u32_e32 v32, 32, v32
	s_delay_alu instid0(VALU_DEP_1) | instskip(SKIP_1) | instid1(VALU_DEP_1)
	v_subrev_nc_u32_e32 v35, 28, v32
	v_sub_nc_u32_e32 v32, 29, v32
	v_dual_cndmask_b32 v32, v38, v32 :: v_dual_lshlrev_b32 v35, v35, v22
	s_delay_alu instid0(VALU_DEP_1) | instskip(NEXT) | instid1(VALU_DEP_2)
	v_and_b32_e32 v35, 7, v35
	v_lshl_add_u32 v32, v32, 23, 0x3b800000
	s_delay_alu instid0(VALU_DEP_2) | instskip(SKIP_1) | instid1(VALU_DEP_2)
	v_cndmask_b32_e32 v25, v25, v35, vcc_lo
	v_and_b32_e32 v35, 0x80000000, v49
	v_lshlrev_b32_e32 v25, 20, v25
	s_delay_alu instid0(VALU_DEP_1)
	v_or3_b32 v25, v35, v32, v25
.LBB6_15349:                            ;   in Loop: Header=BB6_14474 Depth=3
	s_or_b32 exec_lo, exec_lo, s31
	s_waitcnt vmcnt(1) lgkmcnt(1)
	v_and_b32_e32 v35, 0xff, v21
	s_mov_b32 s13, 0
	s_mov_b32 s34, exec_lo
                                        ; implicit-def: $sgpr31
	s_delay_alu instid0(VALU_DEP_1)
	v_cmpx_lt_i16_e32 0x7f, v35
	s_xor_b32 s34, exec_lo, s34
	s_cbranch_execnz .LBB6_15884
; %bb.15350:                            ;   in Loop: Header=BB6_14474 Depth=3
	s_or_saveexec_b32 s34, s34
	v_mov_b32_e32 v32, s31
	s_xor_b32 exec_lo, exec_lo, s34
	s_cbranch_execnz .LBB6_15887
.LBB6_15351:                            ;   in Loop: Header=BB6_14474 Depth=3
	s_or_b32 exec_lo, exec_lo, s34
	s_and_saveexec_b32 s31, s13
	s_cbranch_execz .LBB6_15353
.LBB6_15352:                            ;   in Loop: Header=BB6_14474 Depth=3
	v_lshrrev_b16 v49, 3, v21
	v_lshlrev_b32_e32 v101, 24, v21
	s_delay_alu instid0(VALU_DEP_2) | instskip(NEXT) | instid1(VALU_DEP_1)
	v_and_b32_e32 v49, 15, v49
	v_cmp_eq_u32_e32 vcc_lo, 0, v49
	v_and_b32_e32 v32, 7, v21
	s_delay_alu instid0(VALU_DEP_1) | instskip(NEXT) | instid1(VALU_DEP_1)
	v_clz_i32_u32_e32 v35, v32
	v_min_u32_e32 v35, 32, v35
	s_delay_alu instid0(VALU_DEP_1) | instskip(SKIP_1) | instid1(VALU_DEP_1)
	v_subrev_nc_u32_e32 v38, 28, v35
	v_sub_nc_u32_e32 v35, 29, v35
	v_dual_cndmask_b32 v35, v49, v35 :: v_dual_lshlrev_b32 v38, v38, v21
	s_delay_alu instid0(VALU_DEP_1) | instskip(NEXT) | instid1(VALU_DEP_2)
	v_and_b32_e32 v38, 7, v38
	v_lshl_add_u32 v35, v35, 23, 0x3b800000
	s_delay_alu instid0(VALU_DEP_2) | instskip(SKIP_1) | instid1(VALU_DEP_2)
	v_cndmask_b32_e32 v32, v32, v38, vcc_lo
	v_and_b32_e32 v38, 0x80000000, v101
	v_lshlrev_b32_e32 v32, 20, v32
	s_delay_alu instid0(VALU_DEP_1)
	v_or3_b32 v32, v38, v35, v32
.LBB6_15353:                            ;   in Loop: Header=BB6_14474 Depth=3
	s_or_b32 exec_lo, exec_lo, s31
	s_delay_alu instid0(VALU_DEP_1) | instskip(SKIP_1) | instid1(VALU_DEP_1)
	v_dual_max_f32 v32, v32, v32 :: v_dual_max_f32 v25, v25, v25
	s_mov_b32 s13, 0
	v_max_f32_e32 v25, v25, v32
	s_branch .LBB6_15355
.LBB6_15354:                            ;   in Loop: Header=BB6_14474 Depth=3
	s_mov_b32 s13, -1
                                        ; implicit-def: $vgpr25
.LBB6_15355:                            ;   in Loop: Header=BB6_14474 Depth=3
	s_delay_alu instid0(SALU_CYCLE_1)
	s_and_b32 vcc_lo, exec_lo, s13
	s_cbranch_vccz .LBB6_15365
; %bb.15356:                            ;   in Loop: Header=BB6_14474 Depth=3
	v_and_b32_e32 v32, 0xff, v22
	s_mov_b32 s13, 0
	s_mov_b32 s34, exec_lo
                                        ; implicit-def: $sgpr31
	s_delay_alu instid0(VALU_DEP_1)
	v_cmpx_lt_i16_e32 0x7f, v32
	s_xor_b32 s34, exec_lo, s34
	s_cbranch_execnz .LBB6_15888
; %bb.15357:                            ;   in Loop: Header=BB6_14474 Depth=3
	s_or_saveexec_b32 s34, s34
	v_mov_b32_e32 v25, s31
	s_xor_b32 exec_lo, exec_lo, s34
	s_cbranch_execnz .LBB6_15891
.LBB6_15358:                            ;   in Loop: Header=BB6_14474 Depth=3
	s_or_b32 exec_lo, exec_lo, s34
	s_and_saveexec_b32 s31, s13
	s_cbranch_execz .LBB6_15360
.LBB6_15359:                            ;   in Loop: Header=BB6_14474 Depth=3
	v_lshrrev_b16 v38, 3, v22
	s_delay_alu instid0(VALU_DEP_1) | instskip(NEXT) | instid1(VALU_DEP_1)
	v_and_b32_e32 v38, 15, v38
	v_cmp_eq_u32_e32 vcc_lo, 0, v38
	v_and_b32_e32 v25, 7, v22
	s_delay_alu instid0(VALU_DEP_1) | instskip(NEXT) | instid1(VALU_DEP_1)
	v_clz_i32_u32_e32 v32, v25
	v_min_u32_e32 v32, 32, v32
	s_delay_alu instid0(VALU_DEP_1) | instskip(SKIP_1) | instid1(VALU_DEP_1)
	v_subrev_nc_u32_e32 v35, 28, v32
	v_sub_nc_u32_e32 v32, 29, v32
	v_dual_cndmask_b32 v32, v38, v32 :: v_dual_lshlrev_b32 v35, v35, v22
	v_lshlrev_b32_e32 v22, 24, v22
	s_delay_alu instid0(VALU_DEP_2) | instskip(NEXT) | instid1(VALU_DEP_3)
	v_and_b32_e32 v35, 7, v35
	v_lshl_add_u32 v32, v32, 23, 0x3b800000
	s_delay_alu instid0(VALU_DEP_2) | instskip(NEXT) | instid1(VALU_DEP_1)
	v_dual_cndmask_b32 v25, v25, v35 :: v_dual_and_b32 v22, 0x80000000, v22
	v_lshlrev_b32_e32 v25, 20, v25
	s_delay_alu instid0(VALU_DEP_1)
	v_or3_b32 v25, v22, v32, v25
.LBB6_15360:                            ;   in Loop: Header=BB6_14474 Depth=3
	s_or_b32 exec_lo, exec_lo, s31
	s_waitcnt vmcnt(1) lgkmcnt(1)
	v_and_b32_e32 v32, 0xff, v21
	s_mov_b32 s13, 0
	s_mov_b32 s34, exec_lo
                                        ; implicit-def: $sgpr31
	s_delay_alu instid0(VALU_DEP_1)
	v_cmpx_lt_i16_e32 0x7f, v32
	s_xor_b32 s34, exec_lo, s34
	s_cbranch_execnz .LBB6_15892
; %bb.15361:                            ;   in Loop: Header=BB6_14474 Depth=3
	s_or_saveexec_b32 s34, s34
	v_mov_b32_e32 v22, s31
	s_xor_b32 exec_lo, exec_lo, s34
	s_cbranch_execnz .LBB6_15895
.LBB6_15362:                            ;   in Loop: Header=BB6_14474 Depth=3
	s_or_b32 exec_lo, exec_lo, s34
	s_and_saveexec_b32 s31, s13
	s_cbranch_execz .LBB6_15364
.LBB6_15363:                            ;   in Loop: Header=BB6_14474 Depth=3
	v_and_b32_e32 v22, 7, v21
	v_lshrrev_b16 v38, 3, v21
	s_delay_alu instid0(VALU_DEP_2) | instskip(NEXT) | instid1(VALU_DEP_2)
	v_clz_i32_u32_e32 v32, v22
	v_and_b32_e32 v38, 15, v38
	s_delay_alu instid0(VALU_DEP_2) | instskip(NEXT) | instid1(VALU_DEP_2)
	v_min_u32_e32 v32, 32, v32
	v_cmp_eq_u32_e32 vcc_lo, 0, v38
	s_delay_alu instid0(VALU_DEP_2) | instskip(SKIP_1) | instid1(VALU_DEP_1)
	v_subrev_nc_u32_e32 v35, 28, v32
	v_sub_nc_u32_e32 v32, 29, v32
	v_dual_cndmask_b32 v32, v38, v32 :: v_dual_lshlrev_b32 v35, v35, v21
	s_delay_alu instid0(VALU_DEP_1) | instskip(SKIP_1) | instid1(VALU_DEP_3)
	v_and_b32_e32 v35, 7, v35
	v_lshlrev_b32_e32 v21, 24, v21
	v_lshl_add_u32 v32, v32, 23, 0x3b800000
	s_delay_alu instid0(VALU_DEP_2) | instskip(NEXT) | instid1(VALU_DEP_1)
	v_dual_cndmask_b32 v22, v22, v35 :: v_dual_and_b32 v21, 0x80000000, v21
	v_lshlrev_b32_e32 v22, 20, v22
	s_delay_alu instid0(VALU_DEP_1)
	v_or3_b32 v22, v21, v32, v22
.LBB6_15364:                            ;   in Loop: Header=BB6_14474 Depth=3
	s_or_b32 exec_lo, exec_lo, s31
	s_delay_alu instid0(VALU_DEP_1) | instskip(NEXT) | instid1(VALU_DEP_1)
	v_dual_max_f32 v21, v22, v22 :: v_dual_max_f32 v22, v25, v25
	v_min_f32_e32 v25, v22, v21
.LBB6_15365:                            ;   in Loop: Header=BB6_14474 Depth=3
	s_waitcnt vmcnt(1) lgkmcnt(1)
	s_delay_alu instid0(VALU_DEP_1) | instskip(NEXT) | instid1(VALU_DEP_1)
	v_and_b32_e32 v21, 0x7f800000, v25
	v_cmp_ne_u32_e32 vcc_lo, 0x7f800000, v21
	v_mov_b32_e32 v21, 0x80
	s_and_saveexec_b32 s31, vcc_lo
	s_cbranch_execz .LBB6_15373
; %bb.15366:                            ;   in Loop: Header=BB6_14474 Depth=3
	v_mov_b32_e32 v21, 0
	s_mov_b32 s34, exec_lo
	v_cmpx_ne_u32_e32 0, v25
	s_cbranch_execz .LBB6_15372
; %bb.15367:                            ;   in Loop: Header=BB6_14474 Depth=3
	v_bfe_u32 v21, v25, 23, 8
	v_and_b32_e32 v22, 0x7fffff, v25
	s_delay_alu instid0(VALU_DEP_2) | instskip(SKIP_1) | instid1(VALU_DEP_3)
	v_sub_nc_u32_e32 v32, 0x78, v21
	v_cmp_gt_u32_e32 vcc_lo, 0x79, v21
	v_or_b32_e32 v35, 0x800000, v22
	s_delay_alu instid0(VALU_DEP_3) | instskip(SKIP_2) | instid1(VALU_DEP_3)
	v_cndmask_b32_e32 v32, 0, v32, vcc_lo
	v_cmp_eq_u32_e32 vcc_lo, 0, v21
	v_add_nc_u32_e32 v21, 0xffffff89, v21
	v_cndmask_b32_e64 v32, v32, 0x77, vcc_lo
	v_cndmask_b32_e32 v22, v35, v22, vcc_lo
	s_delay_alu instid0(VALU_DEP_3) | instskip(NEXT) | instid1(VALU_DEP_3)
	v_cndmask_b32_e64 v21, v21, 0xffffff8a, vcc_lo
	v_lshl_add_u32 v35, 0x100000, v32, -1
	s_delay_alu instid0(VALU_DEP_3) | instskip(SKIP_1) | instid1(VALU_DEP_4)
	v_lshrrev_b32_e32 v38, v32, v22
	v_lshlrev_b32_e64 v101, v32, 0x80000
	v_add_nc_u32_e32 v32, v32, v21
	s_delay_alu instid0(VALU_DEP_4) | instskip(NEXT) | instid1(VALU_DEP_4)
	v_and_b32_e32 v22, v35, v22
	v_bfe_u32 v49, v38, 20, 1
	s_delay_alu instid0(VALU_DEP_2) | instskip(NEXT) | instid1(VALU_DEP_2)
	v_cmp_eq_u32_e64 s13, v22, v101
	v_add_nc_u32_e32 v35, -1, v49
	s_delay_alu instid0(VALU_DEP_1) | instskip(SKIP_2) | instid1(VALU_DEP_2)
	v_cndmask_b32_e64 v22, 0, v35, s13
	v_lshrrev_b32_e32 v35, 23, v38
	s_mov_b32 s13, exec_lo
	v_add_nc_u32_e32 v22, v22, v38
	s_delay_alu instid0(VALU_DEP_2) | instskip(NEXT) | instid1(VALU_DEP_2)
	v_xor_b32_e32 v35, 1, v35
	v_and_b32_e32 v21, 0xfffff, v22
	s_delay_alu instid0(VALU_DEP_1) | instskip(NEXT) | instid1(VALU_DEP_3)
	v_add_nc_u32_e32 v22, v21, v38
                                        ; implicit-def: $vgpr21
	v_cmpx_ne_u32_e64 v32, v35
	s_xor_b32 s13, exec_lo, s13
; %bb.15368:                            ;   in Loop: Header=BB6_14474 Depth=3
	s_delay_alu instid0(VALU_DEP_2) | instskip(SKIP_2) | instid1(VALU_DEP_2)
	v_cmp_lt_u32_e32 vcc_lo, 0xffffff, v22
	v_sub_nc_u32_e32 v21, v32, v35
	v_cndmask_b32_e64 v32, 0, 1, vcc_lo
	v_add_co_ci_u32_e32 v21, vcc_lo, 0, v21, vcc_lo
	s_delay_alu instid0(VALU_DEP_2)
	v_lshrrev_b32_e32 v22, v32, v22
; %bb.15369:                            ;   in Loop: Header=BB6_14474 Depth=3
	s_and_not1_saveexec_b32 s13, s13
; %bb.15370:                            ;   in Loop: Header=BB6_14474 Depth=3
	s_delay_alu instid0(VALU_DEP_1)
	v_bfe_u32 v21, v22, 23, 1
; %bb.15371:                            ;   in Loop: Header=BB6_14474 Depth=3
	s_or_b32 exec_lo, exec_lo, s13
	v_lshrrev_b32_e32 v22, 20, v22
	s_delay_alu instid0(VALU_DEP_2) | instskip(SKIP_2) | instid1(VALU_DEP_2)
	v_cmp_gt_i32_e32 vcc_lo, 16, v21
	v_lshrrev_b32_e32 v25, 24, v25
	v_min_i32_e32 v32, 15, v21
	v_dual_cndmask_b32 v22, 7, v22 :: v_dual_and_b32 v25, 0x80, v25
	s_delay_alu instid0(VALU_DEP_1) | instskip(SKIP_1) | instid1(VALU_DEP_2)
	v_or_b32_e32 v21, v21, v22
	v_and_b32_e32 v35, 7, v22
	v_cmp_ne_u32_e32 vcc_lo, 0, v21
	v_lshlrev_b32_e32 v32, 3, v32
	s_delay_alu instid0(VALU_DEP_1) | instskip(NEXT) | instid1(VALU_DEP_1)
	v_or3_b32 v22, v32, v25, v35
	v_cndmask_b32_e32 v21, 0, v22, vcc_lo
.LBB6_15372:                            ;   in Loop: Header=BB6_14474 Depth=3
	s_or_b32 exec_lo, exec_lo, s34
.LBB6_15373:                            ;   in Loop: Header=BB6_14474 Depth=3
	s_delay_alu instid0(SALU_CYCLE_1) | instskip(NEXT) | instid1(SALU_CYCLE_1)
	s_or_b32 exec_lo, exec_lo, s31
	s_and_not1_b32 vcc_lo, exec_lo, s16
	s_cbranch_vccnz .LBB6_15383
; %bb.15374:                            ;   in Loop: Header=BB6_14474 Depth=3
	v_and_b32_e32 v25, 0xff, v19
	s_mov_b32 s13, 0
	s_mov_b32 s34, exec_lo
                                        ; implicit-def: $sgpr31
	s_delay_alu instid0(VALU_DEP_1)
	v_cmpx_lt_i16_e32 0x7f, v25
	s_xor_b32 s34, exec_lo, s34
	s_cbranch_execnz .LBB6_15896
; %bb.15375:                            ;   in Loop: Header=BB6_14474 Depth=3
	s_or_saveexec_b32 s34, s34
	v_mov_b32_e32 v22, s31
	s_xor_b32 exec_lo, exec_lo, s34
	s_cbranch_execnz .LBB6_15899
.LBB6_15376:                            ;   in Loop: Header=BB6_14474 Depth=3
	s_or_b32 exec_lo, exec_lo, s34
	s_and_saveexec_b32 s31, s13
	s_cbranch_execz .LBB6_15378
.LBB6_15377:                            ;   in Loop: Header=BB6_14474 Depth=3
	v_lshrrev_b16 v35, 3, v19
	v_lshlrev_b32_e32 v38, 24, v19
	s_delay_alu instid0(VALU_DEP_2) | instskip(NEXT) | instid1(VALU_DEP_1)
	v_and_b32_e32 v35, 15, v35
	v_cmp_eq_u32_e32 vcc_lo, 0, v35
	v_and_b32_e32 v22, 7, v19
	s_delay_alu instid0(VALU_DEP_1) | instskip(NEXT) | instid1(VALU_DEP_1)
	v_clz_i32_u32_e32 v25, v22
	v_min_u32_e32 v25, 32, v25
	s_delay_alu instid0(VALU_DEP_1) | instskip(SKIP_1) | instid1(VALU_DEP_1)
	v_subrev_nc_u32_e32 v32, 28, v25
	v_sub_nc_u32_e32 v25, 29, v25
	v_dual_cndmask_b32 v25, v35, v25 :: v_dual_lshlrev_b32 v32, v32, v19
	s_delay_alu instid0(VALU_DEP_1) | instskip(NEXT) | instid1(VALU_DEP_2)
	v_and_b32_e32 v32, 7, v32
	v_lshl_add_u32 v25, v25, 23, 0x3b800000
	s_delay_alu instid0(VALU_DEP_2) | instskip(SKIP_1) | instid1(VALU_DEP_2)
	v_cndmask_b32_e32 v22, v22, v32, vcc_lo
	v_and_b32_e32 v32, 0x80000000, v38
	v_lshlrev_b32_e32 v22, 20, v22
	s_delay_alu instid0(VALU_DEP_1)
	v_or3_b32 v22, v32, v25, v22
.LBB6_15378:                            ;   in Loop: Header=BB6_14474 Depth=3
	s_or_b32 exec_lo, exec_lo, s31
	s_waitcnt vmcnt(0) lgkmcnt(0)
	v_and_b32_e32 v32, 0xff, v18
	s_mov_b32 s13, 0
	s_mov_b32 s34, exec_lo
                                        ; implicit-def: $sgpr31
	s_delay_alu instid0(VALU_DEP_1)
	v_cmpx_lt_i16_e32 0x7f, v32
	s_xor_b32 s34, exec_lo, s34
	s_cbranch_execnz .LBB6_15900
; %bb.15379:                            ;   in Loop: Header=BB6_14474 Depth=3
	s_or_saveexec_b32 s34, s34
	v_mov_b32_e32 v25, s31
	s_xor_b32 exec_lo, exec_lo, s34
	s_cbranch_execnz .LBB6_15903
.LBB6_15380:                            ;   in Loop: Header=BB6_14474 Depth=3
	s_or_b32 exec_lo, exec_lo, s34
	s_and_saveexec_b32 s31, s13
	s_cbranch_execz .LBB6_15382
.LBB6_15381:                            ;   in Loop: Header=BB6_14474 Depth=3
	v_lshrrev_b16 v38, 3, v18
	v_lshlrev_b32_e32 v49, 24, v18
	s_delay_alu instid0(VALU_DEP_2) | instskip(NEXT) | instid1(VALU_DEP_1)
	v_and_b32_e32 v38, 15, v38
	v_cmp_eq_u32_e32 vcc_lo, 0, v38
	v_and_b32_e32 v25, 7, v18
	s_delay_alu instid0(VALU_DEP_1) | instskip(NEXT) | instid1(VALU_DEP_1)
	v_clz_i32_u32_e32 v32, v25
	v_min_u32_e32 v32, 32, v32
	s_delay_alu instid0(VALU_DEP_1) | instskip(SKIP_1) | instid1(VALU_DEP_1)
	v_subrev_nc_u32_e32 v35, 28, v32
	v_sub_nc_u32_e32 v32, 29, v32
	v_dual_cndmask_b32 v32, v38, v32 :: v_dual_lshlrev_b32 v35, v35, v18
	s_delay_alu instid0(VALU_DEP_1) | instskip(NEXT) | instid1(VALU_DEP_2)
	v_and_b32_e32 v35, 7, v35
	v_lshl_add_u32 v32, v32, 23, 0x3b800000
	s_delay_alu instid0(VALU_DEP_2) | instskip(SKIP_1) | instid1(VALU_DEP_2)
	v_cndmask_b32_e32 v25, v25, v35, vcc_lo
	v_and_b32_e32 v35, 0x80000000, v49
	v_lshlrev_b32_e32 v25, 20, v25
	s_delay_alu instid0(VALU_DEP_1)
	v_or3_b32 v25, v35, v32, v25
.LBB6_15382:                            ;   in Loop: Header=BB6_14474 Depth=3
	s_or_b32 exec_lo, exec_lo, s31
	s_delay_alu instid0(VALU_DEP_1) | instskip(SKIP_1) | instid1(VALU_DEP_1)
	v_dual_max_f32 v25, v25, v25 :: v_dual_max_f32 v22, v22, v22
	s_mov_b32 s13, 0
	v_max_f32_e32 v22, v22, v25
	s_branch .LBB6_15384
.LBB6_15383:                            ;   in Loop: Header=BB6_14474 Depth=3
	s_mov_b32 s13, -1
                                        ; implicit-def: $vgpr22
.LBB6_15384:                            ;   in Loop: Header=BB6_14474 Depth=3
	s_delay_alu instid0(SALU_CYCLE_1)
	s_and_b32 vcc_lo, exec_lo, s13
	s_cbranch_vccz .LBB6_15394
; %bb.15385:                            ;   in Loop: Header=BB6_14474 Depth=3
	v_and_b32_e32 v25, 0xff, v19
	s_mov_b32 s13, 0
	s_mov_b32 s34, exec_lo
                                        ; implicit-def: $sgpr31
	s_delay_alu instid0(VALU_DEP_1)
	v_cmpx_lt_i16_e32 0x7f, v25
	s_xor_b32 s34, exec_lo, s34
	s_cbranch_execnz .LBB6_15904
; %bb.15386:                            ;   in Loop: Header=BB6_14474 Depth=3
	s_or_saveexec_b32 s34, s34
	v_mov_b32_e32 v22, s31
	s_xor_b32 exec_lo, exec_lo, s34
	s_cbranch_execnz .LBB6_15907
.LBB6_15387:                            ;   in Loop: Header=BB6_14474 Depth=3
	s_or_b32 exec_lo, exec_lo, s34
	s_and_saveexec_b32 s31, s13
	s_cbranch_execz .LBB6_15389
.LBB6_15388:                            ;   in Loop: Header=BB6_14474 Depth=3
	v_lshrrev_b16 v35, 3, v19
	s_delay_alu instid0(VALU_DEP_1) | instskip(NEXT) | instid1(VALU_DEP_1)
	v_and_b32_e32 v35, 15, v35
	v_cmp_eq_u32_e32 vcc_lo, 0, v35
	v_and_b32_e32 v22, 7, v19
	s_delay_alu instid0(VALU_DEP_1) | instskip(NEXT) | instid1(VALU_DEP_1)
	v_clz_i32_u32_e32 v25, v22
	v_min_u32_e32 v25, 32, v25
	s_delay_alu instid0(VALU_DEP_1) | instskip(SKIP_1) | instid1(VALU_DEP_1)
	v_subrev_nc_u32_e32 v32, 28, v25
	v_sub_nc_u32_e32 v25, 29, v25
	v_dual_cndmask_b32 v25, v35, v25 :: v_dual_lshlrev_b32 v32, v32, v19
	v_lshlrev_b32_e32 v19, 24, v19
	s_delay_alu instid0(VALU_DEP_2) | instskip(NEXT) | instid1(VALU_DEP_3)
	v_and_b32_e32 v32, 7, v32
	v_lshl_add_u32 v25, v25, 23, 0x3b800000
	s_delay_alu instid0(VALU_DEP_2) | instskip(NEXT) | instid1(VALU_DEP_1)
	v_dual_cndmask_b32 v22, v22, v32 :: v_dual_and_b32 v19, 0x80000000, v19
	v_lshlrev_b32_e32 v22, 20, v22
	s_delay_alu instid0(VALU_DEP_1)
	v_or3_b32 v22, v19, v25, v22
.LBB6_15389:                            ;   in Loop: Header=BB6_14474 Depth=3
	s_or_b32 exec_lo, exec_lo, s31
	s_waitcnt vmcnt(0) lgkmcnt(0)
	v_and_b32_e32 v25, 0xff, v18
	s_mov_b32 s13, 0
	s_mov_b32 s34, exec_lo
                                        ; implicit-def: $sgpr31
	s_delay_alu instid0(VALU_DEP_1)
	v_cmpx_lt_i16_e32 0x7f, v25
	s_xor_b32 s34, exec_lo, s34
	s_cbranch_execnz .LBB6_15908
; %bb.15390:                            ;   in Loop: Header=BB6_14474 Depth=3
	s_or_saveexec_b32 s34, s34
	v_mov_b32_e32 v19, s31
	s_xor_b32 exec_lo, exec_lo, s34
	s_cbranch_execnz .LBB6_15911
.LBB6_15391:                            ;   in Loop: Header=BB6_14474 Depth=3
	s_or_b32 exec_lo, exec_lo, s34
	s_and_saveexec_b32 s31, s13
	s_cbranch_execz .LBB6_15393
.LBB6_15392:                            ;   in Loop: Header=BB6_14474 Depth=3
	v_and_b32_e32 v19, 7, v18
	v_lshrrev_b16 v35, 3, v18
	s_delay_alu instid0(VALU_DEP_2) | instskip(NEXT) | instid1(VALU_DEP_2)
	v_clz_i32_u32_e32 v25, v19
	v_and_b32_e32 v35, 15, v35
	s_delay_alu instid0(VALU_DEP_2) | instskip(NEXT) | instid1(VALU_DEP_2)
	v_min_u32_e32 v25, 32, v25
	v_cmp_eq_u32_e32 vcc_lo, 0, v35
	s_delay_alu instid0(VALU_DEP_2) | instskip(SKIP_1) | instid1(VALU_DEP_1)
	v_subrev_nc_u32_e32 v32, 28, v25
	v_sub_nc_u32_e32 v25, 29, v25
	v_dual_cndmask_b32 v25, v35, v25 :: v_dual_lshlrev_b32 v32, v32, v18
	s_delay_alu instid0(VALU_DEP_1) | instskip(SKIP_1) | instid1(VALU_DEP_3)
	v_and_b32_e32 v32, 7, v32
	v_lshlrev_b32_e32 v18, 24, v18
	v_lshl_add_u32 v25, v25, 23, 0x3b800000
	s_delay_alu instid0(VALU_DEP_2) | instskip(NEXT) | instid1(VALU_DEP_1)
	v_dual_cndmask_b32 v19, v19, v32 :: v_dual_and_b32 v18, 0x80000000, v18
	v_lshlrev_b32_e32 v19, 20, v19
	s_delay_alu instid0(VALU_DEP_1)
	v_or3_b32 v19, v18, v25, v19
.LBB6_15393:                            ;   in Loop: Header=BB6_14474 Depth=3
	s_or_b32 exec_lo, exec_lo, s31
	s_delay_alu instid0(VALU_DEP_1) | instskip(NEXT) | instid1(VALU_DEP_1)
	v_dual_max_f32 v18, v19, v19 :: v_dual_max_f32 v19, v22, v22
	v_min_f32_e32 v22, v19, v18
.LBB6_15394:                            ;   in Loop: Header=BB6_14474 Depth=3
	s_waitcnt vmcnt(0) lgkmcnt(0)
	s_delay_alu instid0(VALU_DEP_1) | instskip(NEXT) | instid1(VALU_DEP_1)
	v_and_b32_e32 v18, 0x7f800000, v22
	v_cmp_ne_u32_e32 vcc_lo, 0x7f800000, v18
	v_mov_b32_e32 v18, 0x80
	s_and_saveexec_b32 s31, vcc_lo
	s_cbranch_execz .LBB6_14473
; %bb.15395:                            ;   in Loop: Header=BB6_14474 Depth=3
	v_mov_b32_e32 v18, 0
	s_mov_b32 s34, exec_lo
	v_cmpx_ne_u32_e32 0, v22
	s_cbranch_execz .LBB6_14472
; %bb.15396:                            ;   in Loop: Header=BB6_14474 Depth=3
	v_bfe_u32 v18, v22, 23, 8
	v_and_b32_e32 v19, 0x7fffff, v22
	s_delay_alu instid0(VALU_DEP_2) | instskip(SKIP_1) | instid1(VALU_DEP_3)
	v_sub_nc_u32_e32 v25, 0x78, v18
	v_cmp_gt_u32_e32 vcc_lo, 0x79, v18
	v_or_b32_e32 v32, 0x800000, v19
	s_delay_alu instid0(VALU_DEP_3) | instskip(SKIP_2) | instid1(VALU_DEP_3)
	v_cndmask_b32_e32 v25, 0, v25, vcc_lo
	v_cmp_eq_u32_e32 vcc_lo, 0, v18
	v_add_nc_u32_e32 v18, 0xffffff89, v18
	v_cndmask_b32_e64 v25, v25, 0x77, vcc_lo
	v_cndmask_b32_e32 v19, v32, v19, vcc_lo
	s_delay_alu instid0(VALU_DEP_3) | instskip(NEXT) | instid1(VALU_DEP_3)
	v_cndmask_b32_e64 v18, v18, 0xffffff8a, vcc_lo
	v_lshl_add_u32 v32, 0x100000, v25, -1
	s_delay_alu instid0(VALU_DEP_3) | instskip(SKIP_1) | instid1(VALU_DEP_4)
	v_lshrrev_b32_e32 v35, v25, v19
	v_lshlrev_b32_e64 v49, v25, 0x80000
	v_add_nc_u32_e32 v25, v25, v18
	s_delay_alu instid0(VALU_DEP_4) | instskip(NEXT) | instid1(VALU_DEP_4)
	v_and_b32_e32 v19, v32, v19
	v_bfe_u32 v38, v35, 20, 1
	s_delay_alu instid0(VALU_DEP_2) | instskip(NEXT) | instid1(VALU_DEP_2)
	v_cmp_eq_u32_e64 s13, v19, v49
	v_add_nc_u32_e32 v32, -1, v38
	s_delay_alu instid0(VALU_DEP_1) | instskip(SKIP_2) | instid1(VALU_DEP_2)
	v_cndmask_b32_e64 v19, 0, v32, s13
	v_lshrrev_b32_e32 v32, 23, v35
	s_mov_b32 s13, exec_lo
	v_add_nc_u32_e32 v19, v19, v35
	s_delay_alu instid0(VALU_DEP_2) | instskip(NEXT) | instid1(VALU_DEP_2)
	v_xor_b32_e32 v32, 1, v32
	v_and_b32_e32 v18, 0xfffff, v19
	s_delay_alu instid0(VALU_DEP_1) | instskip(NEXT) | instid1(VALU_DEP_3)
	v_add_nc_u32_e32 v19, v18, v35
                                        ; implicit-def: $vgpr18
	v_cmpx_ne_u32_e64 v25, v32
	s_xor_b32 s13, exec_lo, s13
; %bb.15397:                            ;   in Loop: Header=BB6_14474 Depth=3
	s_delay_alu instid0(VALU_DEP_2) | instskip(SKIP_2) | instid1(VALU_DEP_2)
	v_cmp_lt_u32_e32 vcc_lo, 0xffffff, v19
	v_sub_nc_u32_e32 v18, v25, v32
	v_cndmask_b32_e64 v25, 0, 1, vcc_lo
	v_add_co_ci_u32_e32 v18, vcc_lo, 0, v18, vcc_lo
	s_delay_alu instid0(VALU_DEP_2)
	v_lshrrev_b32_e32 v19, v25, v19
; %bb.15398:                            ;   in Loop: Header=BB6_14474 Depth=3
	s_and_not1_saveexec_b32 s13, s13
	s_cbranch_execz .LBB6_14471
; %bb.15399:                            ;   in Loop: Header=BB6_14474 Depth=3
	s_delay_alu instid0(VALU_DEP_1)
	v_bfe_u32 v18, v19, 23, 1
	s_branch .LBB6_14471
.LBB6_15400:                            ;   in Loop: Header=BB6_14474 Depth=3
	s_mov_b32 s13, -1
	s_mov_b32 s35, exec_lo
                                        ; implicit-def: $sgpr31
	v_cmpx_eq_u16_e32 0x80, v106
; %bb.15401:                            ;   in Loop: Header=BB6_14474 Depth=3
	s_mov_b32 s31, 0x7f800001
	s_xor_b32 s13, exec_lo, -1
; %bb.15402:                            ;   in Loop: Header=BB6_14474 Depth=3
	s_or_b32 exec_lo, exec_lo, s35
	s_delay_alu instid0(SALU_CYCLE_1)
	s_and_b32 s13, s13, exec_lo
                                        ; implicit-def: $vgpr106
	s_or_saveexec_b32 s34, s34
	v_mov_b32_e32 v105, s31
	s_xor_b32 exec_lo, exec_lo, s34
	s_cbranch_execz .LBB6_14477
.LBB6_15403:                            ;   in Loop: Header=BB6_14474 Depth=3
	v_cmp_ne_u16_e32 vcc_lo, 0, v106
	v_mov_b32_e32 v105, 0
	s_and_not1_b32 s13, s13, exec_lo
	s_and_b32 vcc_lo, vcc_lo, exec_lo
	s_delay_alu instid0(SALU_CYCLE_1)
	s_or_b32 s13, s13, vcc_lo
	s_or_b32 exec_lo, exec_lo, s34
	s_and_saveexec_b32 s31, s13
	s_cbranch_execnz .LBB6_14478
	s_branch .LBB6_14479
.LBB6_15404:                            ;   in Loop: Header=BB6_14474 Depth=3
	s_mov_b32 s13, -1
	s_mov_b32 s35, exec_lo
                                        ; implicit-def: $sgpr31
	v_cmpx_eq_u16_e32 0x80, v107
; %bb.15405:                            ;   in Loop: Header=BB6_14474 Depth=3
	s_mov_b32 s31, 0x7f800001
	s_xor_b32 s13, exec_lo, -1
; %bb.15406:                            ;   in Loop: Header=BB6_14474 Depth=3
	s_or_b32 exec_lo, exec_lo, s35
	s_delay_alu instid0(SALU_CYCLE_1)
	s_and_b32 s13, s13, exec_lo
                                        ; implicit-def: $vgpr107
	s_or_saveexec_b32 s34, s34
	v_mov_b32_e32 v106, s31
	s_xor_b32 exec_lo, exec_lo, s34
	s_cbranch_execz .LBB6_14481
.LBB6_15407:                            ;   in Loop: Header=BB6_14474 Depth=3
	v_cmp_ne_u16_e32 vcc_lo, 0, v107
	v_mov_b32_e32 v106, 0
	s_and_not1_b32 s13, s13, exec_lo
	s_and_b32 vcc_lo, vcc_lo, exec_lo
	s_delay_alu instid0(SALU_CYCLE_1)
	s_or_b32 s13, s13, vcc_lo
	s_or_b32 exec_lo, exec_lo, s34
	s_and_saveexec_b32 s31, s13
	s_cbranch_execnz .LBB6_14482
	s_branch .LBB6_14483
.LBB6_15408:                            ;   in Loop: Header=BB6_14474 Depth=3
	s_mov_b32 s13, -1
	s_mov_b32 s35, exec_lo
                                        ; implicit-def: $sgpr31
	v_cmpx_eq_u16_e32 0x80, v106
; %bb.15409:                            ;   in Loop: Header=BB6_14474 Depth=3
	s_mov_b32 s31, 0x7f800001
	s_xor_b32 s13, exec_lo, -1
; %bb.15410:                            ;   in Loop: Header=BB6_14474 Depth=3
	s_or_b32 exec_lo, exec_lo, s35
	s_delay_alu instid0(SALU_CYCLE_1)
	s_and_b32 s13, s13, exec_lo
                                        ; implicit-def: $vgpr106
	s_or_saveexec_b32 s34, s34
	v_mov_b32_e32 v105, s31
	s_xor_b32 exec_lo, exec_lo, s34
	s_cbranch_execz .LBB6_14488
.LBB6_15411:                            ;   in Loop: Header=BB6_14474 Depth=3
	v_cmp_ne_u16_e32 vcc_lo, 0, v106
	v_mov_b32_e32 v105, 0
	s_and_not1_b32 s13, s13, exec_lo
	s_and_b32 vcc_lo, vcc_lo, exec_lo
	s_delay_alu instid0(SALU_CYCLE_1)
	s_or_b32 s13, s13, vcc_lo
	s_or_b32 exec_lo, exec_lo, s34
	s_and_saveexec_b32 s31, s13
	s_cbranch_execnz .LBB6_14489
	s_branch .LBB6_14490
.LBB6_15412:                            ;   in Loop: Header=BB6_14474 Depth=3
	s_mov_b32 s13, -1
	s_mov_b32 s35, exec_lo
                                        ; implicit-def: $sgpr31
	v_cmpx_eq_u16_e32 0x80, v106
; %bb.15413:                            ;   in Loop: Header=BB6_14474 Depth=3
	s_mov_b32 s31, 0x7f800001
	s_xor_b32 s13, exec_lo, -1
; %bb.15414:                            ;   in Loop: Header=BB6_14474 Depth=3
	s_or_b32 exec_lo, exec_lo, s35
	s_delay_alu instid0(SALU_CYCLE_1)
	s_and_b32 s13, s13, exec_lo
                                        ; implicit-def: $vgpr106
	s_or_saveexec_b32 s34, s34
	v_mov_b32_e32 v104, s31
	s_xor_b32 exec_lo, exec_lo, s34
	s_cbranch_execz .LBB6_14492
.LBB6_15415:                            ;   in Loop: Header=BB6_14474 Depth=3
	v_cmp_ne_u16_e32 vcc_lo, 0, v106
	v_mov_b32_e32 v104, 0
	s_and_not1_b32 s13, s13, exec_lo
	s_and_b32 vcc_lo, vcc_lo, exec_lo
	s_delay_alu instid0(SALU_CYCLE_1)
	s_or_b32 s13, s13, vcc_lo
	s_or_b32 exec_lo, exec_lo, s34
	s_and_saveexec_b32 s31, s13
	s_cbranch_execnz .LBB6_14493
	s_branch .LBB6_14494
.LBB6_15416:                            ;   in Loop: Header=BB6_14474 Depth=3
	s_mov_b32 s13, -1
	s_mov_b32 s35, exec_lo
                                        ; implicit-def: $sgpr31
	v_cmpx_eq_u16_e32 0x80, v105
; %bb.15417:                            ;   in Loop: Header=BB6_14474 Depth=3
	s_mov_b32 s31, 0x7f800001
	s_xor_b32 s13, exec_lo, -1
; %bb.15418:                            ;   in Loop: Header=BB6_14474 Depth=3
	s_or_b32 exec_lo, exec_lo, s35
	s_delay_alu instid0(SALU_CYCLE_1)
	s_and_b32 s13, s13, exec_lo
                                        ; implicit-def: $vgpr105
	s_or_saveexec_b32 s34, s34
	v_mov_b32_e32 v104, s31
	s_xor_b32 exec_lo, exec_lo, s34
	s_cbranch_execz .LBB6_14506
.LBB6_15419:                            ;   in Loop: Header=BB6_14474 Depth=3
	v_cmp_ne_u16_e32 vcc_lo, 0, v105
	v_mov_b32_e32 v104, 0
	s_and_not1_b32 s13, s13, exec_lo
	s_and_b32 vcc_lo, vcc_lo, exec_lo
	s_delay_alu instid0(SALU_CYCLE_1)
	s_or_b32 s13, s13, vcc_lo
	s_or_b32 exec_lo, exec_lo, s34
	s_and_saveexec_b32 s31, s13
	s_cbranch_execnz .LBB6_14507
	s_branch .LBB6_14508
.LBB6_15420:                            ;   in Loop: Header=BB6_14474 Depth=3
	s_mov_b32 s13, -1
	s_mov_b32 s35, exec_lo
                                        ; implicit-def: $sgpr31
	v_cmpx_eq_u16_e32 0x80, v106
; %bb.15421:                            ;   in Loop: Header=BB6_14474 Depth=3
	s_mov_b32 s31, 0x7f800001
	s_xor_b32 s13, exec_lo, -1
; %bb.15422:                            ;   in Loop: Header=BB6_14474 Depth=3
	s_or_b32 exec_lo, exec_lo, s35
	s_delay_alu instid0(SALU_CYCLE_1)
	s_and_b32 s13, s13, exec_lo
                                        ; implicit-def: $vgpr106
	s_or_saveexec_b32 s34, s34
	v_mov_b32_e32 v105, s31
	s_xor_b32 exec_lo, exec_lo, s34
	s_cbranch_execz .LBB6_14510
.LBB6_15423:                            ;   in Loop: Header=BB6_14474 Depth=3
	v_cmp_ne_u16_e32 vcc_lo, 0, v106
	v_mov_b32_e32 v105, 0
	s_and_not1_b32 s13, s13, exec_lo
	s_and_b32 vcc_lo, vcc_lo, exec_lo
	s_delay_alu instid0(SALU_CYCLE_1)
	s_or_b32 s13, s13, vcc_lo
	s_or_b32 exec_lo, exec_lo, s34
	s_and_saveexec_b32 s31, s13
	s_cbranch_execnz .LBB6_14511
	s_branch .LBB6_14512
.LBB6_15424:                            ;   in Loop: Header=BB6_14474 Depth=3
	s_mov_b32 s13, -1
	s_mov_b32 s35, exec_lo
                                        ; implicit-def: $sgpr31
	v_cmpx_eq_u16_e32 0x80, v105
; %bb.15425:                            ;   in Loop: Header=BB6_14474 Depth=3
	s_mov_b32 s31, 0x7f800001
	s_xor_b32 s13, exec_lo, -1
; %bb.15426:                            ;   in Loop: Header=BB6_14474 Depth=3
	s_or_b32 exec_lo, exec_lo, s35
	s_delay_alu instid0(SALU_CYCLE_1)
	s_and_b32 s13, s13, exec_lo
                                        ; implicit-def: $vgpr105
	s_or_saveexec_b32 s34, s34
	v_mov_b32_e32 v104, s31
	s_xor_b32 exec_lo, exec_lo, s34
	s_cbranch_execz .LBB6_14517
.LBB6_15427:                            ;   in Loop: Header=BB6_14474 Depth=3
	v_cmp_ne_u16_e32 vcc_lo, 0, v105
	v_mov_b32_e32 v104, 0
	s_and_not1_b32 s13, s13, exec_lo
	s_and_b32 vcc_lo, vcc_lo, exec_lo
	s_delay_alu instid0(SALU_CYCLE_1)
	s_or_b32 s13, s13, vcc_lo
	s_or_b32 exec_lo, exec_lo, s34
	s_and_saveexec_b32 s31, s13
	s_cbranch_execnz .LBB6_14518
	s_branch .LBB6_14519
.LBB6_15428:                            ;   in Loop: Header=BB6_14474 Depth=3
	s_mov_b32 s13, -1
	s_mov_b32 s35, exec_lo
                                        ; implicit-def: $sgpr31
	v_cmpx_eq_u16_e32 0x80, v105
; %bb.15429:                            ;   in Loop: Header=BB6_14474 Depth=3
	s_mov_b32 s31, 0x7f800001
	s_xor_b32 s13, exec_lo, -1
; %bb.15430:                            ;   in Loop: Header=BB6_14474 Depth=3
	s_or_b32 exec_lo, exec_lo, s35
	s_delay_alu instid0(SALU_CYCLE_1)
	s_and_b32 s13, s13, exec_lo
                                        ; implicit-def: $vgpr105
	s_or_saveexec_b32 s34, s34
	v_mov_b32_e32 v95, s31
	s_xor_b32 exec_lo, exec_lo, s34
	s_cbranch_execz .LBB6_14521
.LBB6_15431:                            ;   in Loop: Header=BB6_14474 Depth=3
	v_cmp_ne_u16_e32 vcc_lo, 0, v105
	v_mov_b32_e32 v95, 0
	s_and_not1_b32 s13, s13, exec_lo
	s_and_b32 vcc_lo, vcc_lo, exec_lo
	s_delay_alu instid0(SALU_CYCLE_1)
	s_or_b32 s13, s13, vcc_lo
	s_or_b32 exec_lo, exec_lo, s34
	s_and_saveexec_b32 s31, s13
	s_cbranch_execnz .LBB6_14522
	s_branch .LBB6_14523
.LBB6_15432:                            ;   in Loop: Header=BB6_14474 Depth=3
	s_mov_b32 s13, -1
	s_mov_b32 s35, exec_lo
                                        ; implicit-def: $sgpr31
	v_cmpx_eq_u16_e32 0x80, v104
; %bb.15433:                            ;   in Loop: Header=BB6_14474 Depth=3
	s_mov_b32 s31, 0x7f800001
	s_xor_b32 s13, exec_lo, -1
; %bb.15434:                            ;   in Loop: Header=BB6_14474 Depth=3
	s_or_b32 exec_lo, exec_lo, s35
	s_delay_alu instid0(SALU_CYCLE_1)
	s_and_b32 s13, s13, exec_lo
                                        ; implicit-def: $vgpr104
	s_or_saveexec_b32 s34, s34
	v_mov_b32_e32 v95, s31
	s_xor_b32 exec_lo, exec_lo, s34
	s_cbranch_execz .LBB6_14535
.LBB6_15435:                            ;   in Loop: Header=BB6_14474 Depth=3
	v_cmp_ne_u16_e32 vcc_lo, 0, v104
	v_mov_b32_e32 v95, 0
	s_and_not1_b32 s13, s13, exec_lo
	s_and_b32 vcc_lo, vcc_lo, exec_lo
	s_delay_alu instid0(SALU_CYCLE_1)
	s_or_b32 s13, s13, vcc_lo
	s_or_b32 exec_lo, exec_lo, s34
	s_and_saveexec_b32 s31, s13
	s_cbranch_execnz .LBB6_14536
	s_branch .LBB6_14537
.LBB6_15436:                            ;   in Loop: Header=BB6_14474 Depth=3
	s_mov_b32 s13, -1
	s_mov_b32 s35, exec_lo
                                        ; implicit-def: $sgpr31
	v_cmpx_eq_u16_e32 0x80, v105
; %bb.15437:                            ;   in Loop: Header=BB6_14474 Depth=3
	s_mov_b32 s31, 0x7f800001
	s_xor_b32 s13, exec_lo, -1
; %bb.15438:                            ;   in Loop: Header=BB6_14474 Depth=3
	s_or_b32 exec_lo, exec_lo, s35
	s_delay_alu instid0(SALU_CYCLE_1)
	s_and_b32 s13, s13, exec_lo
                                        ; implicit-def: $vgpr105
	s_or_saveexec_b32 s34, s34
	v_mov_b32_e32 v104, s31
	s_xor_b32 exec_lo, exec_lo, s34
	s_cbranch_execz .LBB6_14539
.LBB6_15439:                            ;   in Loop: Header=BB6_14474 Depth=3
	v_cmp_ne_u16_e32 vcc_lo, 0, v105
	v_mov_b32_e32 v104, 0
	s_and_not1_b32 s13, s13, exec_lo
	s_and_b32 vcc_lo, vcc_lo, exec_lo
	s_delay_alu instid0(SALU_CYCLE_1)
	s_or_b32 s13, s13, vcc_lo
	s_or_b32 exec_lo, exec_lo, s34
	s_and_saveexec_b32 s31, s13
	s_cbranch_execnz .LBB6_14540
	s_branch .LBB6_14541
.LBB6_15440:                            ;   in Loop: Header=BB6_14474 Depth=3
	s_mov_b32 s13, -1
	s_mov_b32 s35, exec_lo
                                        ; implicit-def: $sgpr31
	v_cmpx_eq_u16_e32 0x80, v104
; %bb.15441:                            ;   in Loop: Header=BB6_14474 Depth=3
	s_mov_b32 s31, 0x7f800001
	s_xor_b32 s13, exec_lo, -1
; %bb.15442:                            ;   in Loop: Header=BB6_14474 Depth=3
	s_or_b32 exec_lo, exec_lo, s35
	s_delay_alu instid0(SALU_CYCLE_1)
	s_and_b32 s13, s13, exec_lo
                                        ; implicit-def: $vgpr104
	s_or_saveexec_b32 s34, s34
	v_mov_b32_e32 v95, s31
	s_xor_b32 exec_lo, exec_lo, s34
	s_cbranch_execz .LBB6_14546
.LBB6_15443:                            ;   in Loop: Header=BB6_14474 Depth=3
	v_cmp_ne_u16_e32 vcc_lo, 0, v104
	v_mov_b32_e32 v95, 0
	s_and_not1_b32 s13, s13, exec_lo
	s_and_b32 vcc_lo, vcc_lo, exec_lo
	s_delay_alu instid0(SALU_CYCLE_1)
	s_or_b32 s13, s13, vcc_lo
	s_or_b32 exec_lo, exec_lo, s34
	s_and_saveexec_b32 s31, s13
	s_cbranch_execnz .LBB6_14547
	s_branch .LBB6_14548
.LBB6_15444:                            ;   in Loop: Header=BB6_14474 Depth=3
	s_mov_b32 s13, -1
	s_mov_b32 s35, exec_lo
                                        ; implicit-def: $sgpr31
	v_cmpx_eq_u16_e32 0x80, v104
; %bb.15445:                            ;   in Loop: Header=BB6_14474 Depth=3
	s_mov_b32 s31, 0x7f800001
	s_xor_b32 s13, exec_lo, -1
; %bb.15446:                            ;   in Loop: Header=BB6_14474 Depth=3
	s_or_b32 exec_lo, exec_lo, s35
	s_delay_alu instid0(SALU_CYCLE_1)
	s_and_b32 s13, s13, exec_lo
                                        ; implicit-def: $vgpr104
	s_or_saveexec_b32 s34, s34
	v_mov_b32_e32 v94, s31
	s_xor_b32 exec_lo, exec_lo, s34
	s_cbranch_execz .LBB6_14550
.LBB6_15447:                            ;   in Loop: Header=BB6_14474 Depth=3
	v_cmp_ne_u16_e32 vcc_lo, 0, v104
	v_mov_b32_e32 v94, 0
	s_and_not1_b32 s13, s13, exec_lo
	s_and_b32 vcc_lo, vcc_lo, exec_lo
	s_delay_alu instid0(SALU_CYCLE_1)
	s_or_b32 s13, s13, vcc_lo
	s_or_b32 exec_lo, exec_lo, s34
	s_and_saveexec_b32 s31, s13
	s_cbranch_execnz .LBB6_14551
	s_branch .LBB6_14552
.LBB6_15448:                            ;   in Loop: Header=BB6_14474 Depth=3
	s_mov_b32 s13, -1
	s_mov_b32 s35, exec_lo
                                        ; implicit-def: $sgpr31
	v_cmpx_eq_u16_e32 0x80, v95
; %bb.15449:                            ;   in Loop: Header=BB6_14474 Depth=3
	s_mov_b32 s31, 0x7f800001
	s_xor_b32 s13, exec_lo, -1
; %bb.15450:                            ;   in Loop: Header=BB6_14474 Depth=3
	s_or_b32 exec_lo, exec_lo, s35
	s_delay_alu instid0(SALU_CYCLE_1)
	s_and_b32 s13, s13, exec_lo
                                        ; implicit-def: $vgpr95
	s_or_saveexec_b32 s34, s34
	v_mov_b32_e32 v94, s31
	s_xor_b32 exec_lo, exec_lo, s34
	s_cbranch_execz .LBB6_14564
.LBB6_15451:                            ;   in Loop: Header=BB6_14474 Depth=3
	v_cmp_ne_u16_e32 vcc_lo, 0, v95
	v_mov_b32_e32 v94, 0
	s_and_not1_b32 s13, s13, exec_lo
	s_and_b32 vcc_lo, vcc_lo, exec_lo
	s_delay_alu instid0(SALU_CYCLE_1)
	s_or_b32 s13, s13, vcc_lo
	s_or_b32 exec_lo, exec_lo, s34
	s_and_saveexec_b32 s31, s13
	s_cbranch_execnz .LBB6_14565
	s_branch .LBB6_14566
.LBB6_15452:                            ;   in Loop: Header=BB6_14474 Depth=3
	s_mov_b32 s13, -1
	s_mov_b32 s35, exec_lo
                                        ; implicit-def: $sgpr31
	v_cmpx_eq_u16_e32 0x80, v104
; %bb.15453:                            ;   in Loop: Header=BB6_14474 Depth=3
	s_mov_b32 s31, 0x7f800001
	s_xor_b32 s13, exec_lo, -1
; %bb.15454:                            ;   in Loop: Header=BB6_14474 Depth=3
	s_or_b32 exec_lo, exec_lo, s35
	s_delay_alu instid0(SALU_CYCLE_1)
	s_and_b32 s13, s13, exec_lo
                                        ; implicit-def: $vgpr104
	s_or_saveexec_b32 s34, s34
	v_mov_b32_e32 v95, s31
	s_xor_b32 exec_lo, exec_lo, s34
	s_cbranch_execz .LBB6_14568
.LBB6_15455:                            ;   in Loop: Header=BB6_14474 Depth=3
	v_cmp_ne_u16_e32 vcc_lo, 0, v104
	v_mov_b32_e32 v95, 0
	s_and_not1_b32 s13, s13, exec_lo
	s_and_b32 vcc_lo, vcc_lo, exec_lo
	s_delay_alu instid0(SALU_CYCLE_1)
	s_or_b32 s13, s13, vcc_lo
	s_or_b32 exec_lo, exec_lo, s34
	s_and_saveexec_b32 s31, s13
	s_cbranch_execnz .LBB6_14569
	s_branch .LBB6_14570
.LBB6_15456:                            ;   in Loop: Header=BB6_14474 Depth=3
	s_mov_b32 s13, -1
	s_mov_b32 s35, exec_lo
                                        ; implicit-def: $sgpr31
	v_cmpx_eq_u16_e32 0x80, v95
; %bb.15457:                            ;   in Loop: Header=BB6_14474 Depth=3
	s_mov_b32 s31, 0x7f800001
	s_xor_b32 s13, exec_lo, -1
; %bb.15458:                            ;   in Loop: Header=BB6_14474 Depth=3
	s_or_b32 exec_lo, exec_lo, s35
	s_delay_alu instid0(SALU_CYCLE_1)
	s_and_b32 s13, s13, exec_lo
                                        ; implicit-def: $vgpr95
	s_or_saveexec_b32 s34, s34
	v_mov_b32_e32 v94, s31
	s_xor_b32 exec_lo, exec_lo, s34
	s_cbranch_execz .LBB6_14575
.LBB6_15459:                            ;   in Loop: Header=BB6_14474 Depth=3
	v_cmp_ne_u16_e32 vcc_lo, 0, v95
	v_mov_b32_e32 v94, 0
	s_and_not1_b32 s13, s13, exec_lo
	s_and_b32 vcc_lo, vcc_lo, exec_lo
	s_delay_alu instid0(SALU_CYCLE_1)
	s_or_b32 s13, s13, vcc_lo
	s_or_b32 exec_lo, exec_lo, s34
	s_and_saveexec_b32 s31, s13
	s_cbranch_execnz .LBB6_14576
	s_branch .LBB6_14577
.LBB6_15460:                            ;   in Loop: Header=BB6_14474 Depth=3
	s_mov_b32 s13, -1
	s_mov_b32 s35, exec_lo
                                        ; implicit-def: $sgpr31
	v_cmpx_eq_u16_e32 0x80, v95
; %bb.15461:                            ;   in Loop: Header=BB6_14474 Depth=3
	s_mov_b32 s31, 0x7f800001
	s_xor_b32 s13, exec_lo, -1
; %bb.15462:                            ;   in Loop: Header=BB6_14474 Depth=3
	s_or_b32 exec_lo, exec_lo, s35
	s_delay_alu instid0(SALU_CYCLE_1)
	s_and_b32 s13, s13, exec_lo
                                        ; implicit-def: $vgpr95
	s_or_saveexec_b32 s34, s34
	v_mov_b32_e32 v93, s31
	s_xor_b32 exec_lo, exec_lo, s34
	s_cbranch_execz .LBB6_14579
.LBB6_15463:                            ;   in Loop: Header=BB6_14474 Depth=3
	v_cmp_ne_u16_e32 vcc_lo, 0, v95
	v_mov_b32_e32 v93, 0
	s_and_not1_b32 s13, s13, exec_lo
	s_and_b32 vcc_lo, vcc_lo, exec_lo
	s_delay_alu instid0(SALU_CYCLE_1)
	s_or_b32 s13, s13, vcc_lo
	s_or_b32 exec_lo, exec_lo, s34
	s_and_saveexec_b32 s31, s13
	s_cbranch_execnz .LBB6_14580
	s_branch .LBB6_14581
.LBB6_15464:                            ;   in Loop: Header=BB6_14474 Depth=3
	s_mov_b32 s13, -1
	s_mov_b32 s35, exec_lo
                                        ; implicit-def: $sgpr31
	v_cmpx_eq_u16_e32 0x80, v94
; %bb.15465:                            ;   in Loop: Header=BB6_14474 Depth=3
	s_mov_b32 s31, 0x7f800001
	s_xor_b32 s13, exec_lo, -1
; %bb.15466:                            ;   in Loop: Header=BB6_14474 Depth=3
	s_or_b32 exec_lo, exec_lo, s35
	s_delay_alu instid0(SALU_CYCLE_1)
	s_and_b32 s13, s13, exec_lo
                                        ; implicit-def: $vgpr94
	s_or_saveexec_b32 s34, s34
	v_mov_b32_e32 v93, s31
	s_xor_b32 exec_lo, exec_lo, s34
	s_cbranch_execz .LBB6_14593
.LBB6_15467:                            ;   in Loop: Header=BB6_14474 Depth=3
	v_cmp_ne_u16_e32 vcc_lo, 0, v94
	v_mov_b32_e32 v93, 0
	s_and_not1_b32 s13, s13, exec_lo
	s_and_b32 vcc_lo, vcc_lo, exec_lo
	s_delay_alu instid0(SALU_CYCLE_1)
	s_or_b32 s13, s13, vcc_lo
	s_or_b32 exec_lo, exec_lo, s34
	s_and_saveexec_b32 s31, s13
	s_cbranch_execnz .LBB6_14594
	s_branch .LBB6_14595
.LBB6_15468:                            ;   in Loop: Header=BB6_14474 Depth=3
	s_mov_b32 s13, -1
	s_mov_b32 s35, exec_lo
                                        ; implicit-def: $sgpr31
	v_cmpx_eq_u16_e32 0x80, v95
; %bb.15469:                            ;   in Loop: Header=BB6_14474 Depth=3
	s_mov_b32 s31, 0x7f800001
	s_xor_b32 s13, exec_lo, -1
; %bb.15470:                            ;   in Loop: Header=BB6_14474 Depth=3
	s_or_b32 exec_lo, exec_lo, s35
	s_delay_alu instid0(SALU_CYCLE_1)
	s_and_b32 s13, s13, exec_lo
                                        ; implicit-def: $vgpr95
	s_or_saveexec_b32 s34, s34
	v_mov_b32_e32 v94, s31
	s_xor_b32 exec_lo, exec_lo, s34
	s_cbranch_execz .LBB6_14597
.LBB6_15471:                            ;   in Loop: Header=BB6_14474 Depth=3
	v_cmp_ne_u16_e32 vcc_lo, 0, v95
	v_mov_b32_e32 v94, 0
	s_and_not1_b32 s13, s13, exec_lo
	s_and_b32 vcc_lo, vcc_lo, exec_lo
	s_delay_alu instid0(SALU_CYCLE_1)
	s_or_b32 s13, s13, vcc_lo
	s_or_b32 exec_lo, exec_lo, s34
	s_and_saveexec_b32 s31, s13
	s_cbranch_execnz .LBB6_14598
	s_branch .LBB6_14599
.LBB6_15472:                            ;   in Loop: Header=BB6_14474 Depth=3
	s_mov_b32 s13, -1
	s_mov_b32 s35, exec_lo
                                        ; implicit-def: $sgpr31
	v_cmpx_eq_u16_e32 0x80, v94
; %bb.15473:                            ;   in Loop: Header=BB6_14474 Depth=3
	s_mov_b32 s31, 0x7f800001
	s_xor_b32 s13, exec_lo, -1
; %bb.15474:                            ;   in Loop: Header=BB6_14474 Depth=3
	s_or_b32 exec_lo, exec_lo, s35
	s_delay_alu instid0(SALU_CYCLE_1)
	s_and_b32 s13, s13, exec_lo
                                        ; implicit-def: $vgpr94
	s_or_saveexec_b32 s34, s34
	v_mov_b32_e32 v93, s31
	s_xor_b32 exec_lo, exec_lo, s34
	s_cbranch_execz .LBB6_14604
.LBB6_15475:                            ;   in Loop: Header=BB6_14474 Depth=3
	v_cmp_ne_u16_e32 vcc_lo, 0, v94
	v_mov_b32_e32 v93, 0
	s_and_not1_b32 s13, s13, exec_lo
	s_and_b32 vcc_lo, vcc_lo, exec_lo
	s_delay_alu instid0(SALU_CYCLE_1)
	s_or_b32 s13, s13, vcc_lo
	s_or_b32 exec_lo, exec_lo, s34
	s_and_saveexec_b32 s31, s13
	s_cbranch_execnz .LBB6_14605
	s_branch .LBB6_14606
.LBB6_15476:                            ;   in Loop: Header=BB6_14474 Depth=3
	s_mov_b32 s13, -1
	s_mov_b32 s35, exec_lo
                                        ; implicit-def: $sgpr31
	v_cmpx_eq_u16_e32 0x80, v94
; %bb.15477:                            ;   in Loop: Header=BB6_14474 Depth=3
	s_mov_b32 s31, 0x7f800001
	s_xor_b32 s13, exec_lo, -1
; %bb.15478:                            ;   in Loop: Header=BB6_14474 Depth=3
	s_or_b32 exec_lo, exec_lo, s35
	s_delay_alu instid0(SALU_CYCLE_1)
	s_and_b32 s13, s13, exec_lo
                                        ; implicit-def: $vgpr94
	s_or_saveexec_b32 s34, s34
	v_mov_b32_e32 v92, s31
	s_xor_b32 exec_lo, exec_lo, s34
	s_cbranch_execz .LBB6_14608
.LBB6_15479:                            ;   in Loop: Header=BB6_14474 Depth=3
	v_cmp_ne_u16_e32 vcc_lo, 0, v94
	v_mov_b32_e32 v92, 0
	s_and_not1_b32 s13, s13, exec_lo
	s_and_b32 vcc_lo, vcc_lo, exec_lo
	s_delay_alu instid0(SALU_CYCLE_1)
	s_or_b32 s13, s13, vcc_lo
	s_or_b32 exec_lo, exec_lo, s34
	s_and_saveexec_b32 s31, s13
	s_cbranch_execnz .LBB6_14609
	s_branch .LBB6_14610
.LBB6_15480:                            ;   in Loop: Header=BB6_14474 Depth=3
	s_mov_b32 s13, -1
	s_mov_b32 s35, exec_lo
                                        ; implicit-def: $sgpr31
	v_cmpx_eq_u16_e32 0x80, v93
; %bb.15481:                            ;   in Loop: Header=BB6_14474 Depth=3
	s_mov_b32 s31, 0x7f800001
	s_xor_b32 s13, exec_lo, -1
; %bb.15482:                            ;   in Loop: Header=BB6_14474 Depth=3
	s_or_b32 exec_lo, exec_lo, s35
	s_delay_alu instid0(SALU_CYCLE_1)
	s_and_b32 s13, s13, exec_lo
                                        ; implicit-def: $vgpr93
	s_or_saveexec_b32 s34, s34
	v_mov_b32_e32 v92, s31
	s_xor_b32 exec_lo, exec_lo, s34
	s_cbranch_execz .LBB6_14622
.LBB6_15483:                            ;   in Loop: Header=BB6_14474 Depth=3
	v_cmp_ne_u16_e32 vcc_lo, 0, v93
	v_mov_b32_e32 v92, 0
	s_and_not1_b32 s13, s13, exec_lo
	s_and_b32 vcc_lo, vcc_lo, exec_lo
	s_delay_alu instid0(SALU_CYCLE_1)
	s_or_b32 s13, s13, vcc_lo
	s_or_b32 exec_lo, exec_lo, s34
	s_and_saveexec_b32 s31, s13
	s_cbranch_execnz .LBB6_14623
	s_branch .LBB6_14624
.LBB6_15484:                            ;   in Loop: Header=BB6_14474 Depth=3
	s_mov_b32 s13, -1
	s_mov_b32 s35, exec_lo
                                        ; implicit-def: $sgpr31
	v_cmpx_eq_u16_e32 0x80, v94
; %bb.15485:                            ;   in Loop: Header=BB6_14474 Depth=3
	s_mov_b32 s31, 0x7f800001
	s_xor_b32 s13, exec_lo, -1
; %bb.15486:                            ;   in Loop: Header=BB6_14474 Depth=3
	s_or_b32 exec_lo, exec_lo, s35
	s_delay_alu instid0(SALU_CYCLE_1)
	s_and_b32 s13, s13, exec_lo
                                        ; implicit-def: $vgpr94
	s_or_saveexec_b32 s34, s34
	v_mov_b32_e32 v93, s31
	s_xor_b32 exec_lo, exec_lo, s34
	s_cbranch_execz .LBB6_14626
.LBB6_15487:                            ;   in Loop: Header=BB6_14474 Depth=3
	v_cmp_ne_u16_e32 vcc_lo, 0, v94
	v_mov_b32_e32 v93, 0
	s_and_not1_b32 s13, s13, exec_lo
	s_and_b32 vcc_lo, vcc_lo, exec_lo
	s_delay_alu instid0(SALU_CYCLE_1)
	s_or_b32 s13, s13, vcc_lo
	s_or_b32 exec_lo, exec_lo, s34
	s_and_saveexec_b32 s31, s13
	s_cbranch_execnz .LBB6_14627
	s_branch .LBB6_14628
.LBB6_15488:                            ;   in Loop: Header=BB6_14474 Depth=3
	s_mov_b32 s13, -1
	s_mov_b32 s35, exec_lo
                                        ; implicit-def: $sgpr31
	v_cmpx_eq_u16_e32 0x80, v93
; %bb.15489:                            ;   in Loop: Header=BB6_14474 Depth=3
	s_mov_b32 s31, 0x7f800001
	s_xor_b32 s13, exec_lo, -1
; %bb.15490:                            ;   in Loop: Header=BB6_14474 Depth=3
	s_or_b32 exec_lo, exec_lo, s35
	s_delay_alu instid0(SALU_CYCLE_1)
	s_and_b32 s13, s13, exec_lo
                                        ; implicit-def: $vgpr93
	s_or_saveexec_b32 s34, s34
	v_mov_b32_e32 v92, s31
	s_xor_b32 exec_lo, exec_lo, s34
	s_cbranch_execz .LBB6_14633
.LBB6_15491:                            ;   in Loop: Header=BB6_14474 Depth=3
	v_cmp_ne_u16_e32 vcc_lo, 0, v93
	v_mov_b32_e32 v92, 0
	s_and_not1_b32 s13, s13, exec_lo
	s_and_b32 vcc_lo, vcc_lo, exec_lo
	s_delay_alu instid0(SALU_CYCLE_1)
	s_or_b32 s13, s13, vcc_lo
	s_or_b32 exec_lo, exec_lo, s34
	s_and_saveexec_b32 s31, s13
	s_cbranch_execnz .LBB6_14634
	s_branch .LBB6_14635
.LBB6_15492:                            ;   in Loop: Header=BB6_14474 Depth=3
	s_mov_b32 s13, -1
	s_mov_b32 s35, exec_lo
                                        ; implicit-def: $sgpr31
	v_cmpx_eq_u16_e32 0x80, v93
; %bb.15493:                            ;   in Loop: Header=BB6_14474 Depth=3
	s_mov_b32 s31, 0x7f800001
	s_xor_b32 s13, exec_lo, -1
; %bb.15494:                            ;   in Loop: Header=BB6_14474 Depth=3
	s_or_b32 exec_lo, exec_lo, s35
	s_delay_alu instid0(SALU_CYCLE_1)
	s_and_b32 s13, s13, exec_lo
                                        ; implicit-def: $vgpr93
	s_or_saveexec_b32 s34, s34
	v_mov_b32_e32 v91, s31
	s_xor_b32 exec_lo, exec_lo, s34
	s_cbranch_execz .LBB6_14637
.LBB6_15495:                            ;   in Loop: Header=BB6_14474 Depth=3
	v_cmp_ne_u16_e32 vcc_lo, 0, v93
	v_mov_b32_e32 v91, 0
	s_and_not1_b32 s13, s13, exec_lo
	s_and_b32 vcc_lo, vcc_lo, exec_lo
	s_delay_alu instid0(SALU_CYCLE_1)
	s_or_b32 s13, s13, vcc_lo
	s_or_b32 exec_lo, exec_lo, s34
	s_and_saveexec_b32 s31, s13
	s_cbranch_execnz .LBB6_14638
	s_branch .LBB6_14639
.LBB6_15496:                            ;   in Loop: Header=BB6_14474 Depth=3
	s_mov_b32 s13, -1
	s_mov_b32 s35, exec_lo
                                        ; implicit-def: $sgpr31
	v_cmpx_eq_u16_e32 0x80, v92
; %bb.15497:                            ;   in Loop: Header=BB6_14474 Depth=3
	s_mov_b32 s31, 0x7f800001
	s_xor_b32 s13, exec_lo, -1
; %bb.15498:                            ;   in Loop: Header=BB6_14474 Depth=3
	s_or_b32 exec_lo, exec_lo, s35
	s_delay_alu instid0(SALU_CYCLE_1)
	s_and_b32 s13, s13, exec_lo
                                        ; implicit-def: $vgpr92
	s_or_saveexec_b32 s34, s34
	v_mov_b32_e32 v91, s31
	s_xor_b32 exec_lo, exec_lo, s34
	s_cbranch_execz .LBB6_14651
.LBB6_15499:                            ;   in Loop: Header=BB6_14474 Depth=3
	v_cmp_ne_u16_e32 vcc_lo, 0, v92
	v_mov_b32_e32 v91, 0
	s_and_not1_b32 s13, s13, exec_lo
	s_and_b32 vcc_lo, vcc_lo, exec_lo
	s_delay_alu instid0(SALU_CYCLE_1)
	s_or_b32 s13, s13, vcc_lo
	s_or_b32 exec_lo, exec_lo, s34
	s_and_saveexec_b32 s31, s13
	s_cbranch_execnz .LBB6_14652
	s_branch .LBB6_14653
.LBB6_15500:                            ;   in Loop: Header=BB6_14474 Depth=3
	s_mov_b32 s13, -1
	s_mov_b32 s35, exec_lo
                                        ; implicit-def: $sgpr31
	v_cmpx_eq_u16_e32 0x80, v93
; %bb.15501:                            ;   in Loop: Header=BB6_14474 Depth=3
	s_mov_b32 s31, 0x7f800001
	s_xor_b32 s13, exec_lo, -1
; %bb.15502:                            ;   in Loop: Header=BB6_14474 Depth=3
	s_or_b32 exec_lo, exec_lo, s35
	s_delay_alu instid0(SALU_CYCLE_1)
	s_and_b32 s13, s13, exec_lo
                                        ; implicit-def: $vgpr93
	s_or_saveexec_b32 s34, s34
	v_mov_b32_e32 v92, s31
	s_xor_b32 exec_lo, exec_lo, s34
	s_cbranch_execz .LBB6_14655
.LBB6_15503:                            ;   in Loop: Header=BB6_14474 Depth=3
	v_cmp_ne_u16_e32 vcc_lo, 0, v93
	v_mov_b32_e32 v92, 0
	s_and_not1_b32 s13, s13, exec_lo
	s_and_b32 vcc_lo, vcc_lo, exec_lo
	s_delay_alu instid0(SALU_CYCLE_1)
	s_or_b32 s13, s13, vcc_lo
	s_or_b32 exec_lo, exec_lo, s34
	s_and_saveexec_b32 s31, s13
	s_cbranch_execnz .LBB6_14656
	s_branch .LBB6_14657
.LBB6_15504:                            ;   in Loop: Header=BB6_14474 Depth=3
	s_mov_b32 s13, -1
	s_mov_b32 s35, exec_lo
                                        ; implicit-def: $sgpr31
	v_cmpx_eq_u16_e32 0x80, v92
; %bb.15505:                            ;   in Loop: Header=BB6_14474 Depth=3
	s_mov_b32 s31, 0x7f800001
	s_xor_b32 s13, exec_lo, -1
; %bb.15506:                            ;   in Loop: Header=BB6_14474 Depth=3
	s_or_b32 exec_lo, exec_lo, s35
	s_delay_alu instid0(SALU_CYCLE_1)
	s_and_b32 s13, s13, exec_lo
                                        ; implicit-def: $vgpr92
	s_or_saveexec_b32 s34, s34
	v_mov_b32_e32 v91, s31
	s_xor_b32 exec_lo, exec_lo, s34
	s_cbranch_execz .LBB6_14662
.LBB6_15507:                            ;   in Loop: Header=BB6_14474 Depth=3
	v_cmp_ne_u16_e32 vcc_lo, 0, v92
	v_mov_b32_e32 v91, 0
	s_and_not1_b32 s13, s13, exec_lo
	s_and_b32 vcc_lo, vcc_lo, exec_lo
	s_delay_alu instid0(SALU_CYCLE_1)
	s_or_b32 s13, s13, vcc_lo
	s_or_b32 exec_lo, exec_lo, s34
	s_and_saveexec_b32 s31, s13
	s_cbranch_execnz .LBB6_14663
	s_branch .LBB6_14664
.LBB6_15508:                            ;   in Loop: Header=BB6_14474 Depth=3
	s_mov_b32 s13, -1
	s_mov_b32 s35, exec_lo
                                        ; implicit-def: $sgpr31
	v_cmpx_eq_u16_e32 0x80, v92
; %bb.15509:                            ;   in Loop: Header=BB6_14474 Depth=3
	s_mov_b32 s31, 0x7f800001
	s_xor_b32 s13, exec_lo, -1
; %bb.15510:                            ;   in Loop: Header=BB6_14474 Depth=3
	s_or_b32 exec_lo, exec_lo, s35
	s_delay_alu instid0(SALU_CYCLE_1)
	s_and_b32 s13, s13, exec_lo
                                        ; implicit-def: $vgpr92
	s_or_saveexec_b32 s34, s34
	v_mov_b32_e32 v90, s31
	s_xor_b32 exec_lo, exec_lo, s34
	s_cbranch_execz .LBB6_14666
.LBB6_15511:                            ;   in Loop: Header=BB6_14474 Depth=3
	v_cmp_ne_u16_e32 vcc_lo, 0, v92
	v_mov_b32_e32 v90, 0
	s_and_not1_b32 s13, s13, exec_lo
	s_and_b32 vcc_lo, vcc_lo, exec_lo
	s_delay_alu instid0(SALU_CYCLE_1)
	s_or_b32 s13, s13, vcc_lo
	s_or_b32 exec_lo, exec_lo, s34
	s_and_saveexec_b32 s31, s13
	s_cbranch_execnz .LBB6_14667
	s_branch .LBB6_14668
.LBB6_15512:                            ;   in Loop: Header=BB6_14474 Depth=3
	s_mov_b32 s13, -1
	s_mov_b32 s35, exec_lo
                                        ; implicit-def: $sgpr31
	v_cmpx_eq_u16_e32 0x80, v91
; %bb.15513:                            ;   in Loop: Header=BB6_14474 Depth=3
	s_mov_b32 s31, 0x7f800001
	s_xor_b32 s13, exec_lo, -1
; %bb.15514:                            ;   in Loop: Header=BB6_14474 Depth=3
	s_or_b32 exec_lo, exec_lo, s35
	s_delay_alu instid0(SALU_CYCLE_1)
	s_and_b32 s13, s13, exec_lo
                                        ; implicit-def: $vgpr91
	s_or_saveexec_b32 s34, s34
	v_mov_b32_e32 v90, s31
	s_xor_b32 exec_lo, exec_lo, s34
	s_cbranch_execz .LBB6_14680
.LBB6_15515:                            ;   in Loop: Header=BB6_14474 Depth=3
	v_cmp_ne_u16_e32 vcc_lo, 0, v91
	v_mov_b32_e32 v90, 0
	s_and_not1_b32 s13, s13, exec_lo
	s_and_b32 vcc_lo, vcc_lo, exec_lo
	s_delay_alu instid0(SALU_CYCLE_1)
	s_or_b32 s13, s13, vcc_lo
	s_or_b32 exec_lo, exec_lo, s34
	s_and_saveexec_b32 s31, s13
	s_cbranch_execnz .LBB6_14681
	s_branch .LBB6_14682
.LBB6_15516:                            ;   in Loop: Header=BB6_14474 Depth=3
	s_mov_b32 s13, -1
	s_mov_b32 s35, exec_lo
                                        ; implicit-def: $sgpr31
	v_cmpx_eq_u16_e32 0x80, v92
; %bb.15517:                            ;   in Loop: Header=BB6_14474 Depth=3
	s_mov_b32 s31, 0x7f800001
	s_xor_b32 s13, exec_lo, -1
; %bb.15518:                            ;   in Loop: Header=BB6_14474 Depth=3
	s_or_b32 exec_lo, exec_lo, s35
	s_delay_alu instid0(SALU_CYCLE_1)
	s_and_b32 s13, s13, exec_lo
                                        ; implicit-def: $vgpr92
	s_or_saveexec_b32 s34, s34
	v_mov_b32_e32 v91, s31
	s_xor_b32 exec_lo, exec_lo, s34
	s_cbranch_execz .LBB6_14684
.LBB6_15519:                            ;   in Loop: Header=BB6_14474 Depth=3
	v_cmp_ne_u16_e32 vcc_lo, 0, v92
	v_mov_b32_e32 v91, 0
	s_and_not1_b32 s13, s13, exec_lo
	s_and_b32 vcc_lo, vcc_lo, exec_lo
	s_delay_alu instid0(SALU_CYCLE_1)
	s_or_b32 s13, s13, vcc_lo
	s_or_b32 exec_lo, exec_lo, s34
	s_and_saveexec_b32 s31, s13
	s_cbranch_execnz .LBB6_14685
	s_branch .LBB6_14686
.LBB6_15520:                            ;   in Loop: Header=BB6_14474 Depth=3
	s_mov_b32 s13, -1
	s_mov_b32 s35, exec_lo
                                        ; implicit-def: $sgpr31
	v_cmpx_eq_u16_e32 0x80, v91
; %bb.15521:                            ;   in Loop: Header=BB6_14474 Depth=3
	s_mov_b32 s31, 0x7f800001
	s_xor_b32 s13, exec_lo, -1
; %bb.15522:                            ;   in Loop: Header=BB6_14474 Depth=3
	s_or_b32 exec_lo, exec_lo, s35
	s_delay_alu instid0(SALU_CYCLE_1)
	s_and_b32 s13, s13, exec_lo
                                        ; implicit-def: $vgpr91
	s_or_saveexec_b32 s34, s34
	v_mov_b32_e32 v90, s31
	s_xor_b32 exec_lo, exec_lo, s34
	s_cbranch_execz .LBB6_14691
.LBB6_15523:                            ;   in Loop: Header=BB6_14474 Depth=3
	v_cmp_ne_u16_e32 vcc_lo, 0, v91
	v_mov_b32_e32 v90, 0
	s_and_not1_b32 s13, s13, exec_lo
	s_and_b32 vcc_lo, vcc_lo, exec_lo
	s_delay_alu instid0(SALU_CYCLE_1)
	s_or_b32 s13, s13, vcc_lo
	s_or_b32 exec_lo, exec_lo, s34
	s_and_saveexec_b32 s31, s13
	s_cbranch_execnz .LBB6_14692
	s_branch .LBB6_14693
.LBB6_15524:                            ;   in Loop: Header=BB6_14474 Depth=3
	s_mov_b32 s13, -1
	s_mov_b32 s35, exec_lo
                                        ; implicit-def: $sgpr31
	v_cmpx_eq_u16_e32 0x80, v91
; %bb.15525:                            ;   in Loop: Header=BB6_14474 Depth=3
	s_mov_b32 s31, 0x7f800001
	s_xor_b32 s13, exec_lo, -1
; %bb.15526:                            ;   in Loop: Header=BB6_14474 Depth=3
	s_or_b32 exec_lo, exec_lo, s35
	s_delay_alu instid0(SALU_CYCLE_1)
	s_and_b32 s13, s13, exec_lo
                                        ; implicit-def: $vgpr91
	s_or_saveexec_b32 s34, s34
	v_mov_b32_e32 v89, s31
	s_xor_b32 exec_lo, exec_lo, s34
	s_cbranch_execz .LBB6_14695
.LBB6_15527:                            ;   in Loop: Header=BB6_14474 Depth=3
	v_cmp_ne_u16_e32 vcc_lo, 0, v91
	v_mov_b32_e32 v89, 0
	s_and_not1_b32 s13, s13, exec_lo
	s_and_b32 vcc_lo, vcc_lo, exec_lo
	s_delay_alu instid0(SALU_CYCLE_1)
	s_or_b32 s13, s13, vcc_lo
	s_or_b32 exec_lo, exec_lo, s34
	s_and_saveexec_b32 s31, s13
	s_cbranch_execnz .LBB6_14696
	s_branch .LBB6_14697
.LBB6_15528:                            ;   in Loop: Header=BB6_14474 Depth=3
	s_mov_b32 s13, -1
	s_mov_b32 s35, exec_lo
                                        ; implicit-def: $sgpr31
	v_cmpx_eq_u16_e32 0x80, v90
; %bb.15529:                            ;   in Loop: Header=BB6_14474 Depth=3
	s_mov_b32 s31, 0x7f800001
	s_xor_b32 s13, exec_lo, -1
; %bb.15530:                            ;   in Loop: Header=BB6_14474 Depth=3
	s_or_b32 exec_lo, exec_lo, s35
	s_delay_alu instid0(SALU_CYCLE_1)
	s_and_b32 s13, s13, exec_lo
                                        ; implicit-def: $vgpr90
	s_or_saveexec_b32 s34, s34
	v_mov_b32_e32 v89, s31
	s_xor_b32 exec_lo, exec_lo, s34
	s_cbranch_execz .LBB6_14709
.LBB6_15531:                            ;   in Loop: Header=BB6_14474 Depth=3
	v_cmp_ne_u16_e32 vcc_lo, 0, v90
	v_mov_b32_e32 v89, 0
	s_and_not1_b32 s13, s13, exec_lo
	s_and_b32 vcc_lo, vcc_lo, exec_lo
	s_delay_alu instid0(SALU_CYCLE_1)
	s_or_b32 s13, s13, vcc_lo
	s_or_b32 exec_lo, exec_lo, s34
	s_and_saveexec_b32 s31, s13
	s_cbranch_execnz .LBB6_14710
	s_branch .LBB6_14711
.LBB6_15532:                            ;   in Loop: Header=BB6_14474 Depth=3
	s_mov_b32 s13, -1
	s_mov_b32 s35, exec_lo
                                        ; implicit-def: $sgpr31
	v_cmpx_eq_u16_e32 0x80, v91
; %bb.15533:                            ;   in Loop: Header=BB6_14474 Depth=3
	s_mov_b32 s31, 0x7f800001
	s_xor_b32 s13, exec_lo, -1
; %bb.15534:                            ;   in Loop: Header=BB6_14474 Depth=3
	s_or_b32 exec_lo, exec_lo, s35
	s_delay_alu instid0(SALU_CYCLE_1)
	s_and_b32 s13, s13, exec_lo
                                        ; implicit-def: $vgpr91
	s_or_saveexec_b32 s34, s34
	v_mov_b32_e32 v90, s31
	s_xor_b32 exec_lo, exec_lo, s34
	s_cbranch_execz .LBB6_14713
.LBB6_15535:                            ;   in Loop: Header=BB6_14474 Depth=3
	v_cmp_ne_u16_e32 vcc_lo, 0, v91
	v_mov_b32_e32 v90, 0
	s_and_not1_b32 s13, s13, exec_lo
	s_and_b32 vcc_lo, vcc_lo, exec_lo
	s_delay_alu instid0(SALU_CYCLE_1)
	s_or_b32 s13, s13, vcc_lo
	s_or_b32 exec_lo, exec_lo, s34
	s_and_saveexec_b32 s31, s13
	s_cbranch_execnz .LBB6_14714
	s_branch .LBB6_14715
.LBB6_15536:                            ;   in Loop: Header=BB6_14474 Depth=3
	s_mov_b32 s13, -1
	s_mov_b32 s35, exec_lo
                                        ; implicit-def: $sgpr31
	v_cmpx_eq_u16_e32 0x80, v90
; %bb.15537:                            ;   in Loop: Header=BB6_14474 Depth=3
	s_mov_b32 s31, 0x7f800001
	s_xor_b32 s13, exec_lo, -1
; %bb.15538:                            ;   in Loop: Header=BB6_14474 Depth=3
	s_or_b32 exec_lo, exec_lo, s35
	s_delay_alu instid0(SALU_CYCLE_1)
	s_and_b32 s13, s13, exec_lo
                                        ; implicit-def: $vgpr90
	s_or_saveexec_b32 s34, s34
	v_mov_b32_e32 v89, s31
	s_xor_b32 exec_lo, exec_lo, s34
	s_cbranch_execz .LBB6_14720
.LBB6_15539:                            ;   in Loop: Header=BB6_14474 Depth=3
	v_cmp_ne_u16_e32 vcc_lo, 0, v90
	v_mov_b32_e32 v89, 0
	s_and_not1_b32 s13, s13, exec_lo
	s_and_b32 vcc_lo, vcc_lo, exec_lo
	s_delay_alu instid0(SALU_CYCLE_1)
	s_or_b32 s13, s13, vcc_lo
	s_or_b32 exec_lo, exec_lo, s34
	s_and_saveexec_b32 s31, s13
	s_cbranch_execnz .LBB6_14721
	s_branch .LBB6_14722
.LBB6_15540:                            ;   in Loop: Header=BB6_14474 Depth=3
	s_mov_b32 s13, -1
	s_mov_b32 s35, exec_lo
                                        ; implicit-def: $sgpr31
	v_cmpx_eq_u16_e32 0x80, v90
; %bb.15541:                            ;   in Loop: Header=BB6_14474 Depth=3
	s_mov_b32 s31, 0x7f800001
	s_xor_b32 s13, exec_lo, -1
; %bb.15542:                            ;   in Loop: Header=BB6_14474 Depth=3
	s_or_b32 exec_lo, exec_lo, s35
	s_delay_alu instid0(SALU_CYCLE_1)
	s_and_b32 s13, s13, exec_lo
                                        ; implicit-def: $vgpr90
	s_or_saveexec_b32 s34, s34
	v_mov_b32_e32 v88, s31
	s_xor_b32 exec_lo, exec_lo, s34
	s_cbranch_execz .LBB6_14724
.LBB6_15543:                            ;   in Loop: Header=BB6_14474 Depth=3
	v_cmp_ne_u16_e32 vcc_lo, 0, v90
	v_mov_b32_e32 v88, 0
	s_and_not1_b32 s13, s13, exec_lo
	s_and_b32 vcc_lo, vcc_lo, exec_lo
	s_delay_alu instid0(SALU_CYCLE_1)
	s_or_b32 s13, s13, vcc_lo
	s_or_b32 exec_lo, exec_lo, s34
	s_and_saveexec_b32 s31, s13
	s_cbranch_execnz .LBB6_14725
	s_branch .LBB6_14726
.LBB6_15544:                            ;   in Loop: Header=BB6_14474 Depth=3
	s_mov_b32 s13, -1
	s_mov_b32 s35, exec_lo
                                        ; implicit-def: $sgpr31
	v_cmpx_eq_u16_e32 0x80, v89
; %bb.15545:                            ;   in Loop: Header=BB6_14474 Depth=3
	s_mov_b32 s31, 0x7f800001
	s_xor_b32 s13, exec_lo, -1
; %bb.15546:                            ;   in Loop: Header=BB6_14474 Depth=3
	s_or_b32 exec_lo, exec_lo, s35
	s_delay_alu instid0(SALU_CYCLE_1)
	s_and_b32 s13, s13, exec_lo
                                        ; implicit-def: $vgpr89
	s_or_saveexec_b32 s34, s34
	v_mov_b32_e32 v88, s31
	s_xor_b32 exec_lo, exec_lo, s34
	s_cbranch_execz .LBB6_14738
.LBB6_15547:                            ;   in Loop: Header=BB6_14474 Depth=3
	v_cmp_ne_u16_e32 vcc_lo, 0, v89
	v_mov_b32_e32 v88, 0
	s_and_not1_b32 s13, s13, exec_lo
	s_and_b32 vcc_lo, vcc_lo, exec_lo
	s_delay_alu instid0(SALU_CYCLE_1)
	s_or_b32 s13, s13, vcc_lo
	s_or_b32 exec_lo, exec_lo, s34
	s_and_saveexec_b32 s31, s13
	s_cbranch_execnz .LBB6_14739
	s_branch .LBB6_14740
.LBB6_15548:                            ;   in Loop: Header=BB6_14474 Depth=3
	s_mov_b32 s13, -1
	s_mov_b32 s35, exec_lo
                                        ; implicit-def: $sgpr31
	v_cmpx_eq_u16_e32 0x80, v90
; %bb.15549:                            ;   in Loop: Header=BB6_14474 Depth=3
	s_mov_b32 s31, 0x7f800001
	s_xor_b32 s13, exec_lo, -1
; %bb.15550:                            ;   in Loop: Header=BB6_14474 Depth=3
	s_or_b32 exec_lo, exec_lo, s35
	s_delay_alu instid0(SALU_CYCLE_1)
	s_and_b32 s13, s13, exec_lo
                                        ; implicit-def: $vgpr90
	s_or_saveexec_b32 s34, s34
	v_mov_b32_e32 v89, s31
	s_xor_b32 exec_lo, exec_lo, s34
	s_cbranch_execz .LBB6_14742
.LBB6_15551:                            ;   in Loop: Header=BB6_14474 Depth=3
	v_cmp_ne_u16_e32 vcc_lo, 0, v90
	v_mov_b32_e32 v89, 0
	s_and_not1_b32 s13, s13, exec_lo
	s_and_b32 vcc_lo, vcc_lo, exec_lo
	s_delay_alu instid0(SALU_CYCLE_1)
	s_or_b32 s13, s13, vcc_lo
	s_or_b32 exec_lo, exec_lo, s34
	s_and_saveexec_b32 s31, s13
	s_cbranch_execnz .LBB6_14743
	s_branch .LBB6_14744
.LBB6_15552:                            ;   in Loop: Header=BB6_14474 Depth=3
	s_mov_b32 s13, -1
	s_mov_b32 s35, exec_lo
                                        ; implicit-def: $sgpr31
	v_cmpx_eq_u16_e32 0x80, v89
; %bb.15553:                            ;   in Loop: Header=BB6_14474 Depth=3
	s_mov_b32 s31, 0x7f800001
	s_xor_b32 s13, exec_lo, -1
; %bb.15554:                            ;   in Loop: Header=BB6_14474 Depth=3
	s_or_b32 exec_lo, exec_lo, s35
	s_delay_alu instid0(SALU_CYCLE_1)
	s_and_b32 s13, s13, exec_lo
                                        ; implicit-def: $vgpr89
	s_or_saveexec_b32 s34, s34
	v_mov_b32_e32 v88, s31
	s_xor_b32 exec_lo, exec_lo, s34
	s_cbranch_execz .LBB6_14749
.LBB6_15555:                            ;   in Loop: Header=BB6_14474 Depth=3
	v_cmp_ne_u16_e32 vcc_lo, 0, v89
	v_mov_b32_e32 v88, 0
	s_and_not1_b32 s13, s13, exec_lo
	s_and_b32 vcc_lo, vcc_lo, exec_lo
	s_delay_alu instid0(SALU_CYCLE_1)
	s_or_b32 s13, s13, vcc_lo
	s_or_b32 exec_lo, exec_lo, s34
	s_and_saveexec_b32 s31, s13
	s_cbranch_execnz .LBB6_14750
	s_branch .LBB6_14751
.LBB6_15556:                            ;   in Loop: Header=BB6_14474 Depth=3
	s_mov_b32 s13, -1
	s_mov_b32 s35, exec_lo
                                        ; implicit-def: $sgpr31
	v_cmpx_eq_u16_e32 0x80, v89
; %bb.15557:                            ;   in Loop: Header=BB6_14474 Depth=3
	s_mov_b32 s31, 0x7f800001
	s_xor_b32 s13, exec_lo, -1
; %bb.15558:                            ;   in Loop: Header=BB6_14474 Depth=3
	s_or_b32 exec_lo, exec_lo, s35
	s_delay_alu instid0(SALU_CYCLE_1)
	s_and_b32 s13, s13, exec_lo
                                        ; implicit-def: $vgpr89
	s_or_saveexec_b32 s34, s34
	v_mov_b32_e32 v79, s31
	s_xor_b32 exec_lo, exec_lo, s34
	s_cbranch_execz .LBB6_14753
.LBB6_15559:                            ;   in Loop: Header=BB6_14474 Depth=3
	v_cmp_ne_u16_e32 vcc_lo, 0, v89
	v_mov_b32_e32 v79, 0
	s_and_not1_b32 s13, s13, exec_lo
	s_and_b32 vcc_lo, vcc_lo, exec_lo
	s_delay_alu instid0(SALU_CYCLE_1)
	s_or_b32 s13, s13, vcc_lo
	s_or_b32 exec_lo, exec_lo, s34
	s_and_saveexec_b32 s31, s13
	s_cbranch_execnz .LBB6_14754
	s_branch .LBB6_14755
.LBB6_15560:                            ;   in Loop: Header=BB6_14474 Depth=3
	s_mov_b32 s13, -1
	s_mov_b32 s35, exec_lo
                                        ; implicit-def: $sgpr31
	v_cmpx_eq_u16_e32 0x80, v88
; %bb.15561:                            ;   in Loop: Header=BB6_14474 Depth=3
	s_mov_b32 s31, 0x7f800001
	s_xor_b32 s13, exec_lo, -1
; %bb.15562:                            ;   in Loop: Header=BB6_14474 Depth=3
	s_or_b32 exec_lo, exec_lo, s35
	s_delay_alu instid0(SALU_CYCLE_1)
	s_and_b32 s13, s13, exec_lo
                                        ; implicit-def: $vgpr88
	s_or_saveexec_b32 s34, s34
	v_mov_b32_e32 v79, s31
	s_xor_b32 exec_lo, exec_lo, s34
	s_cbranch_execz .LBB6_14767
.LBB6_15563:                            ;   in Loop: Header=BB6_14474 Depth=3
	v_cmp_ne_u16_e32 vcc_lo, 0, v88
	v_mov_b32_e32 v79, 0
	s_and_not1_b32 s13, s13, exec_lo
	s_and_b32 vcc_lo, vcc_lo, exec_lo
	s_delay_alu instid0(SALU_CYCLE_1)
	s_or_b32 s13, s13, vcc_lo
	s_or_b32 exec_lo, exec_lo, s34
	s_and_saveexec_b32 s31, s13
	s_cbranch_execnz .LBB6_14768
	s_branch .LBB6_14769
.LBB6_15564:                            ;   in Loop: Header=BB6_14474 Depth=3
	s_mov_b32 s13, -1
	s_mov_b32 s35, exec_lo
                                        ; implicit-def: $sgpr31
	v_cmpx_eq_u16_e32 0x80, v89
; %bb.15565:                            ;   in Loop: Header=BB6_14474 Depth=3
	s_mov_b32 s31, 0x7f800001
	s_xor_b32 s13, exec_lo, -1
; %bb.15566:                            ;   in Loop: Header=BB6_14474 Depth=3
	s_or_b32 exec_lo, exec_lo, s35
	s_delay_alu instid0(SALU_CYCLE_1)
	s_and_b32 s13, s13, exec_lo
                                        ; implicit-def: $vgpr89
	s_or_saveexec_b32 s34, s34
	v_mov_b32_e32 v88, s31
	s_xor_b32 exec_lo, exec_lo, s34
	s_cbranch_execz .LBB6_14771
.LBB6_15567:                            ;   in Loop: Header=BB6_14474 Depth=3
	v_cmp_ne_u16_e32 vcc_lo, 0, v89
	v_mov_b32_e32 v88, 0
	s_and_not1_b32 s13, s13, exec_lo
	s_and_b32 vcc_lo, vcc_lo, exec_lo
	s_delay_alu instid0(SALU_CYCLE_1)
	s_or_b32 s13, s13, vcc_lo
	s_or_b32 exec_lo, exec_lo, s34
	s_and_saveexec_b32 s31, s13
	s_cbranch_execnz .LBB6_14772
	s_branch .LBB6_14773
.LBB6_15568:                            ;   in Loop: Header=BB6_14474 Depth=3
	s_mov_b32 s13, -1
	s_mov_b32 s35, exec_lo
                                        ; implicit-def: $sgpr31
	v_cmpx_eq_u16_e32 0x80, v88
; %bb.15569:                            ;   in Loop: Header=BB6_14474 Depth=3
	s_mov_b32 s31, 0x7f800001
	s_xor_b32 s13, exec_lo, -1
; %bb.15570:                            ;   in Loop: Header=BB6_14474 Depth=3
	s_or_b32 exec_lo, exec_lo, s35
	s_delay_alu instid0(SALU_CYCLE_1)
	s_and_b32 s13, s13, exec_lo
                                        ; implicit-def: $vgpr88
	s_or_saveexec_b32 s34, s34
	v_mov_b32_e32 v79, s31
	s_xor_b32 exec_lo, exec_lo, s34
	s_cbranch_execz .LBB6_14778
.LBB6_15571:                            ;   in Loop: Header=BB6_14474 Depth=3
	v_cmp_ne_u16_e32 vcc_lo, 0, v88
	v_mov_b32_e32 v79, 0
	s_and_not1_b32 s13, s13, exec_lo
	s_and_b32 vcc_lo, vcc_lo, exec_lo
	s_delay_alu instid0(SALU_CYCLE_1)
	s_or_b32 s13, s13, vcc_lo
	s_or_b32 exec_lo, exec_lo, s34
	s_and_saveexec_b32 s31, s13
	s_cbranch_execnz .LBB6_14779
	s_branch .LBB6_14780
.LBB6_15572:                            ;   in Loop: Header=BB6_14474 Depth=3
	s_mov_b32 s13, -1
	s_mov_b32 s35, exec_lo
                                        ; implicit-def: $sgpr31
	v_cmpx_eq_u16_e32 0x80, v88
; %bb.15573:                            ;   in Loop: Header=BB6_14474 Depth=3
	s_mov_b32 s31, 0x7f800001
	s_xor_b32 s13, exec_lo, -1
; %bb.15574:                            ;   in Loop: Header=BB6_14474 Depth=3
	s_or_b32 exec_lo, exec_lo, s35
	s_delay_alu instid0(SALU_CYCLE_1)
	s_and_b32 s13, s13, exec_lo
                                        ; implicit-def: $vgpr88
	s_or_saveexec_b32 s34, s34
	v_mov_b32_e32 v78, s31
	s_xor_b32 exec_lo, exec_lo, s34
	s_cbranch_execz .LBB6_14782
.LBB6_15575:                            ;   in Loop: Header=BB6_14474 Depth=3
	v_cmp_ne_u16_e32 vcc_lo, 0, v88
	v_mov_b32_e32 v78, 0
	s_and_not1_b32 s13, s13, exec_lo
	s_and_b32 vcc_lo, vcc_lo, exec_lo
	s_delay_alu instid0(SALU_CYCLE_1)
	s_or_b32 s13, s13, vcc_lo
	s_or_b32 exec_lo, exec_lo, s34
	s_and_saveexec_b32 s31, s13
	s_cbranch_execnz .LBB6_14783
	s_branch .LBB6_14784
.LBB6_15576:                            ;   in Loop: Header=BB6_14474 Depth=3
	s_mov_b32 s13, -1
	s_mov_b32 s35, exec_lo
                                        ; implicit-def: $sgpr31
	v_cmpx_eq_u16_e32 0x80, v79
; %bb.15577:                            ;   in Loop: Header=BB6_14474 Depth=3
	s_mov_b32 s31, 0x7f800001
	s_xor_b32 s13, exec_lo, -1
; %bb.15578:                            ;   in Loop: Header=BB6_14474 Depth=3
	s_or_b32 exec_lo, exec_lo, s35
	s_delay_alu instid0(SALU_CYCLE_1)
	s_and_b32 s13, s13, exec_lo
                                        ; implicit-def: $vgpr79
	s_or_saveexec_b32 s34, s34
	v_mov_b32_e32 v78, s31
	s_xor_b32 exec_lo, exec_lo, s34
	s_cbranch_execz .LBB6_14796
.LBB6_15579:                            ;   in Loop: Header=BB6_14474 Depth=3
	v_cmp_ne_u16_e32 vcc_lo, 0, v79
	v_mov_b32_e32 v78, 0
	s_and_not1_b32 s13, s13, exec_lo
	s_and_b32 vcc_lo, vcc_lo, exec_lo
	s_delay_alu instid0(SALU_CYCLE_1)
	s_or_b32 s13, s13, vcc_lo
	s_or_b32 exec_lo, exec_lo, s34
	s_and_saveexec_b32 s31, s13
	s_cbranch_execnz .LBB6_14797
	s_branch .LBB6_14798
.LBB6_15580:                            ;   in Loop: Header=BB6_14474 Depth=3
	s_mov_b32 s13, -1
	s_mov_b32 s35, exec_lo
                                        ; implicit-def: $sgpr31
	v_cmpx_eq_u16_e32 0x80, v88
; %bb.15581:                            ;   in Loop: Header=BB6_14474 Depth=3
	s_mov_b32 s31, 0x7f800001
	s_xor_b32 s13, exec_lo, -1
; %bb.15582:                            ;   in Loop: Header=BB6_14474 Depth=3
	s_or_b32 exec_lo, exec_lo, s35
	s_delay_alu instid0(SALU_CYCLE_1)
	s_and_b32 s13, s13, exec_lo
                                        ; implicit-def: $vgpr88
	s_or_saveexec_b32 s34, s34
	v_mov_b32_e32 v79, s31
	s_xor_b32 exec_lo, exec_lo, s34
	s_cbranch_execz .LBB6_14800
.LBB6_15583:                            ;   in Loop: Header=BB6_14474 Depth=3
	v_cmp_ne_u16_e32 vcc_lo, 0, v88
	v_mov_b32_e32 v79, 0
	s_and_not1_b32 s13, s13, exec_lo
	s_and_b32 vcc_lo, vcc_lo, exec_lo
	s_delay_alu instid0(SALU_CYCLE_1)
	s_or_b32 s13, s13, vcc_lo
	s_or_b32 exec_lo, exec_lo, s34
	s_and_saveexec_b32 s31, s13
	s_cbranch_execnz .LBB6_14801
	s_branch .LBB6_14802
.LBB6_15584:                            ;   in Loop: Header=BB6_14474 Depth=3
	s_mov_b32 s13, -1
	s_mov_b32 s35, exec_lo
                                        ; implicit-def: $sgpr31
	v_cmpx_eq_u16_e32 0x80, v79
; %bb.15585:                            ;   in Loop: Header=BB6_14474 Depth=3
	s_mov_b32 s31, 0x7f800001
	s_xor_b32 s13, exec_lo, -1
; %bb.15586:                            ;   in Loop: Header=BB6_14474 Depth=3
	s_or_b32 exec_lo, exec_lo, s35
	s_delay_alu instid0(SALU_CYCLE_1)
	s_and_b32 s13, s13, exec_lo
                                        ; implicit-def: $vgpr79
	s_or_saveexec_b32 s34, s34
	v_mov_b32_e32 v78, s31
	s_xor_b32 exec_lo, exec_lo, s34
	s_cbranch_execz .LBB6_14807
.LBB6_15587:                            ;   in Loop: Header=BB6_14474 Depth=3
	v_cmp_ne_u16_e32 vcc_lo, 0, v79
	v_mov_b32_e32 v78, 0
	s_and_not1_b32 s13, s13, exec_lo
	s_and_b32 vcc_lo, vcc_lo, exec_lo
	s_delay_alu instid0(SALU_CYCLE_1)
	s_or_b32 s13, s13, vcc_lo
	s_or_b32 exec_lo, exec_lo, s34
	s_and_saveexec_b32 s31, s13
	s_cbranch_execnz .LBB6_14808
	s_branch .LBB6_14809
.LBB6_15588:                            ;   in Loop: Header=BB6_14474 Depth=3
	s_mov_b32 s13, -1
	s_mov_b32 s35, exec_lo
                                        ; implicit-def: $sgpr31
	v_cmpx_eq_u16_e32 0x80, v79
; %bb.15589:                            ;   in Loop: Header=BB6_14474 Depth=3
	s_mov_b32 s31, 0x7f800001
	s_xor_b32 s13, exec_lo, -1
; %bb.15590:                            ;   in Loop: Header=BB6_14474 Depth=3
	s_or_b32 exec_lo, exec_lo, s35
	s_delay_alu instid0(SALU_CYCLE_1)
	s_and_b32 s13, s13, exec_lo
                                        ; implicit-def: $vgpr79
	s_or_saveexec_b32 s34, s34
	v_mov_b32_e32 v77, s31
	s_xor_b32 exec_lo, exec_lo, s34
	s_cbranch_execz .LBB6_14811
.LBB6_15591:                            ;   in Loop: Header=BB6_14474 Depth=3
	v_cmp_ne_u16_e32 vcc_lo, 0, v79
	v_mov_b32_e32 v77, 0
	s_and_not1_b32 s13, s13, exec_lo
	s_and_b32 vcc_lo, vcc_lo, exec_lo
	s_delay_alu instid0(SALU_CYCLE_1)
	s_or_b32 s13, s13, vcc_lo
	s_or_b32 exec_lo, exec_lo, s34
	s_and_saveexec_b32 s31, s13
	s_cbranch_execnz .LBB6_14812
	s_branch .LBB6_14813
.LBB6_15592:                            ;   in Loop: Header=BB6_14474 Depth=3
	s_mov_b32 s13, -1
	s_mov_b32 s35, exec_lo
                                        ; implicit-def: $sgpr31
	v_cmpx_eq_u16_e32 0x80, v78
; %bb.15593:                            ;   in Loop: Header=BB6_14474 Depth=3
	s_mov_b32 s31, 0x7f800001
	s_xor_b32 s13, exec_lo, -1
; %bb.15594:                            ;   in Loop: Header=BB6_14474 Depth=3
	s_or_b32 exec_lo, exec_lo, s35
	s_delay_alu instid0(SALU_CYCLE_1)
	s_and_b32 s13, s13, exec_lo
                                        ; implicit-def: $vgpr78
	s_or_saveexec_b32 s34, s34
	v_mov_b32_e32 v77, s31
	s_xor_b32 exec_lo, exec_lo, s34
	s_cbranch_execz .LBB6_14825
.LBB6_15595:                            ;   in Loop: Header=BB6_14474 Depth=3
	v_cmp_ne_u16_e32 vcc_lo, 0, v78
	v_mov_b32_e32 v77, 0
	s_and_not1_b32 s13, s13, exec_lo
	s_and_b32 vcc_lo, vcc_lo, exec_lo
	s_delay_alu instid0(SALU_CYCLE_1)
	s_or_b32 s13, s13, vcc_lo
	s_or_b32 exec_lo, exec_lo, s34
	s_and_saveexec_b32 s31, s13
	s_cbranch_execnz .LBB6_14826
	s_branch .LBB6_14827
.LBB6_15596:                            ;   in Loop: Header=BB6_14474 Depth=3
	s_mov_b32 s13, -1
	s_mov_b32 s35, exec_lo
                                        ; implicit-def: $sgpr31
	v_cmpx_eq_u16_e32 0x80, v79
; %bb.15597:                            ;   in Loop: Header=BB6_14474 Depth=3
	s_mov_b32 s31, 0x7f800001
	s_xor_b32 s13, exec_lo, -1
; %bb.15598:                            ;   in Loop: Header=BB6_14474 Depth=3
	s_or_b32 exec_lo, exec_lo, s35
	s_delay_alu instid0(SALU_CYCLE_1)
	s_and_b32 s13, s13, exec_lo
                                        ; implicit-def: $vgpr79
	s_or_saveexec_b32 s34, s34
	v_mov_b32_e32 v78, s31
	s_xor_b32 exec_lo, exec_lo, s34
	s_cbranch_execz .LBB6_14829
.LBB6_15599:                            ;   in Loop: Header=BB6_14474 Depth=3
	v_cmp_ne_u16_e32 vcc_lo, 0, v79
	v_mov_b32_e32 v78, 0
	s_and_not1_b32 s13, s13, exec_lo
	s_and_b32 vcc_lo, vcc_lo, exec_lo
	s_delay_alu instid0(SALU_CYCLE_1)
	s_or_b32 s13, s13, vcc_lo
	s_or_b32 exec_lo, exec_lo, s34
	s_and_saveexec_b32 s31, s13
	s_cbranch_execnz .LBB6_14830
	s_branch .LBB6_14831
.LBB6_15600:                            ;   in Loop: Header=BB6_14474 Depth=3
	s_mov_b32 s13, -1
	s_mov_b32 s35, exec_lo
                                        ; implicit-def: $sgpr31
	v_cmpx_eq_u16_e32 0x80, v78
; %bb.15601:                            ;   in Loop: Header=BB6_14474 Depth=3
	s_mov_b32 s31, 0x7f800001
	s_xor_b32 s13, exec_lo, -1
; %bb.15602:                            ;   in Loop: Header=BB6_14474 Depth=3
	s_or_b32 exec_lo, exec_lo, s35
	s_delay_alu instid0(SALU_CYCLE_1)
	s_and_b32 s13, s13, exec_lo
                                        ; implicit-def: $vgpr78
	s_or_saveexec_b32 s34, s34
	v_mov_b32_e32 v77, s31
	s_xor_b32 exec_lo, exec_lo, s34
	s_cbranch_execz .LBB6_14836
.LBB6_15603:                            ;   in Loop: Header=BB6_14474 Depth=3
	v_cmp_ne_u16_e32 vcc_lo, 0, v78
	v_mov_b32_e32 v77, 0
	s_and_not1_b32 s13, s13, exec_lo
	s_and_b32 vcc_lo, vcc_lo, exec_lo
	s_delay_alu instid0(SALU_CYCLE_1)
	s_or_b32 s13, s13, vcc_lo
	s_or_b32 exec_lo, exec_lo, s34
	s_and_saveexec_b32 s31, s13
	s_cbranch_execnz .LBB6_14837
	s_branch .LBB6_14838
.LBB6_15604:                            ;   in Loop: Header=BB6_14474 Depth=3
	s_mov_b32 s13, -1
	s_mov_b32 s35, exec_lo
                                        ; implicit-def: $sgpr31
	v_cmpx_eq_u16_e32 0x80, v78
; %bb.15605:                            ;   in Loop: Header=BB6_14474 Depth=3
	s_mov_b32 s31, 0x7f800001
	s_xor_b32 s13, exec_lo, -1
; %bb.15606:                            ;   in Loop: Header=BB6_14474 Depth=3
	s_or_b32 exec_lo, exec_lo, s35
	s_delay_alu instid0(SALU_CYCLE_1)
	s_and_b32 s13, s13, exec_lo
                                        ; implicit-def: $vgpr78
	s_or_saveexec_b32 s34, s34
	v_mov_b32_e32 v76, s31
	s_xor_b32 exec_lo, exec_lo, s34
	s_cbranch_execz .LBB6_14840
.LBB6_15607:                            ;   in Loop: Header=BB6_14474 Depth=3
	v_cmp_ne_u16_e32 vcc_lo, 0, v78
	v_mov_b32_e32 v76, 0
	s_and_not1_b32 s13, s13, exec_lo
	s_and_b32 vcc_lo, vcc_lo, exec_lo
	s_delay_alu instid0(SALU_CYCLE_1)
	s_or_b32 s13, s13, vcc_lo
	s_or_b32 exec_lo, exec_lo, s34
	s_and_saveexec_b32 s31, s13
	s_cbranch_execnz .LBB6_14841
	s_branch .LBB6_14842
.LBB6_15608:                            ;   in Loop: Header=BB6_14474 Depth=3
	s_mov_b32 s13, -1
	s_mov_b32 s35, exec_lo
                                        ; implicit-def: $sgpr31
	v_cmpx_eq_u16_e32 0x80, v77
; %bb.15609:                            ;   in Loop: Header=BB6_14474 Depth=3
	s_mov_b32 s31, 0x7f800001
	s_xor_b32 s13, exec_lo, -1
; %bb.15610:                            ;   in Loop: Header=BB6_14474 Depth=3
	s_or_b32 exec_lo, exec_lo, s35
	s_delay_alu instid0(SALU_CYCLE_1)
	s_and_b32 s13, s13, exec_lo
                                        ; implicit-def: $vgpr77
	s_or_saveexec_b32 s34, s34
	v_mov_b32_e32 v76, s31
	s_xor_b32 exec_lo, exec_lo, s34
	s_cbranch_execz .LBB6_14854
.LBB6_15611:                            ;   in Loop: Header=BB6_14474 Depth=3
	v_cmp_ne_u16_e32 vcc_lo, 0, v77
	v_mov_b32_e32 v76, 0
	s_and_not1_b32 s13, s13, exec_lo
	s_and_b32 vcc_lo, vcc_lo, exec_lo
	s_delay_alu instid0(SALU_CYCLE_1)
	s_or_b32 s13, s13, vcc_lo
	s_or_b32 exec_lo, exec_lo, s34
	s_and_saveexec_b32 s31, s13
	s_cbranch_execnz .LBB6_14855
	s_branch .LBB6_14856
.LBB6_15612:                            ;   in Loop: Header=BB6_14474 Depth=3
	s_mov_b32 s13, -1
	s_mov_b32 s35, exec_lo
                                        ; implicit-def: $sgpr31
	v_cmpx_eq_u16_e32 0x80, v78
; %bb.15613:                            ;   in Loop: Header=BB6_14474 Depth=3
	s_mov_b32 s31, 0x7f800001
	s_xor_b32 s13, exec_lo, -1
; %bb.15614:                            ;   in Loop: Header=BB6_14474 Depth=3
	s_or_b32 exec_lo, exec_lo, s35
	s_delay_alu instid0(SALU_CYCLE_1)
	s_and_b32 s13, s13, exec_lo
                                        ; implicit-def: $vgpr78
	s_or_saveexec_b32 s34, s34
	v_mov_b32_e32 v77, s31
	s_xor_b32 exec_lo, exec_lo, s34
	s_cbranch_execz .LBB6_14858
.LBB6_15615:                            ;   in Loop: Header=BB6_14474 Depth=3
	v_cmp_ne_u16_e32 vcc_lo, 0, v78
	v_mov_b32_e32 v77, 0
	s_and_not1_b32 s13, s13, exec_lo
	s_and_b32 vcc_lo, vcc_lo, exec_lo
	s_delay_alu instid0(SALU_CYCLE_1)
	s_or_b32 s13, s13, vcc_lo
	s_or_b32 exec_lo, exec_lo, s34
	s_and_saveexec_b32 s31, s13
	s_cbranch_execnz .LBB6_14859
	s_branch .LBB6_14860
.LBB6_15616:                            ;   in Loop: Header=BB6_14474 Depth=3
	s_mov_b32 s13, -1
	s_mov_b32 s35, exec_lo
                                        ; implicit-def: $sgpr31
	v_cmpx_eq_u16_e32 0x80, v77
; %bb.15617:                            ;   in Loop: Header=BB6_14474 Depth=3
	s_mov_b32 s31, 0x7f800001
	s_xor_b32 s13, exec_lo, -1
; %bb.15618:                            ;   in Loop: Header=BB6_14474 Depth=3
	s_or_b32 exec_lo, exec_lo, s35
	s_delay_alu instid0(SALU_CYCLE_1)
	s_and_b32 s13, s13, exec_lo
                                        ; implicit-def: $vgpr77
	s_or_saveexec_b32 s34, s34
	v_mov_b32_e32 v76, s31
	s_xor_b32 exec_lo, exec_lo, s34
	s_cbranch_execz .LBB6_14865
.LBB6_15619:                            ;   in Loop: Header=BB6_14474 Depth=3
	v_cmp_ne_u16_e32 vcc_lo, 0, v77
	v_mov_b32_e32 v76, 0
	s_and_not1_b32 s13, s13, exec_lo
	s_and_b32 vcc_lo, vcc_lo, exec_lo
	s_delay_alu instid0(SALU_CYCLE_1)
	s_or_b32 s13, s13, vcc_lo
	s_or_b32 exec_lo, exec_lo, s34
	s_and_saveexec_b32 s31, s13
	s_cbranch_execnz .LBB6_14866
	s_branch .LBB6_14867
.LBB6_15620:                            ;   in Loop: Header=BB6_14474 Depth=3
	s_mov_b32 s13, -1
	s_mov_b32 s35, exec_lo
                                        ; implicit-def: $sgpr31
	v_cmpx_eq_u16_e32 0x80, v77
; %bb.15621:                            ;   in Loop: Header=BB6_14474 Depth=3
	s_mov_b32 s31, 0x7f800001
	s_xor_b32 s13, exec_lo, -1
; %bb.15622:                            ;   in Loop: Header=BB6_14474 Depth=3
	s_or_b32 exec_lo, exec_lo, s35
	s_delay_alu instid0(SALU_CYCLE_1)
	s_and_b32 s13, s13, exec_lo
                                        ; implicit-def: $vgpr77
	s_or_saveexec_b32 s34, s34
	v_mov_b32_e32 v75, s31
	s_xor_b32 exec_lo, exec_lo, s34
	s_cbranch_execz .LBB6_14869
.LBB6_15623:                            ;   in Loop: Header=BB6_14474 Depth=3
	v_cmp_ne_u16_e32 vcc_lo, 0, v77
	v_mov_b32_e32 v75, 0
	s_and_not1_b32 s13, s13, exec_lo
	s_and_b32 vcc_lo, vcc_lo, exec_lo
	s_delay_alu instid0(SALU_CYCLE_1)
	s_or_b32 s13, s13, vcc_lo
	s_or_b32 exec_lo, exec_lo, s34
	s_and_saveexec_b32 s31, s13
	s_cbranch_execnz .LBB6_14870
	s_branch .LBB6_14871
.LBB6_15624:                            ;   in Loop: Header=BB6_14474 Depth=3
	s_mov_b32 s13, -1
	s_mov_b32 s35, exec_lo
                                        ; implicit-def: $sgpr31
	v_cmpx_eq_u16_e32 0x80, v76
; %bb.15625:                            ;   in Loop: Header=BB6_14474 Depth=3
	s_mov_b32 s31, 0x7f800001
	s_xor_b32 s13, exec_lo, -1
; %bb.15626:                            ;   in Loop: Header=BB6_14474 Depth=3
	s_or_b32 exec_lo, exec_lo, s35
	s_delay_alu instid0(SALU_CYCLE_1)
	s_and_b32 s13, s13, exec_lo
                                        ; implicit-def: $vgpr76
	s_or_saveexec_b32 s34, s34
	v_mov_b32_e32 v75, s31
	s_xor_b32 exec_lo, exec_lo, s34
	s_cbranch_execz .LBB6_14883
.LBB6_15627:                            ;   in Loop: Header=BB6_14474 Depth=3
	v_cmp_ne_u16_e32 vcc_lo, 0, v76
	v_mov_b32_e32 v75, 0
	s_and_not1_b32 s13, s13, exec_lo
	s_and_b32 vcc_lo, vcc_lo, exec_lo
	s_delay_alu instid0(SALU_CYCLE_1)
	s_or_b32 s13, s13, vcc_lo
	s_or_b32 exec_lo, exec_lo, s34
	s_and_saveexec_b32 s31, s13
	s_cbranch_execnz .LBB6_14884
	s_branch .LBB6_14885
.LBB6_15628:                            ;   in Loop: Header=BB6_14474 Depth=3
	s_mov_b32 s13, -1
	s_mov_b32 s35, exec_lo
                                        ; implicit-def: $sgpr31
	v_cmpx_eq_u16_e32 0x80, v77
; %bb.15629:                            ;   in Loop: Header=BB6_14474 Depth=3
	s_mov_b32 s31, 0x7f800001
	s_xor_b32 s13, exec_lo, -1
; %bb.15630:                            ;   in Loop: Header=BB6_14474 Depth=3
	s_or_b32 exec_lo, exec_lo, s35
	s_delay_alu instid0(SALU_CYCLE_1)
	s_and_b32 s13, s13, exec_lo
                                        ; implicit-def: $vgpr77
	s_or_saveexec_b32 s34, s34
	v_mov_b32_e32 v76, s31
	s_xor_b32 exec_lo, exec_lo, s34
	s_cbranch_execz .LBB6_14887
.LBB6_15631:                            ;   in Loop: Header=BB6_14474 Depth=3
	v_cmp_ne_u16_e32 vcc_lo, 0, v77
	v_mov_b32_e32 v76, 0
	s_and_not1_b32 s13, s13, exec_lo
	s_and_b32 vcc_lo, vcc_lo, exec_lo
	s_delay_alu instid0(SALU_CYCLE_1)
	s_or_b32 s13, s13, vcc_lo
	s_or_b32 exec_lo, exec_lo, s34
	s_and_saveexec_b32 s31, s13
	s_cbranch_execnz .LBB6_14888
	s_branch .LBB6_14889
.LBB6_15632:                            ;   in Loop: Header=BB6_14474 Depth=3
	s_mov_b32 s13, -1
	s_mov_b32 s35, exec_lo
                                        ; implicit-def: $sgpr31
	v_cmpx_eq_u16_e32 0x80, v76
; %bb.15633:                            ;   in Loop: Header=BB6_14474 Depth=3
	s_mov_b32 s31, 0x7f800001
	s_xor_b32 s13, exec_lo, -1
; %bb.15634:                            ;   in Loop: Header=BB6_14474 Depth=3
	s_or_b32 exec_lo, exec_lo, s35
	s_delay_alu instid0(SALU_CYCLE_1)
	s_and_b32 s13, s13, exec_lo
                                        ; implicit-def: $vgpr76
	s_or_saveexec_b32 s34, s34
	v_mov_b32_e32 v75, s31
	s_xor_b32 exec_lo, exec_lo, s34
	s_cbranch_execz .LBB6_14894
.LBB6_15635:                            ;   in Loop: Header=BB6_14474 Depth=3
	v_cmp_ne_u16_e32 vcc_lo, 0, v76
	v_mov_b32_e32 v75, 0
	s_and_not1_b32 s13, s13, exec_lo
	s_and_b32 vcc_lo, vcc_lo, exec_lo
	s_delay_alu instid0(SALU_CYCLE_1)
	s_or_b32 s13, s13, vcc_lo
	s_or_b32 exec_lo, exec_lo, s34
	s_and_saveexec_b32 s31, s13
	s_cbranch_execnz .LBB6_14895
	s_branch .LBB6_14896
.LBB6_15636:                            ;   in Loop: Header=BB6_14474 Depth=3
	s_mov_b32 s13, -1
	s_mov_b32 s35, exec_lo
                                        ; implicit-def: $sgpr31
	v_cmpx_eq_u16_e32 0x80, v76
; %bb.15637:                            ;   in Loop: Header=BB6_14474 Depth=3
	s_mov_b32 s31, 0x7f800001
	s_xor_b32 s13, exec_lo, -1
; %bb.15638:                            ;   in Loop: Header=BB6_14474 Depth=3
	s_or_b32 exec_lo, exec_lo, s35
	s_delay_alu instid0(SALU_CYCLE_1)
	s_and_b32 s13, s13, exec_lo
                                        ; implicit-def: $vgpr76
	s_or_saveexec_b32 s34, s34
	v_mov_b32_e32 v74, s31
	s_xor_b32 exec_lo, exec_lo, s34
	s_cbranch_execz .LBB6_14898
.LBB6_15639:                            ;   in Loop: Header=BB6_14474 Depth=3
	v_cmp_ne_u16_e32 vcc_lo, 0, v76
	v_mov_b32_e32 v74, 0
	s_and_not1_b32 s13, s13, exec_lo
	s_and_b32 vcc_lo, vcc_lo, exec_lo
	s_delay_alu instid0(SALU_CYCLE_1)
	s_or_b32 s13, s13, vcc_lo
	s_or_b32 exec_lo, exec_lo, s34
	s_and_saveexec_b32 s31, s13
	s_cbranch_execnz .LBB6_14899
	s_branch .LBB6_14900
.LBB6_15640:                            ;   in Loop: Header=BB6_14474 Depth=3
	s_mov_b32 s13, -1
	s_mov_b32 s35, exec_lo
                                        ; implicit-def: $sgpr31
	v_cmpx_eq_u16_e32 0x80, v75
; %bb.15641:                            ;   in Loop: Header=BB6_14474 Depth=3
	s_mov_b32 s31, 0x7f800001
	s_xor_b32 s13, exec_lo, -1
; %bb.15642:                            ;   in Loop: Header=BB6_14474 Depth=3
	s_or_b32 exec_lo, exec_lo, s35
	s_delay_alu instid0(SALU_CYCLE_1)
	s_and_b32 s13, s13, exec_lo
                                        ; implicit-def: $vgpr75
	s_or_saveexec_b32 s34, s34
	v_mov_b32_e32 v74, s31
	s_xor_b32 exec_lo, exec_lo, s34
	s_cbranch_execz .LBB6_14912
.LBB6_15643:                            ;   in Loop: Header=BB6_14474 Depth=3
	v_cmp_ne_u16_e32 vcc_lo, 0, v75
	v_mov_b32_e32 v74, 0
	s_and_not1_b32 s13, s13, exec_lo
	s_and_b32 vcc_lo, vcc_lo, exec_lo
	s_delay_alu instid0(SALU_CYCLE_1)
	s_or_b32 s13, s13, vcc_lo
	s_or_b32 exec_lo, exec_lo, s34
	s_and_saveexec_b32 s31, s13
	s_cbranch_execnz .LBB6_14913
	s_branch .LBB6_14914
.LBB6_15644:                            ;   in Loop: Header=BB6_14474 Depth=3
	s_mov_b32 s13, -1
	s_mov_b32 s35, exec_lo
                                        ; implicit-def: $sgpr31
	v_cmpx_eq_u16_e32 0x80, v76
; %bb.15645:                            ;   in Loop: Header=BB6_14474 Depth=3
	s_mov_b32 s31, 0x7f800001
	s_xor_b32 s13, exec_lo, -1
; %bb.15646:                            ;   in Loop: Header=BB6_14474 Depth=3
	s_or_b32 exec_lo, exec_lo, s35
	s_delay_alu instid0(SALU_CYCLE_1)
	s_and_b32 s13, s13, exec_lo
                                        ; implicit-def: $vgpr76
	s_or_saveexec_b32 s34, s34
	v_mov_b32_e32 v75, s31
	s_xor_b32 exec_lo, exec_lo, s34
	s_cbranch_execz .LBB6_14916
.LBB6_15647:                            ;   in Loop: Header=BB6_14474 Depth=3
	v_cmp_ne_u16_e32 vcc_lo, 0, v76
	v_mov_b32_e32 v75, 0
	s_and_not1_b32 s13, s13, exec_lo
	s_and_b32 vcc_lo, vcc_lo, exec_lo
	s_delay_alu instid0(SALU_CYCLE_1)
	s_or_b32 s13, s13, vcc_lo
	s_or_b32 exec_lo, exec_lo, s34
	s_and_saveexec_b32 s31, s13
	s_cbranch_execnz .LBB6_14917
	s_branch .LBB6_14918
.LBB6_15648:                            ;   in Loop: Header=BB6_14474 Depth=3
	s_mov_b32 s13, -1
	s_mov_b32 s35, exec_lo
                                        ; implicit-def: $sgpr31
	v_cmpx_eq_u16_e32 0x80, v75
; %bb.15649:                            ;   in Loop: Header=BB6_14474 Depth=3
	s_mov_b32 s31, 0x7f800001
	s_xor_b32 s13, exec_lo, -1
; %bb.15650:                            ;   in Loop: Header=BB6_14474 Depth=3
	s_or_b32 exec_lo, exec_lo, s35
	s_delay_alu instid0(SALU_CYCLE_1)
	s_and_b32 s13, s13, exec_lo
                                        ; implicit-def: $vgpr75
	s_or_saveexec_b32 s34, s34
	v_mov_b32_e32 v74, s31
	s_xor_b32 exec_lo, exec_lo, s34
	s_cbranch_execz .LBB6_14923
.LBB6_15651:                            ;   in Loop: Header=BB6_14474 Depth=3
	v_cmp_ne_u16_e32 vcc_lo, 0, v75
	v_mov_b32_e32 v74, 0
	s_and_not1_b32 s13, s13, exec_lo
	s_and_b32 vcc_lo, vcc_lo, exec_lo
	s_delay_alu instid0(SALU_CYCLE_1)
	s_or_b32 s13, s13, vcc_lo
	s_or_b32 exec_lo, exec_lo, s34
	s_and_saveexec_b32 s31, s13
	s_cbranch_execnz .LBB6_14924
	s_branch .LBB6_14925
.LBB6_15652:                            ;   in Loop: Header=BB6_14474 Depth=3
	s_mov_b32 s13, -1
	s_mov_b32 s35, exec_lo
                                        ; implicit-def: $sgpr31
	v_cmpx_eq_u16_e32 0x80, v75
; %bb.15653:                            ;   in Loop: Header=BB6_14474 Depth=3
	s_mov_b32 s31, 0x7f800001
	s_xor_b32 s13, exec_lo, -1
; %bb.15654:                            ;   in Loop: Header=BB6_14474 Depth=3
	s_or_b32 exec_lo, exec_lo, s35
	s_delay_alu instid0(SALU_CYCLE_1)
	s_and_b32 s13, s13, exec_lo
                                        ; implicit-def: $vgpr75
	s_or_saveexec_b32 s34, s34
	v_mov_b32_e32 v73, s31
	s_xor_b32 exec_lo, exec_lo, s34
	s_cbranch_execz .LBB6_14927
.LBB6_15655:                            ;   in Loop: Header=BB6_14474 Depth=3
	v_cmp_ne_u16_e32 vcc_lo, 0, v75
	v_mov_b32_e32 v73, 0
	s_and_not1_b32 s13, s13, exec_lo
	s_and_b32 vcc_lo, vcc_lo, exec_lo
	s_delay_alu instid0(SALU_CYCLE_1)
	s_or_b32 s13, s13, vcc_lo
	s_or_b32 exec_lo, exec_lo, s34
	s_and_saveexec_b32 s31, s13
	s_cbranch_execnz .LBB6_14928
	s_branch .LBB6_14929
.LBB6_15656:                            ;   in Loop: Header=BB6_14474 Depth=3
	s_mov_b32 s13, -1
	s_mov_b32 s35, exec_lo
                                        ; implicit-def: $sgpr31
	v_cmpx_eq_u16_e32 0x80, v74
; %bb.15657:                            ;   in Loop: Header=BB6_14474 Depth=3
	s_mov_b32 s31, 0x7f800001
	s_xor_b32 s13, exec_lo, -1
; %bb.15658:                            ;   in Loop: Header=BB6_14474 Depth=3
	s_or_b32 exec_lo, exec_lo, s35
	s_delay_alu instid0(SALU_CYCLE_1)
	s_and_b32 s13, s13, exec_lo
                                        ; implicit-def: $vgpr74
	s_or_saveexec_b32 s34, s34
	v_mov_b32_e32 v73, s31
	s_xor_b32 exec_lo, exec_lo, s34
	s_cbranch_execz .LBB6_14941
.LBB6_15659:                            ;   in Loop: Header=BB6_14474 Depth=3
	v_cmp_ne_u16_e32 vcc_lo, 0, v74
	v_mov_b32_e32 v73, 0
	s_and_not1_b32 s13, s13, exec_lo
	s_and_b32 vcc_lo, vcc_lo, exec_lo
	s_delay_alu instid0(SALU_CYCLE_1)
	s_or_b32 s13, s13, vcc_lo
	s_or_b32 exec_lo, exec_lo, s34
	s_and_saveexec_b32 s31, s13
	s_cbranch_execnz .LBB6_14942
	s_branch .LBB6_14943
.LBB6_15660:                            ;   in Loop: Header=BB6_14474 Depth=3
	s_mov_b32 s13, -1
	s_mov_b32 s35, exec_lo
                                        ; implicit-def: $sgpr31
	v_cmpx_eq_u16_e32 0x80, v75
; %bb.15661:                            ;   in Loop: Header=BB6_14474 Depth=3
	s_mov_b32 s31, 0x7f800001
	s_xor_b32 s13, exec_lo, -1
; %bb.15662:                            ;   in Loop: Header=BB6_14474 Depth=3
	s_or_b32 exec_lo, exec_lo, s35
	s_delay_alu instid0(SALU_CYCLE_1)
	s_and_b32 s13, s13, exec_lo
                                        ; implicit-def: $vgpr75
	s_or_saveexec_b32 s34, s34
	v_mov_b32_e32 v74, s31
	s_xor_b32 exec_lo, exec_lo, s34
	s_cbranch_execz .LBB6_14945
.LBB6_15663:                            ;   in Loop: Header=BB6_14474 Depth=3
	v_cmp_ne_u16_e32 vcc_lo, 0, v75
	v_mov_b32_e32 v74, 0
	s_and_not1_b32 s13, s13, exec_lo
	s_and_b32 vcc_lo, vcc_lo, exec_lo
	s_delay_alu instid0(SALU_CYCLE_1)
	s_or_b32 s13, s13, vcc_lo
	s_or_b32 exec_lo, exec_lo, s34
	s_and_saveexec_b32 s31, s13
	s_cbranch_execnz .LBB6_14946
	s_branch .LBB6_14947
.LBB6_15664:                            ;   in Loop: Header=BB6_14474 Depth=3
	s_mov_b32 s13, -1
	s_mov_b32 s35, exec_lo
                                        ; implicit-def: $sgpr31
	v_cmpx_eq_u16_e32 0x80, v74
; %bb.15665:                            ;   in Loop: Header=BB6_14474 Depth=3
	s_mov_b32 s31, 0x7f800001
	s_xor_b32 s13, exec_lo, -1
; %bb.15666:                            ;   in Loop: Header=BB6_14474 Depth=3
	s_or_b32 exec_lo, exec_lo, s35
	s_delay_alu instid0(SALU_CYCLE_1)
	s_and_b32 s13, s13, exec_lo
                                        ; implicit-def: $vgpr74
	s_or_saveexec_b32 s34, s34
	v_mov_b32_e32 v73, s31
	s_xor_b32 exec_lo, exec_lo, s34
	s_cbranch_execz .LBB6_14952
.LBB6_15667:                            ;   in Loop: Header=BB6_14474 Depth=3
	v_cmp_ne_u16_e32 vcc_lo, 0, v74
	v_mov_b32_e32 v73, 0
	s_and_not1_b32 s13, s13, exec_lo
	s_and_b32 vcc_lo, vcc_lo, exec_lo
	s_delay_alu instid0(SALU_CYCLE_1)
	s_or_b32 s13, s13, vcc_lo
	s_or_b32 exec_lo, exec_lo, s34
	s_and_saveexec_b32 s31, s13
	s_cbranch_execnz .LBB6_14953
	s_branch .LBB6_14954
.LBB6_15668:                            ;   in Loop: Header=BB6_14474 Depth=3
	s_mov_b32 s13, -1
	s_mov_b32 s35, exec_lo
                                        ; implicit-def: $sgpr31
	v_cmpx_eq_u16_e32 0x80, v74
; %bb.15669:                            ;   in Loop: Header=BB6_14474 Depth=3
	s_mov_b32 s31, 0x7f800001
	s_xor_b32 s13, exec_lo, -1
; %bb.15670:                            ;   in Loop: Header=BB6_14474 Depth=3
	s_or_b32 exec_lo, exec_lo, s35
	s_delay_alu instid0(SALU_CYCLE_1)
	s_and_b32 s13, s13, exec_lo
                                        ; implicit-def: $vgpr74
	s_or_saveexec_b32 s34, s34
	v_mov_b32_e32 v63, s31
	s_xor_b32 exec_lo, exec_lo, s34
	s_cbranch_execz .LBB6_14956
.LBB6_15671:                            ;   in Loop: Header=BB6_14474 Depth=3
	v_cmp_ne_u16_e32 vcc_lo, 0, v74
	v_mov_b32_e32 v63, 0
	s_and_not1_b32 s13, s13, exec_lo
	s_and_b32 vcc_lo, vcc_lo, exec_lo
	s_delay_alu instid0(SALU_CYCLE_1)
	s_or_b32 s13, s13, vcc_lo
	s_or_b32 exec_lo, exec_lo, s34
	s_and_saveexec_b32 s31, s13
	s_cbranch_execnz .LBB6_14957
	s_branch .LBB6_14958
.LBB6_15672:                            ;   in Loop: Header=BB6_14474 Depth=3
	s_mov_b32 s13, -1
	s_mov_b32 s35, exec_lo
                                        ; implicit-def: $sgpr31
	v_cmpx_eq_u16_e32 0x80, v73
; %bb.15673:                            ;   in Loop: Header=BB6_14474 Depth=3
	s_mov_b32 s31, 0x7f800001
	s_xor_b32 s13, exec_lo, -1
; %bb.15674:                            ;   in Loop: Header=BB6_14474 Depth=3
	s_or_b32 exec_lo, exec_lo, s35
	s_delay_alu instid0(SALU_CYCLE_1)
	s_and_b32 s13, s13, exec_lo
                                        ; implicit-def: $vgpr73
	s_or_saveexec_b32 s34, s34
	v_mov_b32_e32 v63, s31
	s_xor_b32 exec_lo, exec_lo, s34
	s_cbranch_execz .LBB6_14970
.LBB6_15675:                            ;   in Loop: Header=BB6_14474 Depth=3
	v_cmp_ne_u16_e32 vcc_lo, 0, v73
	v_mov_b32_e32 v63, 0
	s_and_not1_b32 s13, s13, exec_lo
	s_and_b32 vcc_lo, vcc_lo, exec_lo
	s_delay_alu instid0(SALU_CYCLE_1)
	s_or_b32 s13, s13, vcc_lo
	s_or_b32 exec_lo, exec_lo, s34
	s_and_saveexec_b32 s31, s13
	s_cbranch_execnz .LBB6_14971
	s_branch .LBB6_14972
.LBB6_15676:                            ;   in Loop: Header=BB6_14474 Depth=3
	s_mov_b32 s13, -1
	s_mov_b32 s35, exec_lo
                                        ; implicit-def: $sgpr31
	v_cmpx_eq_u16_e32 0x80, v74
; %bb.15677:                            ;   in Loop: Header=BB6_14474 Depth=3
	s_mov_b32 s31, 0x7f800001
	s_xor_b32 s13, exec_lo, -1
; %bb.15678:                            ;   in Loop: Header=BB6_14474 Depth=3
	s_or_b32 exec_lo, exec_lo, s35
	s_delay_alu instid0(SALU_CYCLE_1)
	s_and_b32 s13, s13, exec_lo
                                        ; implicit-def: $vgpr74
	s_or_saveexec_b32 s34, s34
	v_mov_b32_e32 v73, s31
	s_xor_b32 exec_lo, exec_lo, s34
	s_cbranch_execz .LBB6_14974
.LBB6_15679:                            ;   in Loop: Header=BB6_14474 Depth=3
	v_cmp_ne_u16_e32 vcc_lo, 0, v74
	v_mov_b32_e32 v73, 0
	s_and_not1_b32 s13, s13, exec_lo
	s_and_b32 vcc_lo, vcc_lo, exec_lo
	s_delay_alu instid0(SALU_CYCLE_1)
	s_or_b32 s13, s13, vcc_lo
	s_or_b32 exec_lo, exec_lo, s34
	s_and_saveexec_b32 s31, s13
	s_cbranch_execnz .LBB6_14975
	s_branch .LBB6_14976
.LBB6_15680:                            ;   in Loop: Header=BB6_14474 Depth=3
	s_mov_b32 s13, -1
	s_mov_b32 s35, exec_lo
                                        ; implicit-def: $sgpr31
	v_cmpx_eq_u16_e32 0x80, v73
; %bb.15681:                            ;   in Loop: Header=BB6_14474 Depth=3
	s_mov_b32 s31, 0x7f800001
	s_xor_b32 s13, exec_lo, -1
; %bb.15682:                            ;   in Loop: Header=BB6_14474 Depth=3
	s_or_b32 exec_lo, exec_lo, s35
	s_delay_alu instid0(SALU_CYCLE_1)
	s_and_b32 s13, s13, exec_lo
                                        ; implicit-def: $vgpr73
	s_or_saveexec_b32 s34, s34
	v_mov_b32_e32 v63, s31
	s_xor_b32 exec_lo, exec_lo, s34
	s_cbranch_execz .LBB6_14981
.LBB6_15683:                            ;   in Loop: Header=BB6_14474 Depth=3
	v_cmp_ne_u16_e32 vcc_lo, 0, v73
	v_mov_b32_e32 v63, 0
	s_and_not1_b32 s13, s13, exec_lo
	s_and_b32 vcc_lo, vcc_lo, exec_lo
	s_delay_alu instid0(SALU_CYCLE_1)
	s_or_b32 s13, s13, vcc_lo
	s_or_b32 exec_lo, exec_lo, s34
	s_and_saveexec_b32 s31, s13
	s_cbranch_execnz .LBB6_14982
	s_branch .LBB6_14983
.LBB6_15684:                            ;   in Loop: Header=BB6_14474 Depth=3
	s_mov_b32 s13, -1
	s_mov_b32 s35, exec_lo
                                        ; implicit-def: $sgpr31
	v_cmpx_eq_u16_e32 0x80, v73
; %bb.15685:                            ;   in Loop: Header=BB6_14474 Depth=3
	s_mov_b32 s31, 0x7f800001
	s_xor_b32 s13, exec_lo, -1
; %bb.15686:                            ;   in Loop: Header=BB6_14474 Depth=3
	s_or_b32 exec_lo, exec_lo, s35
	s_delay_alu instid0(SALU_CYCLE_1)
	s_and_b32 s13, s13, exec_lo
                                        ; implicit-def: $vgpr73
	s_or_saveexec_b32 s34, s34
	v_mov_b32_e32 v60, s31
	s_xor_b32 exec_lo, exec_lo, s34
	s_cbranch_execz .LBB6_14985
.LBB6_15687:                            ;   in Loop: Header=BB6_14474 Depth=3
	v_cmp_ne_u16_e32 vcc_lo, 0, v73
	v_mov_b32_e32 v60, 0
	s_and_not1_b32 s13, s13, exec_lo
	s_and_b32 vcc_lo, vcc_lo, exec_lo
	s_delay_alu instid0(SALU_CYCLE_1)
	s_or_b32 s13, s13, vcc_lo
	s_or_b32 exec_lo, exec_lo, s34
	s_and_saveexec_b32 s31, s13
	s_cbranch_execnz .LBB6_14986
	s_branch .LBB6_14987
.LBB6_15688:                            ;   in Loop: Header=BB6_14474 Depth=3
	s_mov_b32 s13, -1
	s_mov_b32 s35, exec_lo
                                        ; implicit-def: $sgpr31
	v_cmpx_eq_u16_e32 0x80, v63
; %bb.15689:                            ;   in Loop: Header=BB6_14474 Depth=3
	s_mov_b32 s31, 0x7f800001
	s_xor_b32 s13, exec_lo, -1
; %bb.15690:                            ;   in Loop: Header=BB6_14474 Depth=3
	s_or_b32 exec_lo, exec_lo, s35
	s_delay_alu instid0(SALU_CYCLE_1)
	s_and_b32 s13, s13, exec_lo
                                        ; implicit-def: $vgpr63
	s_or_saveexec_b32 s34, s34
	v_mov_b32_e32 v60, s31
	s_xor_b32 exec_lo, exec_lo, s34
	s_cbranch_execz .LBB6_14999
.LBB6_15691:                            ;   in Loop: Header=BB6_14474 Depth=3
	v_cmp_ne_u16_e32 vcc_lo, 0, v63
	v_mov_b32_e32 v60, 0
	s_and_not1_b32 s13, s13, exec_lo
	s_and_b32 vcc_lo, vcc_lo, exec_lo
	s_delay_alu instid0(SALU_CYCLE_1)
	s_or_b32 s13, s13, vcc_lo
	s_or_b32 exec_lo, exec_lo, s34
	s_and_saveexec_b32 s31, s13
	s_cbranch_execnz .LBB6_15000
	s_branch .LBB6_15001
.LBB6_15692:                            ;   in Loop: Header=BB6_14474 Depth=3
	s_mov_b32 s13, -1
	s_mov_b32 s35, exec_lo
                                        ; implicit-def: $sgpr31
	v_cmpx_eq_u16_e32 0x80, v73
; %bb.15693:                            ;   in Loop: Header=BB6_14474 Depth=3
	s_mov_b32 s31, 0x7f800001
	s_xor_b32 s13, exec_lo, -1
; %bb.15694:                            ;   in Loop: Header=BB6_14474 Depth=3
	s_or_b32 exec_lo, exec_lo, s35
	s_delay_alu instid0(SALU_CYCLE_1)
	s_and_b32 s13, s13, exec_lo
                                        ; implicit-def: $vgpr73
	s_or_saveexec_b32 s34, s34
	v_mov_b32_e32 v63, s31
	s_xor_b32 exec_lo, exec_lo, s34
	s_cbranch_execz .LBB6_15003
.LBB6_15695:                            ;   in Loop: Header=BB6_14474 Depth=3
	v_cmp_ne_u16_e32 vcc_lo, 0, v73
	v_mov_b32_e32 v63, 0
	s_and_not1_b32 s13, s13, exec_lo
	s_and_b32 vcc_lo, vcc_lo, exec_lo
	s_delay_alu instid0(SALU_CYCLE_1)
	s_or_b32 s13, s13, vcc_lo
	s_or_b32 exec_lo, exec_lo, s34
	s_and_saveexec_b32 s31, s13
	s_cbranch_execnz .LBB6_15004
	s_branch .LBB6_15005
.LBB6_15696:                            ;   in Loop: Header=BB6_14474 Depth=3
	s_mov_b32 s13, -1
	s_mov_b32 s35, exec_lo
                                        ; implicit-def: $sgpr31
	v_cmpx_eq_u16_e32 0x80, v63
; %bb.15697:                            ;   in Loop: Header=BB6_14474 Depth=3
	s_mov_b32 s31, 0x7f800001
	s_xor_b32 s13, exec_lo, -1
; %bb.15698:                            ;   in Loop: Header=BB6_14474 Depth=3
	s_or_b32 exec_lo, exec_lo, s35
	s_delay_alu instid0(SALU_CYCLE_1)
	s_and_b32 s13, s13, exec_lo
                                        ; implicit-def: $vgpr63
	s_or_saveexec_b32 s34, s34
	v_mov_b32_e32 v60, s31
	s_xor_b32 exec_lo, exec_lo, s34
	s_cbranch_execz .LBB6_15010
.LBB6_15699:                            ;   in Loop: Header=BB6_14474 Depth=3
	v_cmp_ne_u16_e32 vcc_lo, 0, v63
	v_mov_b32_e32 v60, 0
	s_and_not1_b32 s13, s13, exec_lo
	s_and_b32 vcc_lo, vcc_lo, exec_lo
	s_delay_alu instid0(SALU_CYCLE_1)
	s_or_b32 s13, s13, vcc_lo
	s_or_b32 exec_lo, exec_lo, s34
	s_and_saveexec_b32 s31, s13
	s_cbranch_execnz .LBB6_15011
	s_branch .LBB6_15012
.LBB6_15700:                            ;   in Loop: Header=BB6_14474 Depth=3
	s_mov_b32 s13, -1
	s_mov_b32 s35, exec_lo
                                        ; implicit-def: $sgpr31
	v_cmpx_eq_u16_e32 0x80, v63
; %bb.15701:                            ;   in Loop: Header=BB6_14474 Depth=3
	s_mov_b32 s31, 0x7f800001
	s_xor_b32 s13, exec_lo, -1
; %bb.15702:                            ;   in Loop: Header=BB6_14474 Depth=3
	s_or_b32 exec_lo, exec_lo, s35
	s_delay_alu instid0(SALU_CYCLE_1)
	s_and_b32 s13, s13, exec_lo
                                        ; implicit-def: $vgpr63
	s_or_saveexec_b32 s34, s34
	v_mov_b32_e32 v57, s31
	s_xor_b32 exec_lo, exec_lo, s34
	s_cbranch_execz .LBB6_15014
.LBB6_15703:                            ;   in Loop: Header=BB6_14474 Depth=3
	v_cmp_ne_u16_e32 vcc_lo, 0, v63
	v_mov_b32_e32 v57, 0
	s_and_not1_b32 s13, s13, exec_lo
	s_and_b32 vcc_lo, vcc_lo, exec_lo
	s_delay_alu instid0(SALU_CYCLE_1)
	s_or_b32 s13, s13, vcc_lo
	s_or_b32 exec_lo, exec_lo, s34
	s_and_saveexec_b32 s31, s13
	s_cbranch_execnz .LBB6_15015
	s_branch .LBB6_15016
.LBB6_15704:                            ;   in Loop: Header=BB6_14474 Depth=3
	s_mov_b32 s13, -1
	s_mov_b32 s35, exec_lo
                                        ; implicit-def: $sgpr31
	v_cmpx_eq_u16_e32 0x80, v60
; %bb.15705:                            ;   in Loop: Header=BB6_14474 Depth=3
	s_mov_b32 s31, 0x7f800001
	s_xor_b32 s13, exec_lo, -1
; %bb.15706:                            ;   in Loop: Header=BB6_14474 Depth=3
	s_or_b32 exec_lo, exec_lo, s35
	s_delay_alu instid0(SALU_CYCLE_1)
	s_and_b32 s13, s13, exec_lo
                                        ; implicit-def: $vgpr60
	s_or_saveexec_b32 s34, s34
	v_mov_b32_e32 v57, s31
	s_xor_b32 exec_lo, exec_lo, s34
	s_cbranch_execz .LBB6_15028
.LBB6_15707:                            ;   in Loop: Header=BB6_14474 Depth=3
	v_cmp_ne_u16_e32 vcc_lo, 0, v60
	v_mov_b32_e32 v57, 0
	s_and_not1_b32 s13, s13, exec_lo
	s_and_b32 vcc_lo, vcc_lo, exec_lo
	s_delay_alu instid0(SALU_CYCLE_1)
	s_or_b32 s13, s13, vcc_lo
	s_or_b32 exec_lo, exec_lo, s34
	s_and_saveexec_b32 s31, s13
	s_cbranch_execnz .LBB6_15029
	s_branch .LBB6_15030
.LBB6_15708:                            ;   in Loop: Header=BB6_14474 Depth=3
	s_mov_b32 s13, -1
	s_mov_b32 s35, exec_lo
                                        ; implicit-def: $sgpr31
	v_cmpx_eq_u16_e32 0x80, v63
; %bb.15709:                            ;   in Loop: Header=BB6_14474 Depth=3
	s_mov_b32 s31, 0x7f800001
	s_xor_b32 s13, exec_lo, -1
; %bb.15710:                            ;   in Loop: Header=BB6_14474 Depth=3
	s_or_b32 exec_lo, exec_lo, s35
	s_delay_alu instid0(SALU_CYCLE_1)
	s_and_b32 s13, s13, exec_lo
                                        ; implicit-def: $vgpr63
	s_or_saveexec_b32 s34, s34
	v_mov_b32_e32 v60, s31
	s_xor_b32 exec_lo, exec_lo, s34
	s_cbranch_execz .LBB6_15032
.LBB6_15711:                            ;   in Loop: Header=BB6_14474 Depth=3
	v_cmp_ne_u16_e32 vcc_lo, 0, v63
	v_mov_b32_e32 v60, 0
	s_and_not1_b32 s13, s13, exec_lo
	s_and_b32 vcc_lo, vcc_lo, exec_lo
	s_delay_alu instid0(SALU_CYCLE_1)
	s_or_b32 s13, s13, vcc_lo
	s_or_b32 exec_lo, exec_lo, s34
	s_and_saveexec_b32 s31, s13
	s_cbranch_execnz .LBB6_15033
	s_branch .LBB6_15034
.LBB6_15712:                            ;   in Loop: Header=BB6_14474 Depth=3
	s_mov_b32 s13, -1
	s_mov_b32 s35, exec_lo
                                        ; implicit-def: $sgpr31
	v_cmpx_eq_u16_e32 0x80, v60
; %bb.15713:                            ;   in Loop: Header=BB6_14474 Depth=3
	s_mov_b32 s31, 0x7f800001
	s_xor_b32 s13, exec_lo, -1
; %bb.15714:                            ;   in Loop: Header=BB6_14474 Depth=3
	s_or_b32 exec_lo, exec_lo, s35
	s_delay_alu instid0(SALU_CYCLE_1)
	s_and_b32 s13, s13, exec_lo
                                        ; implicit-def: $vgpr60
	s_or_saveexec_b32 s34, s34
	v_mov_b32_e32 v57, s31
	s_xor_b32 exec_lo, exec_lo, s34
	s_cbranch_execz .LBB6_15039
.LBB6_15715:                            ;   in Loop: Header=BB6_14474 Depth=3
	v_cmp_ne_u16_e32 vcc_lo, 0, v60
	v_mov_b32_e32 v57, 0
	s_and_not1_b32 s13, s13, exec_lo
	s_and_b32 vcc_lo, vcc_lo, exec_lo
	s_delay_alu instid0(SALU_CYCLE_1)
	s_or_b32 s13, s13, vcc_lo
	s_or_b32 exec_lo, exec_lo, s34
	s_and_saveexec_b32 s31, s13
	s_cbranch_execnz .LBB6_15040
	s_branch .LBB6_15041
.LBB6_15716:                            ;   in Loop: Header=BB6_14474 Depth=3
	s_mov_b32 s13, -1
	s_mov_b32 s35, exec_lo
                                        ; implicit-def: $sgpr31
	v_cmpx_eq_u16_e32 0x80, v60
; %bb.15717:                            ;   in Loop: Header=BB6_14474 Depth=3
	s_mov_b32 s31, 0x7f800001
	s_xor_b32 s13, exec_lo, -1
; %bb.15718:                            ;   in Loop: Header=BB6_14474 Depth=3
	s_or_b32 exec_lo, exec_lo, s35
	s_delay_alu instid0(SALU_CYCLE_1)
	s_and_b32 s13, s13, exec_lo
                                        ; implicit-def: $vgpr60
	s_or_saveexec_b32 s34, s34
	v_mov_b32_e32 v46, s31
	s_xor_b32 exec_lo, exec_lo, s34
	s_cbranch_execz .LBB6_15043
.LBB6_15719:                            ;   in Loop: Header=BB6_14474 Depth=3
	v_cmp_ne_u16_e32 vcc_lo, 0, v60
	v_mov_b32_e32 v46, 0
	s_and_not1_b32 s13, s13, exec_lo
	s_and_b32 vcc_lo, vcc_lo, exec_lo
	s_delay_alu instid0(SALU_CYCLE_1)
	s_or_b32 s13, s13, vcc_lo
	s_or_b32 exec_lo, exec_lo, s34
	s_and_saveexec_b32 s31, s13
	s_cbranch_execnz .LBB6_15044
	s_branch .LBB6_15045
.LBB6_15720:                            ;   in Loop: Header=BB6_14474 Depth=3
	s_mov_b32 s13, -1
	s_mov_b32 s35, exec_lo
                                        ; implicit-def: $sgpr31
	v_cmpx_eq_u16_e32 0x80, v57
; %bb.15721:                            ;   in Loop: Header=BB6_14474 Depth=3
	s_mov_b32 s31, 0x7f800001
	s_xor_b32 s13, exec_lo, -1
; %bb.15722:                            ;   in Loop: Header=BB6_14474 Depth=3
	s_or_b32 exec_lo, exec_lo, s35
	s_delay_alu instid0(SALU_CYCLE_1)
	s_and_b32 s13, s13, exec_lo
                                        ; implicit-def: $vgpr57
	s_or_saveexec_b32 s34, s34
	v_mov_b32_e32 v46, s31
	s_xor_b32 exec_lo, exec_lo, s34
	s_cbranch_execz .LBB6_15057
.LBB6_15723:                            ;   in Loop: Header=BB6_14474 Depth=3
	v_cmp_ne_u16_e32 vcc_lo, 0, v57
	v_mov_b32_e32 v46, 0
	s_and_not1_b32 s13, s13, exec_lo
	s_and_b32 vcc_lo, vcc_lo, exec_lo
	s_delay_alu instid0(SALU_CYCLE_1)
	s_or_b32 s13, s13, vcc_lo
	s_or_b32 exec_lo, exec_lo, s34
	s_and_saveexec_b32 s31, s13
	s_cbranch_execnz .LBB6_15058
	s_branch .LBB6_15059
.LBB6_15724:                            ;   in Loop: Header=BB6_14474 Depth=3
	s_mov_b32 s13, -1
	s_mov_b32 s35, exec_lo
                                        ; implicit-def: $sgpr31
	v_cmpx_eq_u16_e32 0x80, v60
; %bb.15725:                            ;   in Loop: Header=BB6_14474 Depth=3
	s_mov_b32 s31, 0x7f800001
	s_xor_b32 s13, exec_lo, -1
; %bb.15726:                            ;   in Loop: Header=BB6_14474 Depth=3
	s_or_b32 exec_lo, exec_lo, s35
	s_delay_alu instid0(SALU_CYCLE_1)
	s_and_b32 s13, s13, exec_lo
                                        ; implicit-def: $vgpr60
	s_or_saveexec_b32 s34, s34
	v_mov_b32_e32 v57, s31
	s_xor_b32 exec_lo, exec_lo, s34
	s_cbranch_execz .LBB6_15061
.LBB6_15727:                            ;   in Loop: Header=BB6_14474 Depth=3
	v_cmp_ne_u16_e32 vcc_lo, 0, v60
	v_mov_b32_e32 v57, 0
	s_and_not1_b32 s13, s13, exec_lo
	s_and_b32 vcc_lo, vcc_lo, exec_lo
	s_delay_alu instid0(SALU_CYCLE_1)
	s_or_b32 s13, s13, vcc_lo
	s_or_b32 exec_lo, exec_lo, s34
	s_and_saveexec_b32 s31, s13
	s_cbranch_execnz .LBB6_15062
	s_branch .LBB6_15063
.LBB6_15728:                            ;   in Loop: Header=BB6_14474 Depth=3
	s_mov_b32 s13, -1
	s_mov_b32 s35, exec_lo
                                        ; implicit-def: $sgpr31
	v_cmpx_eq_u16_e32 0x80, v57
; %bb.15729:                            ;   in Loop: Header=BB6_14474 Depth=3
	s_mov_b32 s31, 0x7f800001
	s_xor_b32 s13, exec_lo, -1
; %bb.15730:                            ;   in Loop: Header=BB6_14474 Depth=3
	s_or_b32 exec_lo, exec_lo, s35
	s_delay_alu instid0(SALU_CYCLE_1)
	s_and_b32 s13, s13, exec_lo
                                        ; implicit-def: $vgpr57
	s_or_saveexec_b32 s34, s34
	v_mov_b32_e32 v46, s31
	s_xor_b32 exec_lo, exec_lo, s34
	s_cbranch_execz .LBB6_15068
.LBB6_15731:                            ;   in Loop: Header=BB6_14474 Depth=3
	v_cmp_ne_u16_e32 vcc_lo, 0, v57
	v_mov_b32_e32 v46, 0
	s_and_not1_b32 s13, s13, exec_lo
	s_and_b32 vcc_lo, vcc_lo, exec_lo
	s_delay_alu instid0(SALU_CYCLE_1)
	s_or_b32 s13, s13, vcc_lo
	s_or_b32 exec_lo, exec_lo, s34
	s_and_saveexec_b32 s31, s13
	s_cbranch_execnz .LBB6_15069
	s_branch .LBB6_15070
.LBB6_15732:                            ;   in Loop: Header=BB6_14474 Depth=3
	s_mov_b32 s13, -1
	s_mov_b32 s35, exec_lo
                                        ; implicit-def: $sgpr31
	v_cmpx_eq_u16_e32 0x80, v57
; %bb.15733:                            ;   in Loop: Header=BB6_14474 Depth=3
	s_mov_b32 s31, 0x7f800001
	s_xor_b32 s13, exec_lo, -1
; %bb.15734:                            ;   in Loop: Header=BB6_14474 Depth=3
	s_or_b32 exec_lo, exec_lo, s35
	s_delay_alu instid0(SALU_CYCLE_1)
	s_and_b32 s13, s13, exec_lo
                                        ; implicit-def: $vgpr57
	s_or_saveexec_b32 s34, s34
	v_mov_b32_e32 v43, s31
	s_xor_b32 exec_lo, exec_lo, s34
	s_cbranch_execz .LBB6_15072
.LBB6_15735:                            ;   in Loop: Header=BB6_14474 Depth=3
	v_cmp_ne_u16_e32 vcc_lo, 0, v57
	v_mov_b32_e32 v43, 0
	s_and_not1_b32 s13, s13, exec_lo
	s_and_b32 vcc_lo, vcc_lo, exec_lo
	s_delay_alu instid0(SALU_CYCLE_1)
	s_or_b32 s13, s13, vcc_lo
	s_or_b32 exec_lo, exec_lo, s34
	s_and_saveexec_b32 s31, s13
	s_cbranch_execnz .LBB6_15073
	s_branch .LBB6_15074
.LBB6_15736:                            ;   in Loop: Header=BB6_14474 Depth=3
	s_mov_b32 s13, -1
	s_mov_b32 s35, exec_lo
                                        ; implicit-def: $sgpr31
	v_cmpx_eq_u16_e32 0x80, v46
; %bb.15737:                            ;   in Loop: Header=BB6_14474 Depth=3
	s_mov_b32 s31, 0x7f800001
	s_xor_b32 s13, exec_lo, -1
; %bb.15738:                            ;   in Loop: Header=BB6_14474 Depth=3
	s_or_b32 exec_lo, exec_lo, s35
	s_delay_alu instid0(SALU_CYCLE_1)
	s_and_b32 s13, s13, exec_lo
                                        ; implicit-def: $vgpr46
	s_or_saveexec_b32 s34, s34
	v_mov_b32_e32 v43, s31
	s_xor_b32 exec_lo, exec_lo, s34
	s_cbranch_execz .LBB6_15086
.LBB6_15739:                            ;   in Loop: Header=BB6_14474 Depth=3
	v_cmp_ne_u16_e32 vcc_lo, 0, v46
	v_mov_b32_e32 v43, 0
	s_and_not1_b32 s13, s13, exec_lo
	s_and_b32 vcc_lo, vcc_lo, exec_lo
	s_delay_alu instid0(SALU_CYCLE_1)
	s_or_b32 s13, s13, vcc_lo
	s_or_b32 exec_lo, exec_lo, s34
	s_and_saveexec_b32 s31, s13
	s_cbranch_execnz .LBB6_15087
	s_branch .LBB6_15088
.LBB6_15740:                            ;   in Loop: Header=BB6_14474 Depth=3
	s_mov_b32 s13, -1
	s_mov_b32 s35, exec_lo
                                        ; implicit-def: $sgpr31
	v_cmpx_eq_u16_e32 0x80, v57
; %bb.15741:                            ;   in Loop: Header=BB6_14474 Depth=3
	s_mov_b32 s31, 0x7f800001
	s_xor_b32 s13, exec_lo, -1
; %bb.15742:                            ;   in Loop: Header=BB6_14474 Depth=3
	s_or_b32 exec_lo, exec_lo, s35
	s_delay_alu instid0(SALU_CYCLE_1)
	s_and_b32 s13, s13, exec_lo
                                        ; implicit-def: $vgpr57
	s_or_saveexec_b32 s34, s34
	v_mov_b32_e32 v46, s31
	s_xor_b32 exec_lo, exec_lo, s34
	s_cbranch_execz .LBB6_15090
.LBB6_15743:                            ;   in Loop: Header=BB6_14474 Depth=3
	v_cmp_ne_u16_e32 vcc_lo, 0, v57
	v_mov_b32_e32 v46, 0
	s_and_not1_b32 s13, s13, exec_lo
	s_and_b32 vcc_lo, vcc_lo, exec_lo
	s_delay_alu instid0(SALU_CYCLE_1)
	s_or_b32 s13, s13, vcc_lo
	s_or_b32 exec_lo, exec_lo, s34
	s_and_saveexec_b32 s31, s13
	s_cbranch_execnz .LBB6_15091
	s_branch .LBB6_15092
.LBB6_15744:                            ;   in Loop: Header=BB6_14474 Depth=3
	s_mov_b32 s13, -1
	s_mov_b32 s35, exec_lo
                                        ; implicit-def: $sgpr31
	v_cmpx_eq_u16_e32 0x80, v46
; %bb.15745:                            ;   in Loop: Header=BB6_14474 Depth=3
	s_mov_b32 s31, 0x7f800001
	s_xor_b32 s13, exec_lo, -1
; %bb.15746:                            ;   in Loop: Header=BB6_14474 Depth=3
	s_or_b32 exec_lo, exec_lo, s35
	s_delay_alu instid0(SALU_CYCLE_1)
	s_and_b32 s13, s13, exec_lo
                                        ; implicit-def: $vgpr46
	s_or_saveexec_b32 s34, s34
	v_mov_b32_e32 v43, s31
	s_xor_b32 exec_lo, exec_lo, s34
	s_cbranch_execz .LBB6_15097
.LBB6_15747:                            ;   in Loop: Header=BB6_14474 Depth=3
	v_cmp_ne_u16_e32 vcc_lo, 0, v46
	v_mov_b32_e32 v43, 0
	s_and_not1_b32 s13, s13, exec_lo
	s_and_b32 vcc_lo, vcc_lo, exec_lo
	s_delay_alu instid0(SALU_CYCLE_1)
	s_or_b32 s13, s13, vcc_lo
	s_or_b32 exec_lo, exec_lo, s34
	s_and_saveexec_b32 s31, s13
	s_cbranch_execnz .LBB6_15098
	s_branch .LBB6_15099
.LBB6_15748:                            ;   in Loop: Header=BB6_14474 Depth=3
	s_mov_b32 s13, -1
	s_mov_b32 s35, exec_lo
                                        ; implicit-def: $sgpr31
	v_cmpx_eq_u16_e32 0x80, v46
; %bb.15749:                            ;   in Loop: Header=BB6_14474 Depth=3
	s_mov_b32 s31, 0x7f800001
	s_xor_b32 s13, exec_lo, -1
; %bb.15750:                            ;   in Loop: Header=BB6_14474 Depth=3
	s_or_b32 exec_lo, exec_lo, s35
	s_delay_alu instid0(SALU_CYCLE_1)
	s_and_b32 s13, s13, exec_lo
                                        ; implicit-def: $vgpr46
	s_or_saveexec_b32 s34, s34
	v_mov_b32_e32 v40, s31
	s_xor_b32 exec_lo, exec_lo, s34
	s_cbranch_execz .LBB6_15101
.LBB6_15751:                            ;   in Loop: Header=BB6_14474 Depth=3
	v_cmp_ne_u16_e32 vcc_lo, 0, v46
	v_mov_b32_e32 v40, 0
	s_and_not1_b32 s13, s13, exec_lo
	s_and_b32 vcc_lo, vcc_lo, exec_lo
	s_delay_alu instid0(SALU_CYCLE_1)
	s_or_b32 s13, s13, vcc_lo
	s_or_b32 exec_lo, exec_lo, s34
	s_and_saveexec_b32 s31, s13
	s_cbranch_execnz .LBB6_15102
	s_branch .LBB6_15103
.LBB6_15752:                            ;   in Loop: Header=BB6_14474 Depth=3
	s_mov_b32 s13, -1
	s_mov_b32 s35, exec_lo
                                        ; implicit-def: $sgpr31
	v_cmpx_eq_u16_e32 0x80, v43
; %bb.15753:                            ;   in Loop: Header=BB6_14474 Depth=3
	s_mov_b32 s31, 0x7f800001
	s_xor_b32 s13, exec_lo, -1
; %bb.15754:                            ;   in Loop: Header=BB6_14474 Depth=3
	s_or_b32 exec_lo, exec_lo, s35
	s_delay_alu instid0(SALU_CYCLE_1)
	s_and_b32 s13, s13, exec_lo
                                        ; implicit-def: $vgpr43
	s_or_saveexec_b32 s34, s34
	v_mov_b32_e32 v40, s31
	s_xor_b32 exec_lo, exec_lo, s34
	s_cbranch_execz .LBB6_15115
.LBB6_15755:                            ;   in Loop: Header=BB6_14474 Depth=3
	v_cmp_ne_u16_e32 vcc_lo, 0, v43
	v_mov_b32_e32 v40, 0
	s_and_not1_b32 s13, s13, exec_lo
	s_and_b32 vcc_lo, vcc_lo, exec_lo
	s_delay_alu instid0(SALU_CYCLE_1)
	s_or_b32 s13, s13, vcc_lo
	s_or_b32 exec_lo, exec_lo, s34
	s_and_saveexec_b32 s31, s13
	s_cbranch_execnz .LBB6_15116
	s_branch .LBB6_15117
.LBB6_15756:                            ;   in Loop: Header=BB6_14474 Depth=3
	s_mov_b32 s13, -1
	s_mov_b32 s35, exec_lo
                                        ; implicit-def: $sgpr31
	v_cmpx_eq_u16_e32 0x80, v46
; %bb.15757:                            ;   in Loop: Header=BB6_14474 Depth=3
	s_mov_b32 s31, 0x7f800001
	s_xor_b32 s13, exec_lo, -1
; %bb.15758:                            ;   in Loop: Header=BB6_14474 Depth=3
	s_or_b32 exec_lo, exec_lo, s35
	s_delay_alu instid0(SALU_CYCLE_1)
	s_and_b32 s13, s13, exec_lo
                                        ; implicit-def: $vgpr46
	s_or_saveexec_b32 s34, s34
	v_mov_b32_e32 v43, s31
	s_xor_b32 exec_lo, exec_lo, s34
	s_cbranch_execz .LBB6_15119
.LBB6_15759:                            ;   in Loop: Header=BB6_14474 Depth=3
	v_cmp_ne_u16_e32 vcc_lo, 0, v46
	v_mov_b32_e32 v43, 0
	s_and_not1_b32 s13, s13, exec_lo
	s_and_b32 vcc_lo, vcc_lo, exec_lo
	s_delay_alu instid0(SALU_CYCLE_1)
	s_or_b32 s13, s13, vcc_lo
	s_or_b32 exec_lo, exec_lo, s34
	s_and_saveexec_b32 s31, s13
	s_cbranch_execnz .LBB6_15120
	s_branch .LBB6_15121
.LBB6_15760:                            ;   in Loop: Header=BB6_14474 Depth=3
	s_mov_b32 s13, -1
	s_mov_b32 s35, exec_lo
                                        ; implicit-def: $sgpr31
	v_cmpx_eq_u16_e32 0x80, v43
; %bb.15761:                            ;   in Loop: Header=BB6_14474 Depth=3
	s_mov_b32 s31, 0x7f800001
	s_xor_b32 s13, exec_lo, -1
; %bb.15762:                            ;   in Loop: Header=BB6_14474 Depth=3
	s_or_b32 exec_lo, exec_lo, s35
	s_delay_alu instid0(SALU_CYCLE_1)
	s_and_b32 s13, s13, exec_lo
                                        ; implicit-def: $vgpr43
	s_or_saveexec_b32 s34, s34
	v_mov_b32_e32 v40, s31
	s_xor_b32 exec_lo, exec_lo, s34
	s_cbranch_execz .LBB6_15126
.LBB6_15763:                            ;   in Loop: Header=BB6_14474 Depth=3
	v_cmp_ne_u16_e32 vcc_lo, 0, v43
	v_mov_b32_e32 v40, 0
	s_and_not1_b32 s13, s13, exec_lo
	s_and_b32 vcc_lo, vcc_lo, exec_lo
	s_delay_alu instid0(SALU_CYCLE_1)
	s_or_b32 s13, s13, vcc_lo
	s_or_b32 exec_lo, exec_lo, s34
	s_and_saveexec_b32 s31, s13
	s_cbranch_execnz .LBB6_15127
	s_branch .LBB6_15128
.LBB6_15764:                            ;   in Loop: Header=BB6_14474 Depth=3
	s_mov_b32 s13, -1
	s_mov_b32 s35, exec_lo
                                        ; implicit-def: $sgpr31
	v_cmpx_eq_u16_e32 0x80, v43
; %bb.15765:                            ;   in Loop: Header=BB6_14474 Depth=3
	s_mov_b32 s31, 0x7f800001
	s_xor_b32 s13, exec_lo, -1
; %bb.15766:                            ;   in Loop: Header=BB6_14474 Depth=3
	s_or_b32 exec_lo, exec_lo, s35
	s_delay_alu instid0(SALU_CYCLE_1)
	s_and_b32 s13, s13, exec_lo
                                        ; implicit-def: $vgpr43
	s_or_saveexec_b32 s34, s34
	v_mov_b32_e32 v116, s31
	s_xor_b32 exec_lo, exec_lo, s34
	s_cbranch_execz .LBB6_15130
.LBB6_15767:                            ;   in Loop: Header=BB6_14474 Depth=3
	v_cmp_ne_u16_e32 vcc_lo, 0, v43
	v_mov_b32_e32 v116, 0
	s_and_not1_b32 s13, s13, exec_lo
	s_and_b32 vcc_lo, vcc_lo, exec_lo
	s_delay_alu instid0(SALU_CYCLE_1)
	s_or_b32 s13, s13, vcc_lo
	s_or_b32 exec_lo, exec_lo, s34
	s_and_saveexec_b32 s31, s13
	s_cbranch_execnz .LBB6_15131
	s_branch .LBB6_15132
.LBB6_15768:                            ;   in Loop: Header=BB6_14474 Depth=3
	s_mov_b32 s13, -1
	s_mov_b32 s35, exec_lo
                                        ; implicit-def: $sgpr31
	v_cmpx_eq_u16_e32 0x80, v40
; %bb.15769:                            ;   in Loop: Header=BB6_14474 Depth=3
	s_mov_b32 s31, 0x7f800001
	s_xor_b32 s13, exec_lo, -1
; %bb.15770:                            ;   in Loop: Header=BB6_14474 Depth=3
	s_or_b32 exec_lo, exec_lo, s35
	s_delay_alu instid0(SALU_CYCLE_1)
	s_and_b32 s13, s13, exec_lo
                                        ; implicit-def: $vgpr40
	s_or_saveexec_b32 s34, s34
	v_mov_b32_e32 v116, s31
	s_xor_b32 exec_lo, exec_lo, s34
	s_cbranch_execz .LBB6_15144
.LBB6_15771:                            ;   in Loop: Header=BB6_14474 Depth=3
	v_cmp_ne_u16_e32 vcc_lo, 0, v40
	v_mov_b32_e32 v116, 0
	s_and_not1_b32 s13, s13, exec_lo
	s_and_b32 vcc_lo, vcc_lo, exec_lo
	s_delay_alu instid0(SALU_CYCLE_1)
	s_or_b32 s13, s13, vcc_lo
	s_or_b32 exec_lo, exec_lo, s34
	s_and_saveexec_b32 s31, s13
	s_cbranch_execnz .LBB6_15145
	s_branch .LBB6_15146
.LBB6_15772:                            ;   in Loop: Header=BB6_14474 Depth=3
	s_mov_b32 s13, -1
	s_mov_b32 s35, exec_lo
                                        ; implicit-def: $sgpr31
	v_cmpx_eq_u16_e32 0x80, v43
; %bb.15773:                            ;   in Loop: Header=BB6_14474 Depth=3
	s_mov_b32 s31, 0x7f800001
	s_xor_b32 s13, exec_lo, -1
; %bb.15774:                            ;   in Loop: Header=BB6_14474 Depth=3
	s_or_b32 exec_lo, exec_lo, s35
	s_delay_alu instid0(SALU_CYCLE_1)
	s_and_b32 s13, s13, exec_lo
                                        ; implicit-def: $vgpr43
	s_or_saveexec_b32 s34, s34
	v_mov_b32_e32 v40, s31
	s_xor_b32 exec_lo, exec_lo, s34
	s_cbranch_execz .LBB6_15148
.LBB6_15775:                            ;   in Loop: Header=BB6_14474 Depth=3
	v_cmp_ne_u16_e32 vcc_lo, 0, v43
	v_mov_b32_e32 v40, 0
	s_and_not1_b32 s13, s13, exec_lo
	s_and_b32 vcc_lo, vcc_lo, exec_lo
	s_delay_alu instid0(SALU_CYCLE_1)
	s_or_b32 s13, s13, vcc_lo
	s_or_b32 exec_lo, exec_lo, s34
	s_and_saveexec_b32 s31, s13
	s_cbranch_execnz .LBB6_15149
	s_branch .LBB6_15150
.LBB6_15776:                            ;   in Loop: Header=BB6_14474 Depth=3
	s_mov_b32 s13, -1
	s_mov_b32 s35, exec_lo
                                        ; implicit-def: $sgpr31
	v_cmpx_eq_u16_e32 0x80, v40
; %bb.15777:                            ;   in Loop: Header=BB6_14474 Depth=3
	s_mov_b32 s31, 0x7f800001
	s_xor_b32 s13, exec_lo, -1
; %bb.15778:                            ;   in Loop: Header=BB6_14474 Depth=3
	s_or_b32 exec_lo, exec_lo, s35
	s_delay_alu instid0(SALU_CYCLE_1)
	s_and_b32 s13, s13, exec_lo
                                        ; implicit-def: $vgpr40
	s_or_saveexec_b32 s34, s34
	v_mov_b32_e32 v116, s31
	s_xor_b32 exec_lo, exec_lo, s34
	s_cbranch_execz .LBB6_15155
.LBB6_15779:                            ;   in Loop: Header=BB6_14474 Depth=3
	v_cmp_ne_u16_e32 vcc_lo, 0, v40
	v_mov_b32_e32 v116, 0
	s_and_not1_b32 s13, s13, exec_lo
	s_and_b32 vcc_lo, vcc_lo, exec_lo
	s_delay_alu instid0(SALU_CYCLE_1)
	s_or_b32 s13, s13, vcc_lo
	s_or_b32 exec_lo, exec_lo, s34
	s_and_saveexec_b32 s31, s13
	s_cbranch_execnz .LBB6_15156
	s_branch .LBB6_15157
.LBB6_15780:                            ;   in Loop: Header=BB6_14474 Depth=3
	s_mov_b32 s13, -1
	s_mov_b32 s35, exec_lo
                                        ; implicit-def: $sgpr31
	v_cmpx_eq_u16_e32 0x80, v40
; %bb.15781:                            ;   in Loop: Header=BB6_14474 Depth=3
	s_mov_b32 s31, 0x7f800001
	s_xor_b32 s13, exec_lo, -1
; %bb.15782:                            ;   in Loop: Header=BB6_14474 Depth=3
	s_or_b32 exec_lo, exec_lo, s35
	s_delay_alu instid0(SALU_CYCLE_1)
	s_and_b32 s13, s13, exec_lo
                                        ; implicit-def: $vgpr40
	s_or_saveexec_b32 s34, s34
	v_mov_b32_e32 v113, s31
	s_xor_b32 exec_lo, exec_lo, s34
	s_cbranch_execz .LBB6_15159
.LBB6_15783:                            ;   in Loop: Header=BB6_14474 Depth=3
	v_cmp_ne_u16_e32 vcc_lo, 0, v40
	v_mov_b32_e32 v113, 0
	s_and_not1_b32 s13, s13, exec_lo
	s_and_b32 vcc_lo, vcc_lo, exec_lo
	s_delay_alu instid0(SALU_CYCLE_1)
	s_or_b32 s13, s13, vcc_lo
	s_or_b32 exec_lo, exec_lo, s34
	s_and_saveexec_b32 s31, s13
	s_cbranch_execnz .LBB6_15160
	s_branch .LBB6_15161
.LBB6_15784:                            ;   in Loop: Header=BB6_14474 Depth=3
	s_mov_b32 s13, -1
	s_mov_b32 s35, exec_lo
                                        ; implicit-def: $sgpr31
	v_cmpx_eq_u16_e32 0x80, v116
; %bb.15785:                            ;   in Loop: Header=BB6_14474 Depth=3
	s_mov_b32 s31, 0x7f800001
	s_xor_b32 s13, exec_lo, -1
; %bb.15786:                            ;   in Loop: Header=BB6_14474 Depth=3
	s_or_b32 exec_lo, exec_lo, s35
	s_delay_alu instid0(SALU_CYCLE_1)
	s_and_b32 s13, s13, exec_lo
                                        ; implicit-def: $vgpr116
	s_or_saveexec_b32 s34, s34
	v_mov_b32_e32 v113, s31
	s_xor_b32 exec_lo, exec_lo, s34
	s_cbranch_execz .LBB6_15173
.LBB6_15787:                            ;   in Loop: Header=BB6_14474 Depth=3
	v_cmp_ne_u16_e32 vcc_lo, 0, v116
	v_mov_b32_e32 v113, 0
	s_and_not1_b32 s13, s13, exec_lo
	s_and_b32 vcc_lo, vcc_lo, exec_lo
	s_delay_alu instid0(SALU_CYCLE_1)
	s_or_b32 s13, s13, vcc_lo
	s_or_b32 exec_lo, exec_lo, s34
	s_and_saveexec_b32 s31, s13
	s_cbranch_execnz .LBB6_15174
	s_branch .LBB6_15175
.LBB6_15788:                            ;   in Loop: Header=BB6_14474 Depth=3
	s_mov_b32 s13, -1
	s_mov_b32 s35, exec_lo
                                        ; implicit-def: $sgpr31
	v_cmpx_eq_u16_e32 0x80, v40
; %bb.15789:                            ;   in Loop: Header=BB6_14474 Depth=3
	s_mov_b32 s31, 0x7f800001
	s_xor_b32 s13, exec_lo, -1
; %bb.15790:                            ;   in Loop: Header=BB6_14474 Depth=3
	s_or_b32 exec_lo, exec_lo, s35
	s_delay_alu instid0(SALU_CYCLE_1)
	s_and_b32 s13, s13, exec_lo
                                        ; implicit-def: $vgpr40
	s_or_saveexec_b32 s34, s34
	v_mov_b32_e32 v116, s31
	s_xor_b32 exec_lo, exec_lo, s34
	s_cbranch_execz .LBB6_15177
.LBB6_15791:                            ;   in Loop: Header=BB6_14474 Depth=3
	v_cmp_ne_u16_e32 vcc_lo, 0, v40
	v_mov_b32_e32 v116, 0
	s_and_not1_b32 s13, s13, exec_lo
	s_and_b32 vcc_lo, vcc_lo, exec_lo
	s_delay_alu instid0(SALU_CYCLE_1)
	s_or_b32 s13, s13, vcc_lo
	s_or_b32 exec_lo, exec_lo, s34
	s_and_saveexec_b32 s31, s13
	s_cbranch_execnz .LBB6_15178
	s_branch .LBB6_15179
.LBB6_15792:                            ;   in Loop: Header=BB6_14474 Depth=3
	s_mov_b32 s13, -1
	s_mov_b32 s35, exec_lo
                                        ; implicit-def: $sgpr31
	v_cmpx_eq_u16_e32 0x80, v116
; %bb.15793:                            ;   in Loop: Header=BB6_14474 Depth=3
	s_mov_b32 s31, 0x7f800001
	s_xor_b32 s13, exec_lo, -1
; %bb.15794:                            ;   in Loop: Header=BB6_14474 Depth=3
	s_or_b32 exec_lo, exec_lo, s35
	s_delay_alu instid0(SALU_CYCLE_1)
	s_and_b32 s13, s13, exec_lo
                                        ; implicit-def: $vgpr116
	s_or_saveexec_b32 s34, s34
	v_mov_b32_e32 v113, s31
	s_xor_b32 exec_lo, exec_lo, s34
	s_cbranch_execz .LBB6_15184
.LBB6_15795:                            ;   in Loop: Header=BB6_14474 Depth=3
	v_cmp_ne_u16_e32 vcc_lo, 0, v116
	v_mov_b32_e32 v113, 0
	s_and_not1_b32 s13, s13, exec_lo
	s_and_b32 vcc_lo, vcc_lo, exec_lo
	s_delay_alu instid0(SALU_CYCLE_1)
	s_or_b32 s13, s13, vcc_lo
	s_or_b32 exec_lo, exec_lo, s34
	s_and_saveexec_b32 s31, s13
	s_cbranch_execnz .LBB6_15185
	s_branch .LBB6_15186
.LBB6_15796:                            ;   in Loop: Header=BB6_14474 Depth=3
	s_mov_b32 s13, -1
	s_mov_b32 s35, exec_lo
                                        ; implicit-def: $sgpr31
	v_cmpx_eq_u16_e32 0x80, v116
; %bb.15797:                            ;   in Loop: Header=BB6_14474 Depth=3
	s_mov_b32 s31, 0x7f800001
	s_xor_b32 s13, exec_lo, -1
; %bb.15798:                            ;   in Loop: Header=BB6_14474 Depth=3
	s_or_b32 exec_lo, exec_lo, s35
	s_delay_alu instid0(SALU_CYCLE_1)
	s_and_b32 s13, s13, exec_lo
                                        ; implicit-def: $vgpr116
	s_or_saveexec_b32 s34, s34
	v_mov_b32_e32 v101, s31
	s_xor_b32 exec_lo, exec_lo, s34
	s_cbranch_execz .LBB6_15188
.LBB6_15799:                            ;   in Loop: Header=BB6_14474 Depth=3
	v_cmp_ne_u16_e32 vcc_lo, 0, v116
	v_mov_b32_e32 v101, 0
	s_and_not1_b32 s13, s13, exec_lo
	s_and_b32 vcc_lo, vcc_lo, exec_lo
	s_delay_alu instid0(SALU_CYCLE_1)
	s_or_b32 s13, s13, vcc_lo
	s_or_b32 exec_lo, exec_lo, s34
	s_and_saveexec_b32 s31, s13
	s_cbranch_execnz .LBB6_15189
	s_branch .LBB6_15190
.LBB6_15800:                            ;   in Loop: Header=BB6_14474 Depth=3
	s_mov_b32 s13, -1
	s_mov_b32 s35, exec_lo
                                        ; implicit-def: $sgpr31
	v_cmpx_eq_u16_e32 0x80, v113
; %bb.15801:                            ;   in Loop: Header=BB6_14474 Depth=3
	s_mov_b32 s31, 0x7f800001
	s_xor_b32 s13, exec_lo, -1
; %bb.15802:                            ;   in Loop: Header=BB6_14474 Depth=3
	s_or_b32 exec_lo, exec_lo, s35
	s_delay_alu instid0(SALU_CYCLE_1)
	s_and_b32 s13, s13, exec_lo
                                        ; implicit-def: $vgpr113
	s_or_saveexec_b32 s34, s34
	v_mov_b32_e32 v101, s31
	s_xor_b32 exec_lo, exec_lo, s34
	s_cbranch_execz .LBB6_15202
.LBB6_15803:                            ;   in Loop: Header=BB6_14474 Depth=3
	v_cmp_ne_u16_e32 vcc_lo, 0, v113
	v_mov_b32_e32 v101, 0
	s_and_not1_b32 s13, s13, exec_lo
	s_and_b32 vcc_lo, vcc_lo, exec_lo
	s_delay_alu instid0(SALU_CYCLE_1)
	s_or_b32 s13, s13, vcc_lo
	s_or_b32 exec_lo, exec_lo, s34
	s_and_saveexec_b32 s31, s13
	s_cbranch_execnz .LBB6_15203
	s_branch .LBB6_15204
.LBB6_15804:                            ;   in Loop: Header=BB6_14474 Depth=3
	s_mov_b32 s13, -1
	s_mov_b32 s35, exec_lo
                                        ; implicit-def: $sgpr31
	v_cmpx_eq_u16_e32 0x80, v116
; %bb.15805:                            ;   in Loop: Header=BB6_14474 Depth=3
	s_mov_b32 s31, 0x7f800001
	s_xor_b32 s13, exec_lo, -1
; %bb.15806:                            ;   in Loop: Header=BB6_14474 Depth=3
	s_or_b32 exec_lo, exec_lo, s35
	s_delay_alu instid0(SALU_CYCLE_1)
	s_and_b32 s13, s13, exec_lo
                                        ; implicit-def: $vgpr116
	s_or_saveexec_b32 s34, s34
	v_mov_b32_e32 v113, s31
	s_xor_b32 exec_lo, exec_lo, s34
	s_cbranch_execz .LBB6_15206
.LBB6_15807:                            ;   in Loop: Header=BB6_14474 Depth=3
	v_cmp_ne_u16_e32 vcc_lo, 0, v116
	v_mov_b32_e32 v113, 0
	s_and_not1_b32 s13, s13, exec_lo
	s_and_b32 vcc_lo, vcc_lo, exec_lo
	s_delay_alu instid0(SALU_CYCLE_1)
	s_or_b32 s13, s13, vcc_lo
	s_or_b32 exec_lo, exec_lo, s34
	s_and_saveexec_b32 s31, s13
	s_cbranch_execnz .LBB6_15207
	s_branch .LBB6_15208
.LBB6_15808:                            ;   in Loop: Header=BB6_14474 Depth=3
	s_mov_b32 s13, -1
	s_mov_b32 s35, exec_lo
                                        ; implicit-def: $sgpr31
	v_cmpx_eq_u16_e32 0x80, v113
; %bb.15809:                            ;   in Loop: Header=BB6_14474 Depth=3
	s_mov_b32 s31, 0x7f800001
	s_xor_b32 s13, exec_lo, -1
; %bb.15810:                            ;   in Loop: Header=BB6_14474 Depth=3
	s_or_b32 exec_lo, exec_lo, s35
	s_delay_alu instid0(SALU_CYCLE_1)
	s_and_b32 s13, s13, exec_lo
                                        ; implicit-def: $vgpr113
	s_or_saveexec_b32 s34, s34
	v_mov_b32_e32 v101, s31
	s_xor_b32 exec_lo, exec_lo, s34
	s_cbranch_execz .LBB6_15213
.LBB6_15811:                            ;   in Loop: Header=BB6_14474 Depth=3
	v_cmp_ne_u16_e32 vcc_lo, 0, v113
	v_mov_b32_e32 v101, 0
	s_and_not1_b32 s13, s13, exec_lo
	s_and_b32 vcc_lo, vcc_lo, exec_lo
	s_delay_alu instid0(SALU_CYCLE_1)
	s_or_b32 s13, s13, vcc_lo
	s_or_b32 exec_lo, exec_lo, s34
	s_and_saveexec_b32 s31, s13
	s_cbranch_execnz .LBB6_15214
	s_branch .LBB6_15215
.LBB6_15812:                            ;   in Loop: Header=BB6_14474 Depth=3
	s_mov_b32 s13, -1
	s_mov_b32 s35, exec_lo
                                        ; implicit-def: $sgpr31
	v_cmpx_eq_u16_e32 0x80, v113
; %bb.15813:                            ;   in Loop: Header=BB6_14474 Depth=3
	s_mov_b32 s31, 0x7f800001
	s_xor_b32 s13, exec_lo, -1
; %bb.15814:                            ;   in Loop: Header=BB6_14474 Depth=3
	s_or_b32 exec_lo, exec_lo, s35
	s_delay_alu instid0(SALU_CYCLE_1)
	s_and_b32 s13, s13, exec_lo
                                        ; implicit-def: $vgpr113
	s_or_saveexec_b32 s34, s34
	v_mov_b32_e32 v49, s31
	s_xor_b32 exec_lo, exec_lo, s34
	s_cbranch_execz .LBB6_15217
.LBB6_15815:                            ;   in Loop: Header=BB6_14474 Depth=3
	v_cmp_ne_u16_e32 vcc_lo, 0, v113
	v_mov_b32_e32 v49, 0
	s_and_not1_b32 s13, s13, exec_lo
	s_and_b32 vcc_lo, vcc_lo, exec_lo
	s_delay_alu instid0(SALU_CYCLE_1)
	s_or_b32 s13, s13, vcc_lo
	s_or_b32 exec_lo, exec_lo, s34
	s_and_saveexec_b32 s31, s13
	s_cbranch_execnz .LBB6_15218
	s_branch .LBB6_15219
.LBB6_15816:                            ;   in Loop: Header=BB6_14474 Depth=3
	s_mov_b32 s13, -1
	s_mov_b32 s35, exec_lo
                                        ; implicit-def: $sgpr31
	v_cmpx_eq_u16_e32 0x80, v101
; %bb.15817:                            ;   in Loop: Header=BB6_14474 Depth=3
	s_mov_b32 s31, 0x7f800001
	s_xor_b32 s13, exec_lo, -1
; %bb.15818:                            ;   in Loop: Header=BB6_14474 Depth=3
	s_or_b32 exec_lo, exec_lo, s35
	s_delay_alu instid0(SALU_CYCLE_1)
	s_and_b32 s13, s13, exec_lo
                                        ; implicit-def: $vgpr101
	s_or_saveexec_b32 s34, s34
	v_mov_b32_e32 v49, s31
	s_xor_b32 exec_lo, exec_lo, s34
	s_cbranch_execz .LBB6_15231
.LBB6_15819:                            ;   in Loop: Header=BB6_14474 Depth=3
	v_cmp_ne_u16_e32 vcc_lo, 0, v101
	v_mov_b32_e32 v49, 0
	s_and_not1_b32 s13, s13, exec_lo
	s_and_b32 vcc_lo, vcc_lo, exec_lo
	s_delay_alu instid0(SALU_CYCLE_1)
	s_or_b32 s13, s13, vcc_lo
	s_or_b32 exec_lo, exec_lo, s34
	s_and_saveexec_b32 s31, s13
	s_cbranch_execnz .LBB6_15232
	s_branch .LBB6_15233
.LBB6_15820:                            ;   in Loop: Header=BB6_14474 Depth=3
	s_mov_b32 s13, -1
	s_mov_b32 s35, exec_lo
                                        ; implicit-def: $sgpr31
	v_cmpx_eq_u16_e32 0x80, v113
; %bb.15821:                            ;   in Loop: Header=BB6_14474 Depth=3
	s_mov_b32 s31, 0x7f800001
	s_xor_b32 s13, exec_lo, -1
; %bb.15822:                            ;   in Loop: Header=BB6_14474 Depth=3
	s_or_b32 exec_lo, exec_lo, s35
	s_delay_alu instid0(SALU_CYCLE_1)
	s_and_b32 s13, s13, exec_lo
                                        ; implicit-def: $vgpr113
	s_or_saveexec_b32 s34, s34
	v_mov_b32_e32 v101, s31
	s_xor_b32 exec_lo, exec_lo, s34
	s_cbranch_execz .LBB6_15235
.LBB6_15823:                            ;   in Loop: Header=BB6_14474 Depth=3
	v_cmp_ne_u16_e32 vcc_lo, 0, v113
	v_mov_b32_e32 v101, 0
	s_and_not1_b32 s13, s13, exec_lo
	s_and_b32 vcc_lo, vcc_lo, exec_lo
	s_delay_alu instid0(SALU_CYCLE_1)
	s_or_b32 s13, s13, vcc_lo
	s_or_b32 exec_lo, exec_lo, s34
	s_and_saveexec_b32 s31, s13
	s_cbranch_execnz .LBB6_15236
	s_branch .LBB6_15237
.LBB6_15824:                            ;   in Loop: Header=BB6_14474 Depth=3
	s_mov_b32 s13, -1
	s_mov_b32 s35, exec_lo
                                        ; implicit-def: $sgpr31
	v_cmpx_eq_u16_e32 0x80, v101
; %bb.15825:                            ;   in Loop: Header=BB6_14474 Depth=3
	s_mov_b32 s31, 0x7f800001
	s_xor_b32 s13, exec_lo, -1
; %bb.15826:                            ;   in Loop: Header=BB6_14474 Depth=3
	s_or_b32 exec_lo, exec_lo, s35
	s_delay_alu instid0(SALU_CYCLE_1)
	s_and_b32 s13, s13, exec_lo
                                        ; implicit-def: $vgpr101
	s_or_saveexec_b32 s34, s34
	v_mov_b32_e32 v49, s31
	s_xor_b32 exec_lo, exec_lo, s34
	s_cbranch_execz .LBB6_15242
.LBB6_15827:                            ;   in Loop: Header=BB6_14474 Depth=3
	v_cmp_ne_u16_e32 vcc_lo, 0, v101
	v_mov_b32_e32 v49, 0
	s_and_not1_b32 s13, s13, exec_lo
	s_and_b32 vcc_lo, vcc_lo, exec_lo
	s_delay_alu instid0(SALU_CYCLE_1)
	s_or_b32 s13, s13, vcc_lo
	s_or_b32 exec_lo, exec_lo, s34
	s_and_saveexec_b32 s31, s13
	s_cbranch_execnz .LBB6_15243
	s_branch .LBB6_15244
.LBB6_15828:                            ;   in Loop: Header=BB6_14474 Depth=3
	s_mov_b32 s13, -1
	s_mov_b32 s35, exec_lo
                                        ; implicit-def: $sgpr31
	v_cmpx_eq_u16_e32 0x80, v101
; %bb.15829:                            ;   in Loop: Header=BB6_14474 Depth=3
	s_mov_b32 s31, 0x7f800001
	s_xor_b32 s13, exec_lo, -1
; %bb.15830:                            ;   in Loop: Header=BB6_14474 Depth=3
	s_or_b32 exec_lo, exec_lo, s35
	s_delay_alu instid0(SALU_CYCLE_1)
	s_and_b32 s13, s13, exec_lo
                                        ; implicit-def: $vgpr101
	s_or_saveexec_b32 s34, s34
	v_mov_b32_e32 v38, s31
	s_xor_b32 exec_lo, exec_lo, s34
	s_cbranch_execz .LBB6_15246
.LBB6_15831:                            ;   in Loop: Header=BB6_14474 Depth=3
	v_cmp_ne_u16_e32 vcc_lo, 0, v101
	v_mov_b32_e32 v38, 0
	s_and_not1_b32 s13, s13, exec_lo
	s_and_b32 vcc_lo, vcc_lo, exec_lo
	s_delay_alu instid0(SALU_CYCLE_1)
	s_or_b32 s13, s13, vcc_lo
	s_or_b32 exec_lo, exec_lo, s34
	s_and_saveexec_b32 s31, s13
	s_cbranch_execnz .LBB6_15247
	s_branch .LBB6_15248
.LBB6_15832:                            ;   in Loop: Header=BB6_14474 Depth=3
	s_mov_b32 s13, -1
	s_mov_b32 s35, exec_lo
                                        ; implicit-def: $sgpr31
	v_cmpx_eq_u16_e32 0x80, v49
; %bb.15833:                            ;   in Loop: Header=BB6_14474 Depth=3
	s_mov_b32 s31, 0x7f800001
	s_xor_b32 s13, exec_lo, -1
; %bb.15834:                            ;   in Loop: Header=BB6_14474 Depth=3
	s_or_b32 exec_lo, exec_lo, s35
	s_delay_alu instid0(SALU_CYCLE_1)
	s_and_b32 s13, s13, exec_lo
                                        ; implicit-def: $vgpr49
	s_or_saveexec_b32 s34, s34
	v_mov_b32_e32 v38, s31
	s_xor_b32 exec_lo, exec_lo, s34
	s_cbranch_execz .LBB6_15260
.LBB6_15835:                            ;   in Loop: Header=BB6_14474 Depth=3
	v_cmp_ne_u16_e32 vcc_lo, 0, v49
	v_mov_b32_e32 v38, 0
	s_and_not1_b32 s13, s13, exec_lo
	s_and_b32 vcc_lo, vcc_lo, exec_lo
	s_delay_alu instid0(SALU_CYCLE_1)
	s_or_b32 s13, s13, vcc_lo
	s_or_b32 exec_lo, exec_lo, s34
	s_and_saveexec_b32 s31, s13
	s_cbranch_execnz .LBB6_15261
	s_branch .LBB6_15262
.LBB6_15836:                            ;   in Loop: Header=BB6_14474 Depth=3
	s_mov_b32 s13, -1
	s_mov_b32 s35, exec_lo
                                        ; implicit-def: $sgpr31
	v_cmpx_eq_u16_e32 0x80, v101
; %bb.15837:                            ;   in Loop: Header=BB6_14474 Depth=3
	s_mov_b32 s31, 0x7f800001
	s_xor_b32 s13, exec_lo, -1
; %bb.15838:                            ;   in Loop: Header=BB6_14474 Depth=3
	s_or_b32 exec_lo, exec_lo, s35
	s_delay_alu instid0(SALU_CYCLE_1)
	s_and_b32 s13, s13, exec_lo
                                        ; implicit-def: $vgpr101
	s_or_saveexec_b32 s34, s34
	v_mov_b32_e32 v49, s31
	s_xor_b32 exec_lo, exec_lo, s34
	s_cbranch_execz .LBB6_15264
.LBB6_15839:                            ;   in Loop: Header=BB6_14474 Depth=3
	v_cmp_ne_u16_e32 vcc_lo, 0, v101
	v_mov_b32_e32 v49, 0
	s_and_not1_b32 s13, s13, exec_lo
	s_and_b32 vcc_lo, vcc_lo, exec_lo
	s_delay_alu instid0(SALU_CYCLE_1)
	s_or_b32 s13, s13, vcc_lo
	s_or_b32 exec_lo, exec_lo, s34
	s_and_saveexec_b32 s31, s13
	s_cbranch_execnz .LBB6_15265
	s_branch .LBB6_15266
.LBB6_15840:                            ;   in Loop: Header=BB6_14474 Depth=3
	s_mov_b32 s13, -1
	s_mov_b32 s35, exec_lo
                                        ; implicit-def: $sgpr31
	v_cmpx_eq_u16_e32 0x80, v49
; %bb.15841:                            ;   in Loop: Header=BB6_14474 Depth=3
	s_mov_b32 s31, 0x7f800001
	s_xor_b32 s13, exec_lo, -1
; %bb.15842:                            ;   in Loop: Header=BB6_14474 Depth=3
	s_or_b32 exec_lo, exec_lo, s35
	s_delay_alu instid0(SALU_CYCLE_1)
	s_and_b32 s13, s13, exec_lo
                                        ; implicit-def: $vgpr49
	s_or_saveexec_b32 s34, s34
	v_mov_b32_e32 v38, s31
	s_xor_b32 exec_lo, exec_lo, s34
	s_cbranch_execz .LBB6_15271
.LBB6_15843:                            ;   in Loop: Header=BB6_14474 Depth=3
	v_cmp_ne_u16_e32 vcc_lo, 0, v49
	v_mov_b32_e32 v38, 0
	s_and_not1_b32 s13, s13, exec_lo
	s_and_b32 vcc_lo, vcc_lo, exec_lo
	s_delay_alu instid0(SALU_CYCLE_1)
	s_or_b32 s13, s13, vcc_lo
	s_or_b32 exec_lo, exec_lo, s34
	s_and_saveexec_b32 s31, s13
	s_cbranch_execnz .LBB6_15272
	s_branch .LBB6_15273
.LBB6_15844:                            ;   in Loop: Header=BB6_14474 Depth=3
	s_mov_b32 s13, -1
	s_mov_b32 s35, exec_lo
                                        ; implicit-def: $sgpr31
	v_cmpx_eq_u16_e32 0x80, v49
; %bb.15845:                            ;   in Loop: Header=BB6_14474 Depth=3
	s_mov_b32 s31, 0x7f800001
	s_xor_b32 s13, exec_lo, -1
; %bb.15846:                            ;   in Loop: Header=BB6_14474 Depth=3
	s_or_b32 exec_lo, exec_lo, s35
	s_delay_alu instid0(SALU_CYCLE_1)
	s_and_b32 s13, s13, exec_lo
                                        ; implicit-def: $vgpr49
	s_or_saveexec_b32 s34, s34
	v_mov_b32_e32 v35, s31
	s_xor_b32 exec_lo, exec_lo, s34
	s_cbranch_execz .LBB6_15275
.LBB6_15847:                            ;   in Loop: Header=BB6_14474 Depth=3
	v_cmp_ne_u16_e32 vcc_lo, 0, v49
	v_mov_b32_e32 v35, 0
	s_and_not1_b32 s13, s13, exec_lo
	s_and_b32 vcc_lo, vcc_lo, exec_lo
	s_delay_alu instid0(SALU_CYCLE_1)
	s_or_b32 s13, s13, vcc_lo
	s_or_b32 exec_lo, exec_lo, s34
	s_and_saveexec_b32 s31, s13
	s_cbranch_execnz .LBB6_15276
	s_branch .LBB6_15277
.LBB6_15848:                            ;   in Loop: Header=BB6_14474 Depth=3
	s_mov_b32 s13, -1
	s_mov_b32 s35, exec_lo
                                        ; implicit-def: $sgpr31
	v_cmpx_eq_u16_e32 0x80, v38
; %bb.15849:                            ;   in Loop: Header=BB6_14474 Depth=3
	s_mov_b32 s31, 0x7f800001
	s_xor_b32 s13, exec_lo, -1
; %bb.15850:                            ;   in Loop: Header=BB6_14474 Depth=3
	s_or_b32 exec_lo, exec_lo, s35
	s_delay_alu instid0(SALU_CYCLE_1)
	s_and_b32 s13, s13, exec_lo
                                        ; implicit-def: $vgpr38
	s_or_saveexec_b32 s34, s34
	v_mov_b32_e32 v35, s31
	s_xor_b32 exec_lo, exec_lo, s34
	s_cbranch_execz .LBB6_15289
.LBB6_15851:                            ;   in Loop: Header=BB6_14474 Depth=3
	v_cmp_ne_u16_e32 vcc_lo, 0, v38
	v_mov_b32_e32 v35, 0
	s_and_not1_b32 s13, s13, exec_lo
	s_and_b32 vcc_lo, vcc_lo, exec_lo
	s_delay_alu instid0(SALU_CYCLE_1)
	s_or_b32 s13, s13, vcc_lo
	s_or_b32 exec_lo, exec_lo, s34
	s_and_saveexec_b32 s31, s13
	s_cbranch_execnz .LBB6_15290
	s_branch .LBB6_15291
.LBB6_15852:                            ;   in Loop: Header=BB6_14474 Depth=3
	s_mov_b32 s13, -1
	s_mov_b32 s35, exec_lo
                                        ; implicit-def: $sgpr31
	v_cmpx_eq_u16_e32 0x80, v49
; %bb.15853:                            ;   in Loop: Header=BB6_14474 Depth=3
	s_mov_b32 s31, 0x7f800001
	s_xor_b32 s13, exec_lo, -1
; %bb.15854:                            ;   in Loop: Header=BB6_14474 Depth=3
	s_or_b32 exec_lo, exec_lo, s35
	s_delay_alu instid0(SALU_CYCLE_1)
	s_and_b32 s13, s13, exec_lo
                                        ; implicit-def: $vgpr49
	s_or_saveexec_b32 s34, s34
	v_mov_b32_e32 v38, s31
	s_xor_b32 exec_lo, exec_lo, s34
	s_cbranch_execz .LBB6_15293
.LBB6_15855:                            ;   in Loop: Header=BB6_14474 Depth=3
	v_cmp_ne_u16_e32 vcc_lo, 0, v49
	v_mov_b32_e32 v38, 0
	s_and_not1_b32 s13, s13, exec_lo
	s_and_b32 vcc_lo, vcc_lo, exec_lo
	s_delay_alu instid0(SALU_CYCLE_1)
	s_or_b32 s13, s13, vcc_lo
	s_or_b32 exec_lo, exec_lo, s34
	s_and_saveexec_b32 s31, s13
	s_cbranch_execnz .LBB6_15294
	s_branch .LBB6_15295
.LBB6_15856:                            ;   in Loop: Header=BB6_14474 Depth=3
	s_mov_b32 s13, -1
	s_mov_b32 s35, exec_lo
                                        ; implicit-def: $sgpr31
	v_cmpx_eq_u16_e32 0x80, v38
; %bb.15857:                            ;   in Loop: Header=BB6_14474 Depth=3
	s_mov_b32 s31, 0x7f800001
	s_xor_b32 s13, exec_lo, -1
; %bb.15858:                            ;   in Loop: Header=BB6_14474 Depth=3
	s_or_b32 exec_lo, exec_lo, s35
	s_delay_alu instid0(SALU_CYCLE_1)
	s_and_b32 s13, s13, exec_lo
                                        ; implicit-def: $vgpr38
	s_or_saveexec_b32 s34, s34
	v_mov_b32_e32 v35, s31
	s_xor_b32 exec_lo, exec_lo, s34
	s_cbranch_execz .LBB6_15300
.LBB6_15859:                            ;   in Loop: Header=BB6_14474 Depth=3
	v_cmp_ne_u16_e32 vcc_lo, 0, v38
	v_mov_b32_e32 v35, 0
	s_and_not1_b32 s13, s13, exec_lo
	s_and_b32 vcc_lo, vcc_lo, exec_lo
	s_delay_alu instid0(SALU_CYCLE_1)
	s_or_b32 s13, s13, vcc_lo
	s_or_b32 exec_lo, exec_lo, s34
	s_and_saveexec_b32 s31, s13
	s_cbranch_execnz .LBB6_15301
	s_branch .LBB6_15302
.LBB6_15860:                            ;   in Loop: Header=BB6_14474 Depth=3
	s_mov_b32 s13, -1
	s_mov_b32 s35, exec_lo
                                        ; implicit-def: $sgpr31
	v_cmpx_eq_u16_e32 0x80, v38
; %bb.15861:                            ;   in Loop: Header=BB6_14474 Depth=3
	s_mov_b32 s31, 0x7f800001
	s_xor_b32 s13, exec_lo, -1
; %bb.15862:                            ;   in Loop: Header=BB6_14474 Depth=3
	s_or_b32 exec_lo, exec_lo, s35
	s_delay_alu instid0(SALU_CYCLE_1)
	s_and_b32 s13, s13, exec_lo
                                        ; implicit-def: $vgpr38
	s_or_saveexec_b32 s34, s34
	v_mov_b32_e32 v32, s31
	s_xor_b32 exec_lo, exec_lo, s34
	s_cbranch_execz .LBB6_15304
.LBB6_15863:                            ;   in Loop: Header=BB6_14474 Depth=3
	v_cmp_ne_u16_e32 vcc_lo, 0, v38
	v_mov_b32_e32 v32, 0
	s_and_not1_b32 s13, s13, exec_lo
	s_and_b32 vcc_lo, vcc_lo, exec_lo
	s_delay_alu instid0(SALU_CYCLE_1)
	s_or_b32 s13, s13, vcc_lo
	s_or_b32 exec_lo, exec_lo, s34
	s_and_saveexec_b32 s31, s13
	s_cbranch_execnz .LBB6_15305
	s_branch .LBB6_15306
.LBB6_15864:                            ;   in Loop: Header=BB6_14474 Depth=3
	s_mov_b32 s13, -1
	s_mov_b32 s35, exec_lo
                                        ; implicit-def: $sgpr31
	v_cmpx_eq_u16_e32 0x80, v35
; %bb.15865:                            ;   in Loop: Header=BB6_14474 Depth=3
	s_mov_b32 s31, 0x7f800001
	s_xor_b32 s13, exec_lo, -1
; %bb.15866:                            ;   in Loop: Header=BB6_14474 Depth=3
	s_or_b32 exec_lo, exec_lo, s35
	s_delay_alu instid0(SALU_CYCLE_1)
	s_and_b32 s13, s13, exec_lo
                                        ; implicit-def: $vgpr35
	s_or_saveexec_b32 s34, s34
	v_mov_b32_e32 v32, s31
	s_xor_b32 exec_lo, exec_lo, s34
	s_cbranch_execz .LBB6_15318
.LBB6_15867:                            ;   in Loop: Header=BB6_14474 Depth=3
	v_cmp_ne_u16_e32 vcc_lo, 0, v35
	v_mov_b32_e32 v32, 0
	s_and_not1_b32 s13, s13, exec_lo
	s_and_b32 vcc_lo, vcc_lo, exec_lo
	s_delay_alu instid0(SALU_CYCLE_1)
	s_or_b32 s13, s13, vcc_lo
	s_or_b32 exec_lo, exec_lo, s34
	s_and_saveexec_b32 s31, s13
	s_cbranch_execnz .LBB6_15319
	s_branch .LBB6_15320
.LBB6_15868:                            ;   in Loop: Header=BB6_14474 Depth=3
	s_mov_b32 s13, -1
	s_mov_b32 s35, exec_lo
                                        ; implicit-def: $sgpr31
	v_cmpx_eq_u16_e32 0x80, v38
; %bb.15869:                            ;   in Loop: Header=BB6_14474 Depth=3
	s_mov_b32 s31, 0x7f800001
	s_xor_b32 s13, exec_lo, -1
; %bb.15870:                            ;   in Loop: Header=BB6_14474 Depth=3
	s_or_b32 exec_lo, exec_lo, s35
	s_delay_alu instid0(SALU_CYCLE_1)
	s_and_b32 s13, s13, exec_lo
                                        ; implicit-def: $vgpr38
	s_or_saveexec_b32 s34, s34
	v_mov_b32_e32 v35, s31
	s_xor_b32 exec_lo, exec_lo, s34
	s_cbranch_execz .LBB6_15322
.LBB6_15871:                            ;   in Loop: Header=BB6_14474 Depth=3
	v_cmp_ne_u16_e32 vcc_lo, 0, v38
	v_mov_b32_e32 v35, 0
	s_and_not1_b32 s13, s13, exec_lo
	s_and_b32 vcc_lo, vcc_lo, exec_lo
	s_delay_alu instid0(SALU_CYCLE_1)
	s_or_b32 s13, s13, vcc_lo
	s_or_b32 exec_lo, exec_lo, s34
	s_and_saveexec_b32 s31, s13
	s_cbranch_execnz .LBB6_15323
	s_branch .LBB6_15324
.LBB6_15872:                            ;   in Loop: Header=BB6_14474 Depth=3
	s_mov_b32 s13, -1
	s_mov_b32 s35, exec_lo
                                        ; implicit-def: $sgpr31
	v_cmpx_eq_u16_e32 0x80, v35
; %bb.15873:                            ;   in Loop: Header=BB6_14474 Depth=3
	s_mov_b32 s31, 0x7f800001
	s_xor_b32 s13, exec_lo, -1
; %bb.15874:                            ;   in Loop: Header=BB6_14474 Depth=3
	s_or_b32 exec_lo, exec_lo, s35
	s_delay_alu instid0(SALU_CYCLE_1)
	s_and_b32 s13, s13, exec_lo
                                        ; implicit-def: $vgpr35
	s_or_saveexec_b32 s34, s34
	v_mov_b32_e32 v32, s31
	s_xor_b32 exec_lo, exec_lo, s34
	s_cbranch_execz .LBB6_15329
.LBB6_15875:                            ;   in Loop: Header=BB6_14474 Depth=3
	v_cmp_ne_u16_e32 vcc_lo, 0, v35
	v_mov_b32_e32 v32, 0
	s_and_not1_b32 s13, s13, exec_lo
	s_and_b32 vcc_lo, vcc_lo, exec_lo
	s_delay_alu instid0(SALU_CYCLE_1)
	s_or_b32 s13, s13, vcc_lo
	s_or_b32 exec_lo, exec_lo, s34
	s_and_saveexec_b32 s31, s13
	s_cbranch_execnz .LBB6_15330
	s_branch .LBB6_15331
.LBB6_15876:                            ;   in Loop: Header=BB6_14474 Depth=3
	s_mov_b32 s13, -1
	s_mov_b32 s35, exec_lo
                                        ; implicit-def: $sgpr31
	v_cmpx_eq_u16_e32 0x80, v35
; %bb.15877:                            ;   in Loop: Header=BB6_14474 Depth=3
	s_mov_b32 s31, 0x7f800001
	s_xor_b32 s13, exec_lo, -1
; %bb.15878:                            ;   in Loop: Header=BB6_14474 Depth=3
	s_or_b32 exec_lo, exec_lo, s35
	s_delay_alu instid0(SALU_CYCLE_1)
	s_and_b32 s13, s13, exec_lo
                                        ; implicit-def: $vgpr35
	s_or_saveexec_b32 s34, s34
	v_mov_b32_e32 v25, s31
	s_xor_b32 exec_lo, exec_lo, s34
	s_cbranch_execz .LBB6_15333
.LBB6_15879:                            ;   in Loop: Header=BB6_14474 Depth=3
	v_cmp_ne_u16_e32 vcc_lo, 0, v35
	v_mov_b32_e32 v25, 0
	s_and_not1_b32 s13, s13, exec_lo
	s_and_b32 vcc_lo, vcc_lo, exec_lo
	s_delay_alu instid0(SALU_CYCLE_1)
	s_or_b32 s13, s13, vcc_lo
	s_or_b32 exec_lo, exec_lo, s34
	s_and_saveexec_b32 s31, s13
	s_cbranch_execnz .LBB6_15334
	s_branch .LBB6_15335
.LBB6_15880:                            ;   in Loop: Header=BB6_14474 Depth=3
	s_mov_b32 s13, -1
	s_mov_b32 s35, exec_lo
                                        ; implicit-def: $sgpr31
	v_cmpx_eq_u16_e32 0x80, v32
; %bb.15881:                            ;   in Loop: Header=BB6_14474 Depth=3
	s_mov_b32 s31, 0x7f800001
	s_xor_b32 s13, exec_lo, -1
; %bb.15882:                            ;   in Loop: Header=BB6_14474 Depth=3
	s_or_b32 exec_lo, exec_lo, s35
	s_delay_alu instid0(SALU_CYCLE_1)
	s_and_b32 s13, s13, exec_lo
                                        ; implicit-def: $vgpr32
	s_or_saveexec_b32 s34, s34
	v_mov_b32_e32 v25, s31
	s_xor_b32 exec_lo, exec_lo, s34
	s_cbranch_execz .LBB6_15347
.LBB6_15883:                            ;   in Loop: Header=BB6_14474 Depth=3
	v_cmp_ne_u16_e32 vcc_lo, 0, v32
	v_mov_b32_e32 v25, 0
	s_and_not1_b32 s13, s13, exec_lo
	s_and_b32 vcc_lo, vcc_lo, exec_lo
	s_delay_alu instid0(SALU_CYCLE_1)
	s_or_b32 s13, s13, vcc_lo
	s_or_b32 exec_lo, exec_lo, s34
	s_and_saveexec_b32 s31, s13
	s_cbranch_execnz .LBB6_15348
	s_branch .LBB6_15349
.LBB6_15884:                            ;   in Loop: Header=BB6_14474 Depth=3
	s_mov_b32 s13, -1
	s_mov_b32 s35, exec_lo
                                        ; implicit-def: $sgpr31
	v_cmpx_eq_u16_e32 0x80, v35
; %bb.15885:                            ;   in Loop: Header=BB6_14474 Depth=3
	s_mov_b32 s31, 0x7f800001
	s_xor_b32 s13, exec_lo, -1
; %bb.15886:                            ;   in Loop: Header=BB6_14474 Depth=3
	s_or_b32 exec_lo, exec_lo, s35
	s_delay_alu instid0(SALU_CYCLE_1)
	s_and_b32 s13, s13, exec_lo
                                        ; implicit-def: $vgpr35
	s_or_saveexec_b32 s34, s34
	v_mov_b32_e32 v32, s31
	s_xor_b32 exec_lo, exec_lo, s34
	s_cbranch_execz .LBB6_15351
.LBB6_15887:                            ;   in Loop: Header=BB6_14474 Depth=3
	v_cmp_ne_u16_e32 vcc_lo, 0, v35
	v_mov_b32_e32 v32, 0
	s_and_not1_b32 s13, s13, exec_lo
	s_and_b32 vcc_lo, vcc_lo, exec_lo
	s_delay_alu instid0(SALU_CYCLE_1)
	s_or_b32 s13, s13, vcc_lo
	s_or_b32 exec_lo, exec_lo, s34
	s_and_saveexec_b32 s31, s13
	s_cbranch_execnz .LBB6_15352
	s_branch .LBB6_15353
.LBB6_15888:                            ;   in Loop: Header=BB6_14474 Depth=3
	s_mov_b32 s13, -1
	s_mov_b32 s35, exec_lo
                                        ; implicit-def: $sgpr31
	v_cmpx_eq_u16_e32 0x80, v32
; %bb.15889:                            ;   in Loop: Header=BB6_14474 Depth=3
	s_mov_b32 s31, 0x7f800001
	s_xor_b32 s13, exec_lo, -1
; %bb.15890:                            ;   in Loop: Header=BB6_14474 Depth=3
	s_or_b32 exec_lo, exec_lo, s35
	s_delay_alu instid0(SALU_CYCLE_1)
	s_and_b32 s13, s13, exec_lo
                                        ; implicit-def: $vgpr32
	s_or_saveexec_b32 s34, s34
	v_mov_b32_e32 v25, s31
	s_xor_b32 exec_lo, exec_lo, s34
	s_cbranch_execz .LBB6_15358
.LBB6_15891:                            ;   in Loop: Header=BB6_14474 Depth=3
	v_cmp_ne_u16_e32 vcc_lo, 0, v32
	v_mov_b32_e32 v25, 0
	s_and_not1_b32 s13, s13, exec_lo
	s_and_b32 vcc_lo, vcc_lo, exec_lo
	s_delay_alu instid0(SALU_CYCLE_1)
	s_or_b32 s13, s13, vcc_lo
	s_or_b32 exec_lo, exec_lo, s34
	s_and_saveexec_b32 s31, s13
	s_cbranch_execnz .LBB6_15359
	s_branch .LBB6_15360
.LBB6_15892:                            ;   in Loop: Header=BB6_14474 Depth=3
	s_mov_b32 s13, -1
	s_mov_b32 s35, exec_lo
                                        ; implicit-def: $sgpr31
	v_cmpx_eq_u16_e32 0x80, v32
; %bb.15893:                            ;   in Loop: Header=BB6_14474 Depth=3
	s_mov_b32 s31, 0x7f800001
	s_xor_b32 s13, exec_lo, -1
; %bb.15894:                            ;   in Loop: Header=BB6_14474 Depth=3
	s_or_b32 exec_lo, exec_lo, s35
	s_delay_alu instid0(SALU_CYCLE_1)
	s_and_b32 s13, s13, exec_lo
                                        ; implicit-def: $vgpr32
	s_or_saveexec_b32 s34, s34
	v_mov_b32_e32 v22, s31
	s_xor_b32 exec_lo, exec_lo, s34
	s_cbranch_execz .LBB6_15362
.LBB6_15895:                            ;   in Loop: Header=BB6_14474 Depth=3
	v_cmp_ne_u16_e32 vcc_lo, 0, v32
	v_mov_b32_e32 v22, 0
	s_and_not1_b32 s13, s13, exec_lo
	s_and_b32 vcc_lo, vcc_lo, exec_lo
	s_delay_alu instid0(SALU_CYCLE_1)
	s_or_b32 s13, s13, vcc_lo
	s_or_b32 exec_lo, exec_lo, s34
	s_and_saveexec_b32 s31, s13
	s_cbranch_execnz .LBB6_15363
	s_branch .LBB6_15364
.LBB6_15896:                            ;   in Loop: Header=BB6_14474 Depth=3
	s_mov_b32 s13, -1
	s_mov_b32 s35, exec_lo
                                        ; implicit-def: $sgpr31
	v_cmpx_eq_u16_e32 0x80, v25
; %bb.15897:                            ;   in Loop: Header=BB6_14474 Depth=3
	s_mov_b32 s31, 0x7f800001
	s_xor_b32 s13, exec_lo, -1
; %bb.15898:                            ;   in Loop: Header=BB6_14474 Depth=3
	s_or_b32 exec_lo, exec_lo, s35
	s_delay_alu instid0(SALU_CYCLE_1)
	s_and_b32 s13, s13, exec_lo
                                        ; implicit-def: $vgpr25
	s_or_saveexec_b32 s34, s34
	v_mov_b32_e32 v22, s31
	s_xor_b32 exec_lo, exec_lo, s34
	s_cbranch_execz .LBB6_15376
.LBB6_15899:                            ;   in Loop: Header=BB6_14474 Depth=3
	v_cmp_ne_u16_e32 vcc_lo, 0, v25
	v_mov_b32_e32 v22, 0
	s_and_not1_b32 s13, s13, exec_lo
	s_and_b32 vcc_lo, vcc_lo, exec_lo
	s_delay_alu instid0(SALU_CYCLE_1)
	s_or_b32 s13, s13, vcc_lo
	s_or_b32 exec_lo, exec_lo, s34
	s_and_saveexec_b32 s31, s13
	s_cbranch_execnz .LBB6_15377
	s_branch .LBB6_15378
.LBB6_15900:                            ;   in Loop: Header=BB6_14474 Depth=3
	s_mov_b32 s13, -1
	s_mov_b32 s35, exec_lo
                                        ; implicit-def: $sgpr31
	v_cmpx_eq_u16_e32 0x80, v32
; %bb.15901:                            ;   in Loop: Header=BB6_14474 Depth=3
	s_mov_b32 s31, 0x7f800001
	s_xor_b32 s13, exec_lo, -1
; %bb.15902:                            ;   in Loop: Header=BB6_14474 Depth=3
	s_or_b32 exec_lo, exec_lo, s35
	s_delay_alu instid0(SALU_CYCLE_1)
	s_and_b32 s13, s13, exec_lo
                                        ; implicit-def: $vgpr32
	s_or_saveexec_b32 s34, s34
	v_mov_b32_e32 v25, s31
	s_xor_b32 exec_lo, exec_lo, s34
	s_cbranch_execz .LBB6_15380
.LBB6_15903:                            ;   in Loop: Header=BB6_14474 Depth=3
	v_cmp_ne_u16_e32 vcc_lo, 0, v32
	v_mov_b32_e32 v25, 0
	s_and_not1_b32 s13, s13, exec_lo
	s_and_b32 vcc_lo, vcc_lo, exec_lo
	s_delay_alu instid0(SALU_CYCLE_1)
	s_or_b32 s13, s13, vcc_lo
	s_or_b32 exec_lo, exec_lo, s34
	s_and_saveexec_b32 s31, s13
	s_cbranch_execnz .LBB6_15381
	s_branch .LBB6_15382
.LBB6_15904:                            ;   in Loop: Header=BB6_14474 Depth=3
	s_mov_b32 s13, -1
	s_mov_b32 s35, exec_lo
                                        ; implicit-def: $sgpr31
	v_cmpx_eq_u16_e32 0x80, v25
; %bb.15905:                            ;   in Loop: Header=BB6_14474 Depth=3
	s_mov_b32 s31, 0x7f800001
	s_xor_b32 s13, exec_lo, -1
; %bb.15906:                            ;   in Loop: Header=BB6_14474 Depth=3
	s_or_b32 exec_lo, exec_lo, s35
	s_delay_alu instid0(SALU_CYCLE_1)
	s_and_b32 s13, s13, exec_lo
                                        ; implicit-def: $vgpr25
	s_or_saveexec_b32 s34, s34
	v_mov_b32_e32 v22, s31
	s_xor_b32 exec_lo, exec_lo, s34
	s_cbranch_execz .LBB6_15387
.LBB6_15907:                            ;   in Loop: Header=BB6_14474 Depth=3
	v_cmp_ne_u16_e32 vcc_lo, 0, v25
	v_mov_b32_e32 v22, 0
	s_and_not1_b32 s13, s13, exec_lo
	s_and_b32 vcc_lo, vcc_lo, exec_lo
	s_delay_alu instid0(SALU_CYCLE_1)
	s_or_b32 s13, s13, vcc_lo
	s_or_b32 exec_lo, exec_lo, s34
	s_and_saveexec_b32 s31, s13
	s_cbranch_execnz .LBB6_15388
	s_branch .LBB6_15389
.LBB6_15908:                            ;   in Loop: Header=BB6_14474 Depth=3
	s_mov_b32 s13, -1
	s_mov_b32 s35, exec_lo
                                        ; implicit-def: $sgpr31
	v_cmpx_eq_u16_e32 0x80, v25
; %bb.15909:                            ;   in Loop: Header=BB6_14474 Depth=3
	s_mov_b32 s31, 0x7f800001
	s_xor_b32 s13, exec_lo, -1
; %bb.15910:                            ;   in Loop: Header=BB6_14474 Depth=3
	s_or_b32 exec_lo, exec_lo, s35
	s_delay_alu instid0(SALU_CYCLE_1)
	s_and_b32 s13, s13, exec_lo
                                        ; implicit-def: $vgpr25
	s_or_saveexec_b32 s34, s34
	v_mov_b32_e32 v19, s31
	s_xor_b32 exec_lo, exec_lo, s34
	s_cbranch_execz .LBB6_15391
.LBB6_15911:                            ;   in Loop: Header=BB6_14474 Depth=3
	v_cmp_ne_u16_e32 vcc_lo, 0, v25
	v_mov_b32_e32 v19, 0
	s_and_not1_b32 s13, s13, exec_lo
	s_and_b32 vcc_lo, vcc_lo, exec_lo
	s_delay_alu instid0(SALU_CYCLE_1)
	s_or_b32 s13, s13, vcc_lo
	s_or_b32 exec_lo, exec_lo, s34
	s_and_saveexec_b32 s31, s13
	s_cbranch_execnz .LBB6_15392
	s_branch .LBB6_15393
.LBB6_15912:                            ;   in Loop: Header=BB6_5644 Depth=2
	s_or_b32 exec_lo, exec_lo, s17
.LBB6_15913:                            ;   in Loop: Header=BB6_5644 Depth=2
	s_delay_alu instid0(SALU_CYCLE_1) | instskip(SKIP_2) | instid1(VALU_DEP_1)
	s_or_b32 exec_lo, exec_lo, s15
	v_lshlrev_b32_e32 v8, 10, v17
	s_mov_b32 s15, exec_lo
	v_cmpx_ne_u32_e64 v15, v8
	s_cbranch_execz .LBB6_15963
; %bb.15914:                            ;   in Loop: Header=BB6_5644 Depth=2
	v_ashrrev_i32_e32 v9, 31, v16
	v_lshlrev_b32_e32 v2, 5, v2
	s_delay_alu instid0(VALU_DEP_2) | instskip(NEXT) | instid1(VALU_DEP_1)
	v_lshrrev_b32_e32 v9, 27, v9
	v_add_nc_u32_e32 v9, v16, v9
	s_delay_alu instid0(VALU_DEP_1) | instskip(NEXT) | instid1(VALU_DEP_1)
	v_and_b32_e32 v9, 0xffffffe0, v9
	v_sub_nc_u32_e32 v9, v16, v9
	s_delay_alu instid0(VALU_DEP_1) | instskip(NEXT) | instid1(VALU_DEP_1)
	v_sub_nc_u32_e32 v2, v9, v2
	v_add_nc_u32_e32 v8, v8, v2
	s_delay_alu instid0(VALU_DEP_1) | instskip(NEXT) | instid1(VALU_DEP_1)
	v_sub_nc_u32_e32 v2, v15, v8
	v_cmp_lt_i32_e32 vcc_lo, 0, v2
	s_and_b32 exec_lo, exec_lo, vcc_lo
	s_cbranch_execz .LBB6_15963
; %bb.15915:                            ;   in Loop: Header=BB6_5644 Depth=2
	s_cbranch_execnz .LBB6_17088
; %bb.15916:                            ;   in Loop: Header=BB6_5644 Depth=2
	ds_load_b128 v[9:12], v0
	ds_load_b64 v[15:16], v0
	v_add_nc_u32_e32 v13, v8, v14
	s_bitcmp1_b32 s30, 0
	s_mov_b32 s16, 0
	s_cselect_b32 s17, -1, 0
	s_delay_alu instid0(VALU_DEP_1) | instskip(SKIP_2) | instid1(VALU_DEP_2)
	v_ashrrev_i32_e32 v14, 31, v13
	s_waitcnt lgkmcnt(1)
	v_add_co_u32 v8, vcc_lo, v9, v13
	v_add_co_ci_u32_e32 v9, vcc_lo, v10, v14, vcc_lo
	v_add_co_u32 v10, vcc_lo, v11, v13
	v_add_co_ci_u32_e32 v11, vcc_lo, v12, v14, vcc_lo
	s_waitcnt lgkmcnt(0)
	v_add_co_u32 v12, vcc_lo, v15, v13
	v_add_co_ci_u32_e32 v13, vcc_lo, v16, v14, vcc_lo
	s_branch .LBB6_15920
.LBB6_15917:                            ;   in Loop: Header=BB6_15920 Depth=3
	s_or_b32 exec_lo, exec_lo, s13
	s_delay_alu instid0(VALU_DEP_1) | instskip(NEXT) | instid1(VALU_DEP_2)
	v_lshrrev_b32_e32 v15, 20, v15
	v_cmp_gt_i32_e32 vcc_lo, 16, v14
	v_lshrrev_b32_e32 v16, 24, v18
	v_min_i32_e32 v17, 15, v14
	s_delay_alu instid0(VALU_DEP_2) | instskip(NEXT) | instid1(VALU_DEP_1)
	v_dual_cndmask_b32 v15, 7, v15 :: v_dual_and_b32 v16, 0x80, v16
	v_or_b32_e32 v14, v14, v15
	v_and_b32_e32 v18, 7, v15
	s_delay_alu instid0(VALU_DEP_2) | instskip(SKIP_1) | instid1(VALU_DEP_1)
	v_cmp_ne_u32_e32 vcc_lo, 0, v14
	v_lshlrev_b32_e32 v17, 3, v17
	v_or3_b32 v15, v17, v16, v18
	s_delay_alu instid0(VALU_DEP_1)
	v_cndmask_b32_e32 v14, 0, v15, vcc_lo
.LBB6_15918:                            ;   in Loop: Header=BB6_15920 Depth=3
	s_or_b32 exec_lo, exec_lo, s31
.LBB6_15919:                            ;   in Loop: Header=BB6_15920 Depth=3
	s_delay_alu instid0(SALU_CYCLE_1)
	s_or_b32 exec_lo, exec_lo, s30
	v_add_co_u32 v8, vcc_lo, v8, v162
	v_sub_nc_u32_e32 v2, v2, v147
	v_add_co_ci_u32_e32 v9, vcc_lo, v9, v163, vcc_lo
	v_add_co_u32 v10, vcc_lo, v10, v162
	v_add_co_ci_u32_e32 v11, vcc_lo, v11, v163, vcc_lo
	flat_store_b8 v[12:13], v14 glc slc dlc
	v_cmp_gt_i32_e32 vcc_lo, 1, v2
	v_add_co_u32 v12, s13, v12, v162
	s_delay_alu instid0(VALU_DEP_1) | instskip(SKIP_1) | instid1(SALU_CYCLE_1)
	v_add_co_ci_u32_e64 v13, s13, v13, v163, s13
	s_or_b32 s16, vcc_lo, s16
	s_and_not1_b32 exec_lo, exec_lo, s16
	s_cbranch_execz .LBB6_15963
.LBB6_15920:                            ;   Parent Loop BB6_51 Depth=1
                                        ;     Parent Loop BB6_5644 Depth=2
                                        ; =>    This Inner Loop Header: Depth=3
	flat_load_u8 v15, v[10:11] slc dlc
	flat_load_u8 v16, v[8:9] slc dlc
	s_waitcnt vmcnt(1) lgkmcnt(1)
	v_bfe_u32 v19, v15, 3, 4
	v_lshlrev_b32_e32 v20, 24, v15
	s_delay_alu instid0(VALU_DEP_2) | instskip(SKIP_1) | instid1(VALU_DEP_1)
	v_cmp_eq_u32_e32 vcc_lo, 0, v19
	v_and_b32_e32 v14, 7, v15
	v_clz_i32_u32_e32 v17, v14
	s_delay_alu instid0(VALU_DEP_1) | instskip(NEXT) | instid1(VALU_DEP_1)
	v_min_u32_e32 v17, 32, v17
	v_subrev_nc_u32_e32 v18, 28, v17
	v_sub_nc_u32_e32 v17, 29, v17
	s_delay_alu instid0(VALU_DEP_1) | instskip(NEXT) | instid1(VALU_DEP_1)
	v_dual_cndmask_b32 v17, v19, v17 :: v_dual_lshlrev_b32 v18, v18, v15
	v_and_b32_e32 v18, 7, v18
	s_delay_alu instid0(VALU_DEP_2) | instskip(SKIP_1) | instid1(VALU_DEP_2)
	v_lshl_add_u32 v19, v17, 23, 0x3b800000
	s_waitcnt vmcnt(0) lgkmcnt(0)
	v_dual_cndmask_b32 v14, v14, v18 :: v_dual_and_b32 v17, 0xff, v16
	v_and_b32_e32 v18, 0x80000000, v20
	s_and_b32 vcc_lo, exec_lo, s17
	s_delay_alu instid0(VALU_DEP_2) | instskip(NEXT) | instid1(VALU_DEP_3)
	v_cmp_lt_i16_e64 s13, 0x7f, v17
	v_lshlrev_b32_e32 v14, 20, v14
	s_delay_alu instid0(VALU_DEP_1)
	v_or3_b32 v14, v18, v19, v14
	s_cbranch_vccz .LBB6_15930
; %bb.15921:                            ;   in Loop: Header=BB6_15920 Depth=3
	s_mov_b32 s30, 0
                                        ; implicit-def: $sgpr31
	s_and_saveexec_b32 vcc_lo, s13
	s_delay_alu instid0(SALU_CYCLE_1)
	s_xor_b32 s13, exec_lo, vcc_lo
	s_cbranch_execnz .LBB6_15947
; %bb.15922:                            ;   in Loop: Header=BB6_15920 Depth=3
	s_or_saveexec_b32 s13, s13
	v_mov_b32_e32 v18, s31
	s_xor_b32 exec_lo, exec_lo, s13
	s_cbranch_execnz .LBB6_15950
.LBB6_15923:                            ;   in Loop: Header=BB6_15920 Depth=3
	s_or_b32 exec_lo, exec_lo, s13
	s_and_saveexec_b32 s13, s30
	s_cbranch_execz .LBB6_15925
.LBB6_15924:                            ;   in Loop: Header=BB6_15920 Depth=3
	v_lshrrev_b16 v21, 3, v16
	v_lshlrev_b32_e32 v22, 24, v16
	s_delay_alu instid0(VALU_DEP_2) | instskip(NEXT) | instid1(VALU_DEP_1)
	v_and_b32_e32 v21, 15, v21
	v_cmp_eq_u32_e32 vcc_lo, 0, v21
	v_and_b32_e32 v18, 7, v16
	s_delay_alu instid0(VALU_DEP_1) | instskip(NEXT) | instid1(VALU_DEP_1)
	v_clz_i32_u32_e32 v19, v18
	v_min_u32_e32 v19, 32, v19
	s_delay_alu instid0(VALU_DEP_1) | instskip(SKIP_1) | instid1(VALU_DEP_1)
	v_subrev_nc_u32_e32 v20, 28, v19
	v_sub_nc_u32_e32 v19, 29, v19
	v_dual_cndmask_b32 v19, v21, v19 :: v_dual_lshlrev_b32 v20, v20, v16
	s_delay_alu instid0(VALU_DEP_1) | instskip(NEXT) | instid1(VALU_DEP_2)
	v_and_b32_e32 v20, 7, v20
	v_lshl_add_u32 v19, v19, 23, 0x3b800000
	s_delay_alu instid0(VALU_DEP_2) | instskip(SKIP_1) | instid1(VALU_DEP_2)
	v_cndmask_b32_e32 v18, v18, v20, vcc_lo
	v_and_b32_e32 v20, 0x80000000, v22
	v_lshlrev_b32_e32 v18, 20, v18
	s_delay_alu instid0(VALU_DEP_1)
	v_or3_b32 v18, v20, v19, v18
.LBB6_15925:                            ;   in Loop: Header=BB6_15920 Depth=3
	s_or_b32 exec_lo, exec_lo, s13
	v_and_b32_e32 v19, 0xff, v15
	s_mov_b32 s13, 0
	s_mov_b32 s31, exec_lo
                                        ; implicit-def: $sgpr30
	s_delay_alu instid0(VALU_DEP_1)
	v_cmpx_lt_i16_e32 0x7f, v19
	s_xor_b32 s31, exec_lo, s31
	s_cbranch_execnz .LBB6_15951
; %bb.15926:                            ;   in Loop: Header=BB6_15920 Depth=3
	s_or_saveexec_b32 s31, s31
	v_mov_b32_e32 v20, s30
	s_xor_b32 exec_lo, exec_lo, s31
	s_cbranch_execnz .LBB6_15954
.LBB6_15927:                            ;   in Loop: Header=BB6_15920 Depth=3
	s_or_b32 exec_lo, exec_lo, s31
	s_and_saveexec_b32 vcc_lo, s13
.LBB6_15928:                            ;   in Loop: Header=BB6_15920 Depth=3
	v_mov_b32_e32 v20, v14
.LBB6_15929:                            ;   in Loop: Header=BB6_15920 Depth=3
	s_or_b32 exec_lo, exec_lo, vcc_lo
	s_delay_alu instid0(VALU_DEP_1) | instskip(SKIP_1) | instid1(VALU_DEP_1)
	v_dual_max_f32 v19, v20, v20 :: v_dual_max_f32 v18, v18, v18
	s_mov_b32 s13, 0
	v_max_f32_e32 v18, v18, v19
	s_branch .LBB6_15931
.LBB6_15930:                            ;   in Loop: Header=BB6_15920 Depth=3
	s_mov_b32 s13, -1
                                        ; implicit-def: $vgpr18
.LBB6_15931:                            ;   in Loop: Header=BB6_15920 Depth=3
	s_delay_alu instid0(SALU_CYCLE_1)
	s_and_b32 vcc_lo, exec_lo, s13
	s_cbranch_vccz .LBB6_15941
; %bb.15932:                            ;   in Loop: Header=BB6_15920 Depth=3
	s_mov_b32 s13, 0
	s_mov_b32 s31, exec_lo
                                        ; implicit-def: $sgpr30
	v_cmpx_lt_i16_e32 0x7f, v17
	s_xor_b32 s31, exec_lo, s31
	s_cbranch_execnz .LBB6_15955
; %bb.15933:                            ;   in Loop: Header=BB6_15920 Depth=3
	s_or_saveexec_b32 s31, s31
	v_mov_b32_e32 v18, s30
	s_xor_b32 exec_lo, exec_lo, s31
	s_cbranch_execnz .LBB6_15958
.LBB6_15934:                            ;   in Loop: Header=BB6_15920 Depth=3
	s_or_b32 exec_lo, exec_lo, s31
	s_and_saveexec_b32 s30, s13
	s_cbranch_execz .LBB6_15936
.LBB6_15935:                            ;   in Loop: Header=BB6_15920 Depth=3
	v_lshrrev_b16 v20, 3, v16
	s_delay_alu instid0(VALU_DEP_1) | instskip(NEXT) | instid1(VALU_DEP_1)
	v_and_b32_e32 v20, 15, v20
	v_cmp_eq_u32_e32 vcc_lo, 0, v20
	v_and_b32_e32 v17, 7, v16
	s_delay_alu instid0(VALU_DEP_1) | instskip(NEXT) | instid1(VALU_DEP_1)
	v_clz_i32_u32_e32 v18, v17
	v_min_u32_e32 v18, 32, v18
	s_delay_alu instid0(VALU_DEP_1) | instskip(SKIP_1) | instid1(VALU_DEP_1)
	v_subrev_nc_u32_e32 v19, 28, v18
	v_sub_nc_u32_e32 v18, 29, v18
	v_dual_cndmask_b32 v18, v20, v18 :: v_dual_lshlrev_b32 v19, v19, v16
	v_lshlrev_b32_e32 v16, 24, v16
	s_delay_alu instid0(VALU_DEP_2) | instskip(NEXT) | instid1(VALU_DEP_3)
	v_and_b32_e32 v19, 7, v19
	v_lshl_add_u32 v18, v18, 23, 0x3b800000
	s_delay_alu instid0(VALU_DEP_2) | instskip(NEXT) | instid1(VALU_DEP_1)
	v_dual_cndmask_b32 v17, v17, v19 :: v_dual_and_b32 v16, 0x80000000, v16
	v_lshlrev_b32_e32 v17, 20, v17
	s_delay_alu instid0(VALU_DEP_1)
	v_or3_b32 v18, v16, v18, v17
.LBB6_15936:                            ;   in Loop: Header=BB6_15920 Depth=3
	s_or_b32 exec_lo, exec_lo, s30
	v_and_b32_e32 v15, 0xff, v15
	s_mov_b32 s13, 0
	s_mov_b32 s31, exec_lo
                                        ; implicit-def: $sgpr30
	s_delay_alu instid0(VALU_DEP_1)
	v_cmpx_lt_i16_e32 0x7f, v15
	s_xor_b32 s31, exec_lo, s31
	s_cbranch_execnz .LBB6_15959
; %bb.15937:                            ;   in Loop: Header=BB6_15920 Depth=3
	s_or_saveexec_b32 s31, s31
	v_mov_b32_e32 v16, s30
	s_xor_b32 exec_lo, exec_lo, s31
	s_cbranch_execnz .LBB6_15962
.LBB6_15938:                            ;   in Loop: Header=BB6_15920 Depth=3
	s_or_b32 exec_lo, exec_lo, s31
	s_and_saveexec_b32 vcc_lo, s13
.LBB6_15939:                            ;   in Loop: Header=BB6_15920 Depth=3
	v_mov_b32_e32 v16, v14
.LBB6_15940:                            ;   in Loop: Header=BB6_15920 Depth=3
	s_or_b32 exec_lo, exec_lo, vcc_lo
	s_delay_alu instid0(VALU_DEP_1) | instskip(NEXT) | instid1(VALU_DEP_1)
	v_dual_max_f32 v14, v16, v16 :: v_dual_max_f32 v15, v18, v18
	v_min_f32_e32 v18, v15, v14
.LBB6_15941:                            ;   in Loop: Header=BB6_15920 Depth=3
	s_delay_alu instid0(VALU_DEP_1) | instskip(NEXT) | instid1(VALU_DEP_1)
	v_and_b32_e32 v14, 0x7f800000, v18
	v_cmp_ne_u32_e32 vcc_lo, 0x7f800000, v14
	v_mov_b32_e32 v14, 0x80
	s_and_saveexec_b32 s30, vcc_lo
	s_cbranch_execz .LBB6_15919
; %bb.15942:                            ;   in Loop: Header=BB6_15920 Depth=3
	v_mov_b32_e32 v14, 0
	s_mov_b32 s31, exec_lo
	v_cmpx_ne_u32_e32 0, v18
	s_cbranch_execz .LBB6_15918
; %bb.15943:                            ;   in Loop: Header=BB6_15920 Depth=3
	v_bfe_u32 v14, v18, 23, 8
	s_delay_alu instid0(VALU_DEP_1) | instskip(SKIP_1) | instid1(VALU_DEP_2)
	v_sub_nc_u32_e32 v16, 0x78, v14
	v_cmp_gt_u32_e32 vcc_lo, 0x79, v14
	v_dual_cndmask_b32 v16, 0, v16 :: v_dual_and_b32 v15, 0x7fffff, v18
	s_delay_alu instid0(VALU_DEP_1) | instskip(SKIP_2) | instid1(VALU_DEP_4)
	v_or_b32_e32 v17, 0x800000, v15
	v_cmp_eq_u32_e32 vcc_lo, 0, v14
	v_add_nc_u32_e32 v14, 0xffffff89, v14
	v_cndmask_b32_e64 v16, v16, 0x77, vcc_lo
	s_delay_alu instid0(VALU_DEP_4) | instskip(NEXT) | instid1(VALU_DEP_3)
	v_cndmask_b32_e32 v15, v17, v15, vcc_lo
	v_cndmask_b32_e64 v14, v14, 0xffffff8a, vcc_lo
	s_delay_alu instid0(VALU_DEP_3) | instskip(NEXT) | instid1(VALU_DEP_3)
	v_lshl_add_u32 v17, 0x100000, v16, -1
	v_lshrrev_b32_e32 v19, v16, v15
	v_lshlrev_b32_e64 v21, v16, 0x80000
	s_delay_alu instid0(VALU_DEP_4) | instskip(NEXT) | instid1(VALU_DEP_4)
	v_add_nc_u32_e32 v16, v16, v14
	v_and_b32_e32 v15, v17, v15
	s_delay_alu instid0(VALU_DEP_4) | instskip(NEXT) | instid1(VALU_DEP_2)
	v_bfe_u32 v20, v19, 20, 1
	v_cmp_eq_u32_e64 s13, v15, v21
	s_delay_alu instid0(VALU_DEP_2) | instskip(NEXT) | instid1(VALU_DEP_1)
	v_add_nc_u32_e32 v17, -1, v20
	v_cndmask_b32_e64 v15, 0, v17, s13
	v_lshrrev_b32_e32 v17, 23, v19
	s_mov_b32 s13, exec_lo
	s_delay_alu instid0(VALU_DEP_2) | instskip(NEXT) | instid1(VALU_DEP_2)
	v_add_nc_u32_e32 v15, v15, v19
	v_xor_b32_e32 v17, 1, v17
	s_delay_alu instid0(VALU_DEP_2) | instskip(NEXT) | instid1(VALU_DEP_1)
	v_and_b32_e32 v14, 0xfffff, v15
	v_add_nc_u32_e32 v15, v14, v19
                                        ; implicit-def: $vgpr14
	s_delay_alu instid0(VALU_DEP_3)
	v_cmpx_ne_u32_e64 v16, v17
	s_xor_b32 s13, exec_lo, s13
; %bb.15944:                            ;   in Loop: Header=BB6_15920 Depth=3
	s_delay_alu instid0(VALU_DEP_2) | instskip(SKIP_2) | instid1(VALU_DEP_2)
	v_cmp_lt_u32_e32 vcc_lo, 0xffffff, v15
	v_sub_nc_u32_e32 v14, v16, v17
	v_cndmask_b32_e64 v16, 0, 1, vcc_lo
	v_add_co_ci_u32_e32 v14, vcc_lo, 0, v14, vcc_lo
	s_delay_alu instid0(VALU_DEP_2)
	v_lshrrev_b32_e32 v15, v16, v15
; %bb.15945:                            ;   in Loop: Header=BB6_15920 Depth=3
	s_and_not1_saveexec_b32 s13, s13
	s_cbranch_execz .LBB6_15917
; %bb.15946:                            ;   in Loop: Header=BB6_15920 Depth=3
	s_delay_alu instid0(VALU_DEP_1)
	v_bfe_u32 v14, v15, 23, 1
	s_branch .LBB6_15917
.LBB6_15947:                            ;   in Loop: Header=BB6_15920 Depth=3
	s_mov_b32 s30, -1
	s_mov_b32 s34, exec_lo
                                        ; implicit-def: $sgpr31
	v_cmpx_eq_u16_e32 0x80, v17
; %bb.15948:                            ;   in Loop: Header=BB6_15920 Depth=3
	s_mov_b32 s31, 0x7f800001
	s_xor_b32 s30, exec_lo, -1
; %bb.15949:                            ;   in Loop: Header=BB6_15920 Depth=3
	s_or_b32 exec_lo, exec_lo, s34
	s_delay_alu instid0(SALU_CYCLE_1)
	s_and_b32 s30, s30, exec_lo
	s_or_saveexec_b32 s13, s13
	v_mov_b32_e32 v18, s31
	s_xor_b32 exec_lo, exec_lo, s13
	s_cbranch_execz .LBB6_15923
.LBB6_15950:                            ;   in Loop: Header=BB6_15920 Depth=3
	v_cmp_ne_u16_e32 vcc_lo, 0, v17
	v_mov_b32_e32 v18, 0
	s_and_not1_b32 s30, s30, exec_lo
	s_and_b32 vcc_lo, vcc_lo, exec_lo
	s_delay_alu instid0(SALU_CYCLE_1)
	s_or_b32 s30, s30, vcc_lo
	s_or_b32 exec_lo, exec_lo, s13
	s_and_saveexec_b32 s13, s30
	s_cbranch_execnz .LBB6_15924
	s_branch .LBB6_15925
.LBB6_15951:                            ;   in Loop: Header=BB6_15920 Depth=3
	s_mov_b32 s13, -1
	s_mov_b32 s34, exec_lo
                                        ; implicit-def: $sgpr30
	v_cmpx_eq_u16_e32 0x80, v19
; %bb.15952:                            ;   in Loop: Header=BB6_15920 Depth=3
	s_mov_b32 s30, 0x7f800001
	s_xor_b32 s13, exec_lo, -1
; %bb.15953:                            ;   in Loop: Header=BB6_15920 Depth=3
	s_or_b32 exec_lo, exec_lo, s34
	s_delay_alu instid0(SALU_CYCLE_1)
	s_and_b32 s13, s13, exec_lo
                                        ; implicit-def: $vgpr19
	s_or_saveexec_b32 s31, s31
	v_mov_b32_e32 v20, s30
	s_xor_b32 exec_lo, exec_lo, s31
	s_cbranch_execz .LBB6_15927
.LBB6_15954:                            ;   in Loop: Header=BB6_15920 Depth=3
	v_cmp_ne_u16_e32 vcc_lo, 0, v19
	v_mov_b32_e32 v20, 0
	s_and_not1_b32 s13, s13, exec_lo
	s_and_b32 vcc_lo, vcc_lo, exec_lo
	s_delay_alu instid0(SALU_CYCLE_1)
	s_or_b32 s13, s13, vcc_lo
	s_or_b32 exec_lo, exec_lo, s31
	s_and_saveexec_b32 vcc_lo, s13
	s_cbranch_execnz .LBB6_15928
	s_branch .LBB6_15929
.LBB6_15955:                            ;   in Loop: Header=BB6_15920 Depth=3
	s_mov_b32 s13, -1
	s_mov_b32 s34, exec_lo
                                        ; implicit-def: $sgpr30
	v_cmpx_eq_u16_e32 0x80, v17
; %bb.15956:                            ;   in Loop: Header=BB6_15920 Depth=3
	s_mov_b32 s30, 0x7f800001
	s_xor_b32 s13, exec_lo, -1
; %bb.15957:                            ;   in Loop: Header=BB6_15920 Depth=3
	s_or_b32 exec_lo, exec_lo, s34
	s_delay_alu instid0(SALU_CYCLE_1)
	s_and_b32 s13, s13, exec_lo
                                        ; implicit-def: $vgpr17
	s_or_saveexec_b32 s31, s31
	v_mov_b32_e32 v18, s30
	s_xor_b32 exec_lo, exec_lo, s31
	s_cbranch_execz .LBB6_15934
.LBB6_15958:                            ;   in Loop: Header=BB6_15920 Depth=3
	v_cmp_ne_u16_e32 vcc_lo, 0, v17
	v_mov_b32_e32 v18, 0
	s_and_not1_b32 s13, s13, exec_lo
	s_and_b32 vcc_lo, vcc_lo, exec_lo
	s_delay_alu instid0(SALU_CYCLE_1)
	s_or_b32 s13, s13, vcc_lo
	s_or_b32 exec_lo, exec_lo, s31
	s_and_saveexec_b32 s30, s13
	s_cbranch_execnz .LBB6_15935
	s_branch .LBB6_15936
.LBB6_15959:                            ;   in Loop: Header=BB6_15920 Depth=3
	s_mov_b32 s13, -1
	s_mov_b32 s34, exec_lo
                                        ; implicit-def: $sgpr30
	v_cmpx_eq_u16_e32 0x80, v15
; %bb.15960:                            ;   in Loop: Header=BB6_15920 Depth=3
	s_mov_b32 s30, 0x7f800001
	s_xor_b32 s13, exec_lo, -1
; %bb.15961:                            ;   in Loop: Header=BB6_15920 Depth=3
	s_or_b32 exec_lo, exec_lo, s34
	s_delay_alu instid0(SALU_CYCLE_1)
	s_and_b32 s13, s13, exec_lo
                                        ; implicit-def: $vgpr15
	s_or_saveexec_b32 s31, s31
	v_mov_b32_e32 v16, s30
	s_xor_b32 exec_lo, exec_lo, s31
	s_cbranch_execz .LBB6_15938
.LBB6_15962:                            ;   in Loop: Header=BB6_15920 Depth=3
	v_cmp_ne_u16_e32 vcc_lo, 0, v15
	v_mov_b32_e32 v16, 0
	s_and_not1_b32 s13, s13, exec_lo
	s_and_b32 vcc_lo, vcc_lo, exec_lo
	s_delay_alu instid0(SALU_CYCLE_1)
	s_or_b32 s13, s13, vcc_lo
	s_or_b32 exec_lo, exec_lo, s31
	s_and_saveexec_b32 vcc_lo, s13
	s_cbranch_execnz .LBB6_15939
	s_branch .LBB6_15940
.LBB6_15963:                            ;   in Loop: Header=BB6_5644 Depth=2
	s_or_b32 exec_lo, exec_lo, s15
.LBB6_15964:                            ;   in Loop: Header=BB6_5644 Depth=2
	s_delay_alu instid0(SALU_CYCLE_1)
	s_or_b32 exec_lo, exec_lo, s14
.LBB6_15965:                            ;   in Loop: Header=BB6_5644 Depth=2
	s_and_saveexec_b32 s13, s3
	s_cbranch_execz .LBB6_15987
; %bb.15966:                            ;   in Loop: Header=BB6_5644 Depth=2
	s_and_saveexec_b32 s14, s4
	s_delay_alu instid0(SALU_CYCLE_1)
	s_xor_b32 s14, exec_lo, s14
	s_cbranch_execz .LBB6_15984
; %bb.15967:                            ;   in Loop: Header=BB6_5644 Depth=2
	s_and_saveexec_b32 s15, s1
	s_cbranch_execz .LBB6_15983
; %bb.15968:                            ;   in Loop: Header=BB6_5644 Depth=2
	s_mov_b32 s17, exec_lo
	s_mov_b32 s16, exec_lo
	v_mbcnt_lo_u32_b32 v2, s17, 0
	s_waitcnt vmcnt(0) lgkmcnt(0)
	s_waitcnt_vscnt null, 0x0
	buffer_gl1_inv
	buffer_gl0_inv
	v_cmpx_eq_u32_e32 0, v2
	s_cbranch_execz .LBB6_15970
; %bb.15969:                            ;   in Loop: Header=BB6_5644 Depth=2
	s_bcnt1_i32_b32 s17, s17
	s_delay_alu instid0(SALU_CYCLE_1)
	v_mov_b32_e32 v2, s17
	ds_add_u64 v0, v[2:3]
	s_cbranch_execnz .LBB6_16988
.LBB6_15970:                            ;   in Loop: Header=BB6_5644 Depth=2
	s_or_b32 exec_lo, exec_lo, s16
	s_cbranch_execnz .LBB6_16958
; %bb.15971:                            ;   in Loop: Header=BB6_5644 Depth=2
	ds_load_b64 v[8:9], v0
	v_add_co_u32 v80, vcc_lo, v80, v129
	v_add_co_ci_u32_e32 v81, vcc_lo, 0, v81, vcc_lo
	s_mov_b32 s16, exec_lo
	s_waitcnt lgkmcnt(0)
	s_delay_alu instid0(VALU_DEP_1)
	v_cmpx_lt_u64_e64 v[8:9], v[80:81]
	s_cbranch_execz .LBB6_15982
; %bb.15972:                            ;   in Loop: Header=BB6_5644 Depth=2
	s_mov_b32 s17, 0
	s_mov_b32 s34, 0
                                        ; implicit-def: $sgpr30
                                        ; implicit-def: $sgpr31
	s_branch .LBB6_15974
.LBB6_15973:                            ;   in Loop: Header=BB6_15974 Depth=3
	s_or_b32 exec_lo, exec_lo, s36
	s_delay_alu instid0(SALU_CYCLE_1) | instskip(NEXT) | instid1(SALU_CYCLE_1)
	s_and_b32 vcc_lo, exec_lo, vcc_lo
	s_or_b32 s17, vcc_lo, s17
	s_and_not1_b32 vcc_lo, s30, exec_lo
	s_and_b32 s30, s31, exec_lo
	s_delay_alu instid0(SALU_CYCLE_1)
	s_or_b32 s30, vcc_lo, s30
	s_and_not1_b32 exec_lo, exec_lo, s17
	s_cbranch_execz .LBB6_15980
.LBB6_15974:                            ;   Parent Loop BB6_51 Depth=1
                                        ;     Parent Loop BB6_5644 Depth=2
                                        ; =>    This Inner Loop Header: Depth=3
	s_add_i32 s34, s34, 1
                                        ; implicit-def: $sgpr36
	s_delay_alu instid0(SALU_CYCLE_1) | instskip(SKIP_1) | instid1(SALU_CYCLE_1)
	s_cmpk_lg_i32 s34, 0x2710
	s_cselect_b32 s35, -1, 0
	s_and_b32 vcc_lo, exec_lo, s35
	s_cbranch_vccz .LBB6_15978
.LBB6_15975:                            ;   in Loop: Header=BB6_15974 Depth=3
	s_and_not1_b32 s31, s31, exec_lo
	s_and_b32 s36, s36, exec_lo
	s_mov_b32 vcc_lo, -1
	s_or_b32 s31, s31, s36
	s_and_saveexec_b32 s36, s35
	s_cbranch_execz .LBB6_15973
; %bb.15976:                            ;   in Loop: Header=BB6_15974 Depth=3
	s_sleep 1
	s_cbranch_execnz .LBB6_17042
; %bb.15977:                            ;   in Loop: Header=BB6_15974 Depth=3
	ds_load_b64 v[8:9], v0
	s_and_not1_b32 s31, s31, exec_lo
	s_waitcnt lgkmcnt(0)
	v_cmp_ge_u64_e32 vcc_lo, v[8:9], v[80:81]
	s_or_not1_b32 vcc_lo, vcc_lo, exec_lo
	s_branch .LBB6_15973
.LBB6_15978:                            ;   in Loop: Header=BB6_15974 Depth=3
	s_cbranch_execnz .LBB6_17062
; %bb.15979:                            ;   in Loop: Header=BB6_15974 Depth=3
	ds_load_b64 v[8:9], v0
	s_and_not1_b32 s35, s35, exec_lo
	s_mov_b32 s34, 0
	s_mov_b32 s36, -1
	s_waitcnt lgkmcnt(0)
	flat_load_b32 v2, v[8:9] glc
	s_waitcnt vmcnt(0) lgkmcnt(0)
	buffer_gl1_inv
	buffer_gl0_inv
	v_cmp_eq_u32_e32 vcc_lo, 0, v2
	s_and_b32 vcc_lo, vcc_lo, exec_lo
	s_delay_alu instid0(SALU_CYCLE_1)
	s_or_b32 s35, s35, vcc_lo
	s_branch .LBB6_15975
.LBB6_15980:                            ;   in Loop: Header=BB6_5644 Depth=2
	s_or_b32 exec_lo, exec_lo, s17
	s_and_saveexec_b32 s17, s30
	s_delay_alu instid0(SALU_CYCLE_1)
	s_xor_b32 s17, exec_lo, s17
	s_cbranch_execz .LBB6_15982
; %bb.15981:                            ;   in Loop: Header=BB6_5644 Depth=2
	ds_store_b32 v0, v176
	s_cbranch_execnz .LBB6_17168
.LBB6_15982:                            ;   in Loop: Header=BB6_5644 Depth=2
	s_or_b32 exec_lo, exec_lo, s16
	;;#ASMSTART
	s_wakeup
	;;#ASMEND
.LBB6_15983:                            ;   in Loop: Header=BB6_5644 Depth=2
	s_or_b32 exec_lo, exec_lo, s15
.LBB6_15984:                            ;   in Loop: Header=BB6_5644 Depth=2
	s_and_not1_saveexec_b32 s14, s14
	s_cbranch_execz .LBB6_15986
; %bb.15985:                            ;   in Loop: Header=BB6_5644 Depth=2
	s_waitcnt vmcnt(0) lgkmcnt(0)
	s_waitcnt_vscnt null, 0x0
	buffer_gl1_inv
	buffer_gl0_inv
	s_barrier
.LBB6_15986:                            ;   in Loop: Header=BB6_5644 Depth=2
	s_or_b32 exec_lo, exec_lo, s14
.LBB6_15987:                            ;   in Loop: Header=BB6_5644 Depth=2
	s_delay_alu instid0(SALU_CYCLE_1) | instskip(SKIP_1) | instid1(SALU_CYCLE_1)
	s_or_b32 exec_lo, exec_lo, s13
                                        ; implicit-def: $vgpr2
	s_and_saveexec_b32 s13, s7
	s_xor_b32 s14, exec_lo, s13
	s_cbranch_execz .LBB6_15991
; %bb.15988:                            ;   in Loop: Header=BB6_5644 Depth=2
	v_and_b32_e32 v2, 16, v30
	v_cmp_lt_i32_e32 vcc_lo, 0, v182
	s_delay_alu instid0(VALU_DEP_2) | instskip(SKIP_1) | instid1(VALU_DEP_2)
	v_cmp_ne_u32_e64 s13, 0, v2
	v_and_b32_e32 v2, 16, v30
	s_and_b32 s15, s13, vcc_lo
	s_delay_alu instid0(SALU_CYCLE_1)
	s_and_saveexec_b32 s13, s15
	s_cbranch_execz .LBB6_15990
; %bb.15989:                            ;   in Loop: Header=BB6_5644 Depth=2
	v_mov_b32_e32 v2, 1
	s_waitcnt vmcnt(0) lgkmcnt(0)
	s_waitcnt_vscnt null, 0x0
	buffer_gl1_inv
	buffer_gl0_inv
.LBB6_15990:                            ;   in Loop: Header=BB6_5644 Depth=2
	s_or_b32 exec_lo, exec_lo, s13
.LBB6_15991:                            ;   in Loop: Header=BB6_5644 Depth=2
	s_and_not1_saveexec_b32 s13, s14
	s_cbranch_execz .LBB6_16013
; %bb.15992:                            ;   in Loop: Header=BB6_5644 Depth=2
	s_and_saveexec_b32 s14, s4
	s_delay_alu instid0(SALU_CYCLE_1)
	s_xor_b32 s14, exec_lo, s14
	s_cbranch_execz .LBB6_16010
; %bb.15993:                            ;   in Loop: Header=BB6_5644 Depth=2
	s_and_saveexec_b32 s15, s1
	s_cbranch_execz .LBB6_16009
; %bb.15994:                            ;   in Loop: Header=BB6_5644 Depth=2
	s_mov_b32 s17, exec_lo
	s_mov_b32 s16, exec_lo
	v_mbcnt_lo_u32_b32 v2, s17, 0
	;;#ASMSTART
	s_waitcnt lgkmcnt(0) vmcnt(0)
	;;#ASMEND
	s_delay_alu instid0(VALU_DEP_1)
	v_cmpx_eq_u32_e32 0, v2
	s_cbranch_execz .LBB6_15996
; %bb.15995:                            ;   in Loop: Header=BB6_5644 Depth=2
	s_bcnt1_i32_b32 s17, s17
	s_delay_alu instid0(SALU_CYCLE_1)
	v_mov_b32_e32 v2, s17
	ds_add_u64 v0, v[2:3]
	s_cbranch_execnz .LBB6_16992
.LBB6_15996:                            ;   in Loop: Header=BB6_5644 Depth=2
	s_or_b32 exec_lo, exec_lo, s16
	s_cbranch_execnz .LBB6_16968
; %bb.15997:                            ;   in Loop: Header=BB6_5644 Depth=2
	ds_load_b64 v[8:9], v0
	v_add_co_u32 v80, vcc_lo, v80, v129
	v_add_co_ci_u32_e32 v81, vcc_lo, 0, v81, vcc_lo
	s_mov_b32 s16, exec_lo
	s_waitcnt lgkmcnt(0)
	s_delay_alu instid0(VALU_DEP_1)
	v_cmpx_lt_u64_e64 v[8:9], v[80:81]
	s_cbranch_execz .LBB6_16008
; %bb.15998:                            ;   in Loop: Header=BB6_5644 Depth=2
	s_mov_b32 s17, 0
	s_mov_b32 s34, 0
                                        ; implicit-def: $sgpr30
                                        ; implicit-def: $sgpr31
	s_branch .LBB6_16000
.LBB6_15999:                            ;   in Loop: Header=BB6_16000 Depth=3
	s_or_b32 exec_lo, exec_lo, s36
	s_delay_alu instid0(SALU_CYCLE_1) | instskip(NEXT) | instid1(SALU_CYCLE_1)
	s_and_b32 vcc_lo, exec_lo, vcc_lo
	s_or_b32 s17, vcc_lo, s17
	s_and_not1_b32 vcc_lo, s30, exec_lo
	s_and_b32 s30, s31, exec_lo
	s_delay_alu instid0(SALU_CYCLE_1)
	s_or_b32 s30, vcc_lo, s30
	s_and_not1_b32 exec_lo, exec_lo, s17
	s_cbranch_execz .LBB6_16006
.LBB6_16000:                            ;   Parent Loop BB6_51 Depth=1
                                        ;     Parent Loop BB6_5644 Depth=2
                                        ; =>    This Inner Loop Header: Depth=3
	s_add_i32 s34, s34, 1
                                        ; implicit-def: $sgpr36
	s_delay_alu instid0(SALU_CYCLE_1) | instskip(SKIP_1) | instid1(SALU_CYCLE_1)
	s_cmpk_lg_i32 s34, 0x2710
	s_cselect_b32 s35, -1, 0
	s_and_b32 vcc_lo, exec_lo, s35
	s_cbranch_vccz .LBB6_16004
.LBB6_16001:                            ;   in Loop: Header=BB6_16000 Depth=3
	s_and_not1_b32 s31, s31, exec_lo
	s_and_b32 s36, s36, exec_lo
	s_mov_b32 vcc_lo, -1
	s_or_b32 s31, s31, s36
	s_and_saveexec_b32 s36, s35
	s_cbranch_execz .LBB6_15999
; %bb.16002:                            ;   in Loop: Header=BB6_16000 Depth=3
	s_sleep 1
	s_cbranch_execnz .LBB6_17054
; %bb.16003:                            ;   in Loop: Header=BB6_16000 Depth=3
	ds_load_b64 v[8:9], v0
	s_and_not1_b32 s31, s31, exec_lo
	s_waitcnt lgkmcnt(0)
	v_cmp_ge_u64_e32 vcc_lo, v[8:9], v[80:81]
	s_or_not1_b32 vcc_lo, vcc_lo, exec_lo
	s_branch .LBB6_15999
.LBB6_16004:                            ;   in Loop: Header=BB6_16000 Depth=3
	s_cbranch_execnz .LBB6_17070
; %bb.16005:                            ;   in Loop: Header=BB6_16000 Depth=3
	ds_load_b64 v[8:9], v0
	s_and_not1_b32 s35, s35, exec_lo
	s_mov_b32 s34, 0
	s_mov_b32 s36, -1
	s_waitcnt vmcnt(0) lgkmcnt(0)
	s_waitcnt_vscnt null, 0x0
	flat_load_b32 v2, v[8:9] glc
	s_waitcnt vmcnt(0) lgkmcnt(0)
	buffer_gl1_inv
	buffer_gl0_inv
	v_cmp_eq_u32_e32 vcc_lo, 0, v2
	s_and_b32 vcc_lo, vcc_lo, exec_lo
	s_delay_alu instid0(SALU_CYCLE_1)
	s_or_b32 s35, s35, vcc_lo
	s_branch .LBB6_16001
.LBB6_16006:                            ;   in Loop: Header=BB6_5644 Depth=2
	s_or_b32 exec_lo, exec_lo, s17
	s_and_saveexec_b32 s17, s30
	s_delay_alu instid0(SALU_CYCLE_1)
	s_xor_b32 s17, exec_lo, s17
	s_cbranch_execz .LBB6_16008
; %bb.16007:                            ;   in Loop: Header=BB6_5644 Depth=2
	ds_store_b32 v0, v176
	s_cbranch_execnz .LBB6_17172
.LBB6_16008:                            ;   in Loop: Header=BB6_5644 Depth=2
	s_or_b32 exec_lo, exec_lo, s16
	;;#ASMSTART
	s_wakeup
	;;#ASMEND
.LBB6_16009:                            ;   in Loop: Header=BB6_5644 Depth=2
	s_or_b32 exec_lo, exec_lo, s15
.LBB6_16010:                            ;   in Loop: Header=BB6_5644 Depth=2
	s_and_not1_saveexec_b32 s14, s14
	s_cbranch_execz .LBB6_16012
; %bb.16011:                            ;   in Loop: Header=BB6_5644 Depth=2
	;;#ASMSTART
	s_waitcnt lgkmcnt(0) vmcnt(0)
	;;#ASMEND
	s_waitcnt vmcnt(0) lgkmcnt(0)
	s_waitcnt_vscnt null, 0x0
	s_barrier
.LBB6_16012:                            ;   in Loop: Header=BB6_5644 Depth=2
	s_or_b32 exec_lo, exec_lo, s14
	v_and_b32_e32 v2, 16, v30
.LBB6_16013:                            ;   in Loop: Header=BB6_5644 Depth=2
	s_or_b32 exec_lo, exec_lo, s13
	s_delay_alu instid0(VALU_DEP_1) | instskip(SKIP_1) | instid1(SALU_CYCLE_1)
	v_cmp_ne_u32_e32 vcc_lo, 0, v2
	s_xor_b32 s13, s10, -1
	s_and_b32 s14, vcc_lo, s13
	s_delay_alu instid0(SALU_CYCLE_1)
	s_and_saveexec_b32 s13, s14
	s_cbranch_execz .LBB6_16015
; %bb.16014:                            ;   in Loop: Header=BB6_5644 Depth=2
	s_waitcnt vmcnt(0) lgkmcnt(0)
	s_waitcnt_vscnt null, 0x0
	flat_store_b32 v[70:71], v176
.LBB6_16015:                            ;   in Loop: Header=BB6_5644 Depth=2
	s_or_b32 exec_lo, exec_lo, s13
	v_and_b32_e32 v2, 48, v30
	s_mov_b32 s13, exec_lo
	s_delay_alu instid0(VALU_DEP_1)
	v_cmpx_ne_u32_e32 0, v2
	s_cbranch_execz .LBB6_16017
; %bb.16016:                            ;   in Loop: Header=BB6_5644 Depth=2
	v_add_co_u32 v66, vcc_lo, v66, 2
	v_add_co_ci_u32_e32 v67, vcc_lo, 0, v67, vcc_lo
	s_waitcnt vmcnt(0) lgkmcnt(0)
	s_waitcnt_vscnt null, 0x0
	flat_store_b64 v[64:65], v[66:67]
.LBB6_16017:                            ;   in Loop: Header=BB6_5644 Depth=2
	s_or_b32 exec_lo, exec_lo, s13
	v_add_nc_u32_e32 v179, v100, v179
	v_readlane_b32 s13, v122, 1
	v_readlane_b32 s37, v122, 3
	;; [unrolled: 1-line block ×4, first 2 shown]
	v_cmp_ge_i32_e32 vcc_lo, v179, v103
	s_xor_b32 s13, s13, -1
	v_readlane_b32 s31, v122, 6
	v_readlane_b32 s35, v122, 7
	s_mov_b32 s16, 0
	s_or_b32 s13, s13, vcc_lo
	s_mov_b32 s17, 2
	s_and_b32 s14, exec_lo, s13
	v_readlane_b32 s13, v122, 2
	s_or_b32 s37, s14, s37
	v_readlane_b32 s14, v122, 8
	s_delay_alu instid0(VALU_DEP_2)
	v_mov_b32_e32 v2, s13
	s_and_not1_b32 exec_lo, exec_lo, s37
	s_cbranch_execz .LBB6_16018
; %bb.17460:                            ;   in Loop: Header=BB6_5644 Depth=2
	s_getpc_b64 s[48:49]
.Lpost_getpc401:
	s_add_u32 s48, s48, (.LBB6_5644-.Lpost_getpc401)&4294967295
	s_addc_u32 s49, s49, (.LBB6_5644-.Lpost_getpc401)>>32
	s_setpc_b64 s[48:49]
.LBB6_16018:                            ;   in Loop: Header=BB6_51 Depth=1
	s_or_b32 exec_lo, exec_lo, s37
	v_readlane_b32 s13, v122, 0
.LBB6_16019:                            ;   in Loop: Header=BB6_51 Depth=1
	s_delay_alu instid0(VALU_DEP_1) | instskip(NEXT) | instid1(SALU_CYCLE_1)
	s_or_b32 exec_lo, exec_lo, s13
	s_mov_b32 s15, exec_lo
	v_cmpx_gt_i32_e32 2, v2
	s_cbranch_execz .LBB6_16103
; %bb.16020:                            ;   in Loop: Header=BB6_51 Depth=1
	v_cmp_eq_u32_e64 s13, 0, v2
	s_mov_b32 s16, 0
.LBB6_16021:                            ;   Parent Loop BB6_51 Depth=1
                                        ; =>  This Loop Header: Depth=2
                                        ;       Child Loop BB6_16027 Depth 3
                                        ;       Child Loop BB6_16057 Depth 3
	;; [unrolled: 1-line block ×3, first 2 shown]
	v_and_b32_e32 v2, 12, v30
	s_mov_b32 s30, -1
	s_mov_b32 s17, exec_lo
	s_delay_alu instid0(VALU_DEP_1)
	v_cmpx_ne_u32_e32 0, v2
	s_cbranch_execz .LBB6_16035
; %bb.16022:                            ;   in Loop: Header=BB6_16021 Depth=2
	v_and_b32_e32 v2, 8, v30
	s_delay_alu instid0(VALU_DEP_1) | instskip(SKIP_3) | instid1(VALU_DEP_1)
	v_add_co_u32 v10, vcc_lo, v82, v2
	v_add_co_ci_u32_e32 v11, vcc_lo, 0, v83, vcc_lo
	v_add_co_u32 v8, vcc_lo, v66, 2
	v_add_co_ci_u32_e32 v9, vcc_lo, 0, v67, vcc_lo
	v_cmp_lt_u64_e32 vcc_lo, v[10:11], v[8:9]
	v_mov_b32_e32 v10, 1
	s_and_saveexec_b32 s30, vcc_lo
	s_cbranch_execz .LBB6_16034
; %bb.16023:                            ;   in Loop: Header=BB6_16021 Depth=2
	v_mov_b32_e32 v10, 0
	s_mov_b32 s37, 0
                                        ; implicit-def: $sgpr38
	s_branch .LBB6_16027
.LBB6_16024:                            ;   in Loop: Header=BB6_16027 Depth=3
	s_or_b32 exec_lo, exec_lo, s42
	v_mov_b32_e32 v11, 0
	s_or_not1_b32 s41, s41, exec_lo
.LBB6_16025:                            ;   in Loop: Header=BB6_16027 Depth=3
	s_or_b32 exec_lo, exec_lo, s40
	s_delay_alu instid0(VALU_DEP_1) | instskip(SKIP_2) | instid1(SALU_CYCLE_1)
	v_mov_b32_e32 v10, v11
	s_and_not1_b32 vcc_lo, s38, exec_lo
	s_and_b32 s38, s41, exec_lo
	s_or_b32 s38, vcc_lo, s38
.LBB6_16026:                            ;   in Loop: Header=BB6_16027 Depth=3
	s_or_b32 exec_lo, exec_lo, s39
	s_waitcnt vmcnt(0) lgkmcnt(0)
	v_add_co_u32 v11, vcc_lo, v82, v2
	v_add_co_ci_u32_e32 v12, vcc_lo, 0, v83, vcc_lo
	s_xor_b32 s39, s38, -1
	s_delay_alu instid0(VALU_DEP_1) | instskip(SKIP_1) | instid1(SALU_CYCLE_1)
	v_cmp_ge_u64_e32 vcc_lo, v[11:12], v[8:9]
	s_or_b32 vcc_lo, s39, vcc_lo
	s_and_b32 vcc_lo, exec_lo, vcc_lo
	s_delay_alu instid0(SALU_CYCLE_1) | instskip(NEXT) | instid1(SALU_CYCLE_1)
	s_or_b32 s37, vcc_lo, s37
	s_and_not1_b32 exec_lo, exec_lo, s37
	s_cbranch_execz .LBB6_16033
.LBB6_16027:                            ;   Parent Loop BB6_51 Depth=1
                                        ;     Parent Loop BB6_16021 Depth=2
                                        ; =>    This Inner Loop Header: Depth=3
	s_sleep 1
	flat_load_b64 v[82:83], v[64:65] glc
	v_and_b32_e32 v11, 64, v30
	s_and_not1_b32 s38, s38, exec_lo
	s_mov_b32 s39, exec_lo
	s_delay_alu instid0(VALU_DEP_1)
	v_cmpx_eq_u32_e32 0, v11
	s_cbranch_execz .LBB6_16026
; %bb.16028:                            ;   in Loop: Header=BB6_16027 Depth=3
	v_add_nc_u32_e32 v11, 1, v10
	s_mov_b32 s41, -1
	s_mov_b32 s40, exec_lo
	v_cmpx_lt_i32_e32 0x270e, v10
	s_cbranch_execz .LBB6_16025
; %bb.16029:                            ;   in Loop: Header=BB6_16027 Depth=3
	s_cbranch_execnz .LBB6_16766
; %bb.16030:                            ;   in Loop: Header=BB6_16027 Depth=3
	ds_load_b64 v[10:11], v0
	s_mov_b32 s42, exec_lo
	s_waitcnt vmcnt(0) lgkmcnt(0)
	s_waitcnt_vscnt null, 0x0
	flat_load_b32 v10, v[10:11] glc
	s_waitcnt vmcnt(0) lgkmcnt(0)
	buffer_gl1_inv
	buffer_gl0_inv
	v_cmpx_ne_u32_e32 0, v10
	s_cbranch_execz .LBB6_16024
; %bb.16031:                            ;   in Loop: Header=BB6_16027 Depth=3
	ds_store_b32 v0, v10
	s_cbranch_execnz .LBB6_16820
; %bb.16032:                            ;   in Loop: Header=BB6_16027 Depth=3
	v_or_b32_e32 v30, 64, v30
	s_xor_b32 s41, exec_lo, -1
	s_branch .LBB6_16024
.LBB6_16033:                            ;   in Loop: Header=BB6_16021 Depth=2
	s_or_b32 exec_lo, exec_lo, s37
	v_and_b32_e32 v10, 12, v30
.LBB6_16034:                            ;   in Loop: Header=BB6_16021 Depth=2
	s_or_b32 exec_lo, exec_lo, s30
	s_delay_alu instid0(VALU_DEP_1)
	v_cmp_eq_u32_e32 vcc_lo, 0, v10
	;;#ASMSTART
	s_wakeup
	;;#ASMEND
	s_or_not1_b32 s30, vcc_lo, exec_lo
.LBB6_16035:                            ;   in Loop: Header=BB6_16021 Depth=2
	s_or_b32 exec_lo, exec_lo, s17
	v_sub_nc_u32_e32 v2, v103, v179
	s_xor_b32 s13, s13, -1
	s_delay_alu instid0(SALU_CYCLE_1) | instskip(NEXT) | instid1(SALU_CYCLE_1)
	s_and_b32 s13, exec_lo, s13
	s_or_b32 s16, s13, s16
	s_delay_alu instid0(VALU_DEP_1) | instskip(SKIP_1) | instid1(SALU_CYCLE_1)
	v_min_i32_e32 v100, v100, v2
	s_xor_b32 s13, s30, -1
	s_and_saveexec_b32 s17, s13
	s_cbranch_execz .LBB6_16048
; %bb.16036:                            ;   in Loop: Header=BB6_16021 Depth=2
	v_and_b32_e32 v2, 0x108, v30
	s_delay_alu instid0(VALU_DEP_1) | instskip(SKIP_2) | instid1(SALU_CYCLE_1)
	v_cmp_ne_u32_e32 vcc_lo, 0x108, v2
	v_and_b32_e32 v2, 7, v66
	s_and_saveexec_b32 s13, vcc_lo
	s_xor_b32 s13, exec_lo, s13
	s_delay_alu instid0(SALU_CYCLE_1)
	s_and_not1_saveexec_b32 s13, s13
	s_cbranch_execz .LBB6_16038
; %bb.16037:                            ;   in Loop: Header=BB6_16021 Depth=2
	v_mad_u64_u32 v[8:9], null, v2, 24, v[6:7]
	v_ashrrev_i32_e32 v101, 31, v100
	flat_store_b64 v[8:9], v[100:101] offset:8
.LBB6_16038:                            ;   in Loop: Header=BB6_16021 Depth=2
	s_or_b32 exec_lo, exec_lo, s13
	v_and_b32_e32 v8, 0x100, v30
	s_mov_b32 s13, -1
	s_delay_alu instid0(VALU_DEP_1)
	v_cmp_ne_u32_e32 vcc_lo, 0, v8
                                        ; implicit-def: $vgpr8_vgpr9
	s_and_saveexec_b32 s30, vcc_lo
	s_cbranch_execnz .LBB6_16041
; %bb.16039:                            ;   in Loop: Header=BB6_16021 Depth=2
	s_or_b32 exec_lo, exec_lo, s30
	s_and_saveexec_b32 vcc_lo, s13
	s_cbranch_execnz .LBB6_16044
.LBB6_16040:                            ;   in Loop: Header=BB6_16021 Depth=2
	s_or_b32 exec_lo, exec_lo, vcc_lo
	s_cbranch_execnz .LBB6_16762
	s_branch .LBB6_16045
.LBB6_16041:                            ;   in Loop: Header=BB6_16021 Depth=2
	v_mad_u64_u32 v[10:11], null, v2, 24, v[6:7]
	s_delay_alu instid0(VALU_DEP_1) | instskip(NEXT) | instid1(VALU_DEP_1)
	v_mov_b32_e32 v8, v11
	v_mad_u64_u32 v[11:12], null, v3, 24, v[8:9]
	flat_load_b32 v8, v[10:11]
	s_waitcnt vmcnt(0) lgkmcnt(0)
	v_cmp_ne_u32_e32 vcc_lo, 1, v8
	v_cmp_eq_u32_e64 s13, 1, v8
                                        ; implicit-def: $vgpr8_vgpr9
	s_delay_alu instid0(VALU_DEP_1)
	s_and_saveexec_b32 s37, s13
	s_cbranch_execz .LBB6_16043
; %bb.16042:                            ;   in Loop: Header=BB6_16021 Depth=2
	flat_load_b32 v8, v[10:11] offset:4 glc
	s_waitcnt vmcnt(0) lgkmcnt(0)
	v_ashrrev_i32_e32 v9, 31, v8
.LBB6_16043:                            ;   in Loop: Header=BB6_16021 Depth=2
	s_or_b32 exec_lo, exec_lo, s37
	s_delay_alu instid0(SALU_CYCLE_1)
	s_or_not1_b32 s13, vcc_lo, exec_lo
	s_or_b32 exec_lo, exec_lo, s30
	s_and_saveexec_b32 vcc_lo, s13
	s_cbranch_execz .LBB6_16040
.LBB6_16044:                            ;   in Loop: Header=BB6_16021 Depth=2
	v_mul_lo_u32 v10, v3, v118
	v_mul_lo_u32 v11, v2, v128
	v_mad_u64_u32 v[8:9], null, v2, v118, 0
	s_delay_alu instid0(VALU_DEP_1)
	v_add3_u32 v9, v9, v11, v10
	s_or_b32 exec_lo, exec_lo, vcc_lo
	s_cbranch_execnz .LBB6_16762
.LBB6_16045:                            ;   in Loop: Header=BB6_16021 Depth=2
	s_delay_alu instid0(VALU_DEP_2)
	v_add_co_u32 v8, vcc_lo, v68, v8
	v_and_b32_e32 v2, 0x2000, v30
	v_add_co_ci_u32_e32 v9, vcc_lo, v69, v9, vcc_lo
	s_mov_b32 s13, exec_lo
	ds_store_b64 v0, v[8:9]
	v_cmpx_ne_u32_e32 0, v2
	s_cbranch_execz .LBB6_16047
; %bb.16046:                            ;   in Loop: Header=BB6_16021 Depth=2
	ds_load_b64 v[8:9], v0 offset:584
	s_waitcnt lgkmcnt(0)
	v_add_co_u32 v8, vcc_lo, v8, 1
	v_add_co_ci_u32_e32 v9, vcc_lo, 0, v9, vcc_lo
	ds_store_b64 v0, v[8:9] offset:584
.LBB6_16047:                            ;   in Loop: Header=BB6_16021 Depth=2
	s_or_b32 exec_lo, exec_lo, s13
	v_add_co_u32 v66, vcc_lo, v66, 2
	v_add_co_ci_u32_e32 v67, vcc_lo, 0, v67, vcc_lo
.LBB6_16048:                            ;   in Loop: Header=BB6_16021 Depth=2
	s_or_b32 exec_lo, exec_lo, s17
	s_and_saveexec_b32 s13, s3
	s_cbranch_execz .LBB6_16070
; %bb.16049:                            ;   in Loop: Header=BB6_16021 Depth=2
	s_and_saveexec_b32 s17, s4
	s_delay_alu instid0(SALU_CYCLE_1)
	s_xor_b32 s17, exec_lo, s17
	s_cbranch_execz .LBB6_16067
; %bb.16050:                            ;   in Loop: Header=BB6_16021 Depth=2
	s_and_saveexec_b32 s30, s1
	s_cbranch_execz .LBB6_16066
; %bb.16051:                            ;   in Loop: Header=BB6_16021 Depth=2
	s_mov_b32 s38, exec_lo
	s_mov_b32 s37, exec_lo
	v_mbcnt_lo_u32_b32 v2, s38, 0
	s_waitcnt vmcnt(0) lgkmcnt(0)
	s_waitcnt_vscnt null, 0x0
	buffer_gl1_inv
	buffer_gl0_inv
	v_cmpx_eq_u32_e32 0, v2
	s_cbranch_execz .LBB6_16053
; %bb.16052:                            ;   in Loop: Header=BB6_16021 Depth=2
	s_bcnt1_i32_b32 vcc_lo, s38
	s_delay_alu instid0(SALU_CYCLE_1)
	v_mov_b32_e32 v2, vcc_lo
	ds_add_u64 v0, v[2:3]
	s_cbranch_execnz .LBB6_16878
.LBB6_16053:                            ;   in Loop: Header=BB6_16021 Depth=2
	s_or_b32 exec_lo, exec_lo, s37
	s_cbranch_execnz .LBB6_16852
; %bb.16054:                            ;   in Loop: Header=BB6_16021 Depth=2
	ds_load_b64 v[8:9], v0
	v_add_co_u32 v80, vcc_lo, v80, v129
	v_add_co_ci_u32_e32 v81, vcc_lo, 0, v81, vcc_lo
	s_mov_b32 s37, exec_lo
	s_waitcnt lgkmcnt(0)
	s_delay_alu instid0(VALU_DEP_1)
	v_cmpx_lt_u64_e64 v[8:9], v[80:81]
	s_cbranch_execz .LBB6_16065
; %bb.16055:                            ;   in Loop: Header=BB6_16021 Depth=2
	s_mov_b32 s38, 0
	s_mov_b32 s41, 0
                                        ; implicit-def: $sgpr39
                                        ; implicit-def: $sgpr40
	s_branch .LBB6_16057
.LBB6_16056:                            ;   in Loop: Header=BB6_16057 Depth=3
	s_or_b32 exec_lo, exec_lo, s43
	s_delay_alu instid0(SALU_CYCLE_1) | instskip(NEXT) | instid1(SALU_CYCLE_1)
	s_and_b32 vcc_lo, exec_lo, vcc_lo
	s_or_b32 s38, vcc_lo, s38
	s_and_not1_b32 vcc_lo, s39, exec_lo
	s_and_b32 s39, s40, exec_lo
	s_delay_alu instid0(SALU_CYCLE_1)
	s_or_b32 s39, vcc_lo, s39
	s_and_not1_b32 exec_lo, exec_lo, s38
	s_cbranch_execz .LBB6_16063
.LBB6_16057:                            ;   Parent Loop BB6_51 Depth=1
                                        ;     Parent Loop BB6_16021 Depth=2
                                        ; =>    This Inner Loop Header: Depth=3
	s_add_i32 s41, s41, 1
                                        ; implicit-def: $sgpr43
	s_delay_alu instid0(SALU_CYCLE_1) | instskip(SKIP_1) | instid1(SALU_CYCLE_1)
	s_cmpk_lg_i32 s41, 0x2710
	s_cselect_b32 s42, -1, 0
	s_and_b32 vcc_lo, exec_lo, s42
	s_cbranch_vccz .LBB6_16061
.LBB6_16058:                            ;   in Loop: Header=BB6_16057 Depth=3
	s_and_not1_b32 s40, s40, exec_lo
	s_and_b32 s43, s43, exec_lo
	s_mov_b32 vcc_lo, -1
	s_or_b32 s40, s40, s43
	s_and_saveexec_b32 s43, s42
	s_cbranch_execz .LBB6_16056
; %bb.16059:                            ;   in Loop: Header=BB6_16057 Depth=3
	s_sleep 1
	s_cbranch_execnz .LBB6_16922
; %bb.16060:                            ;   in Loop: Header=BB6_16057 Depth=3
	ds_load_b64 v[8:9], v0
	s_and_not1_b32 s40, s40, exec_lo
	s_waitcnt lgkmcnt(0)
	v_cmp_ge_u64_e32 vcc_lo, v[8:9], v[80:81]
	s_or_not1_b32 vcc_lo, vcc_lo, exec_lo
	s_branch .LBB6_16056
.LBB6_16061:                            ;   in Loop: Header=BB6_16057 Depth=3
	s_cbranch_execnz .LBB6_16934
; %bb.16062:                            ;   in Loop: Header=BB6_16057 Depth=3
	ds_load_b64 v[8:9], v0
	s_and_not1_b32 s42, s42, exec_lo
	s_mov_b32 s41, 0
	s_mov_b32 s43, -1
	s_waitcnt lgkmcnt(0)
	flat_load_b32 v2, v[8:9] glc
	s_waitcnt vmcnt(0) lgkmcnt(0)
	buffer_gl1_inv
	buffer_gl0_inv
	v_cmp_eq_u32_e32 vcc_lo, 0, v2
	s_and_b32 vcc_lo, vcc_lo, exec_lo
	s_delay_alu instid0(SALU_CYCLE_1)
	s_or_b32 s42, s42, vcc_lo
	s_branch .LBB6_16058
.LBB6_16063:                            ;   in Loop: Header=BB6_16021 Depth=2
	s_or_b32 exec_lo, exec_lo, s38
	s_and_saveexec_b32 vcc_lo, s39
	s_delay_alu instid0(SALU_CYCLE_1)
	s_xor_b32 vcc_lo, exec_lo, vcc_lo
	s_cbranch_execz .LBB6_16065
; %bb.16064:                            ;   in Loop: Header=BB6_16021 Depth=2
	ds_store_b32 v0, v176
	s_cbranch_execnz .LBB6_17132
.LBB6_16065:                            ;   in Loop: Header=BB6_16021 Depth=2
	s_or_b32 exec_lo, exec_lo, s37
	;;#ASMSTART
	s_wakeup
	;;#ASMEND
.LBB6_16066:                            ;   in Loop: Header=BB6_16021 Depth=2
	s_or_b32 exec_lo, exec_lo, s30
.LBB6_16067:                            ;   in Loop: Header=BB6_16021 Depth=2
	s_and_not1_saveexec_b32 s17, s17
	s_cbranch_execz .LBB6_16069
; %bb.16068:                            ;   in Loop: Header=BB6_16021 Depth=2
	s_waitcnt vmcnt(0) lgkmcnt(0)
	s_waitcnt_vscnt null, 0x0
	buffer_gl1_inv
	buffer_gl0_inv
	s_barrier
.LBB6_16069:                            ;   in Loop: Header=BB6_16021 Depth=2
	s_or_b32 exec_lo, exec_lo, s17
.LBB6_16070:                            ;   in Loop: Header=BB6_16021 Depth=2
	s_delay_alu instid0(SALU_CYCLE_1) | instskip(SKIP_1) | instid1(SALU_CYCLE_1)
	s_or_b32 exec_lo, exec_lo, s13
                                        ; implicit-def: $vgpr2
	s_and_saveexec_b32 s13, s7
	s_xor_b32 s17, exec_lo, s13
	s_cbranch_execz .LBB6_16075
; %bb.16071:                            ;   in Loop: Header=BB6_16021 Depth=2
	s_cbranch_execnz .LBB6_16776
; %bb.16072:                            ;   in Loop: Header=BB6_16021 Depth=2
	ds_load_b32 v2, v0
	v_cmp_lt_i32_e32 vcc_lo, 0, v100
	s_waitcnt lgkmcnt(0)
	v_readfirstlane_b32 s13, v2
	v_and_b32_e32 v2, 16, v30
	s_delay_alu instid0(VALU_DEP_2) | instskip(NEXT) | instid1(VALU_DEP_1)
	s_cmp_eq_u32 s13, 0
	v_cmp_ne_u32_e64 s13, 0, v2
	s_cselect_b32 s30, -1, 0
	v_and_b32_e32 v2, 16, v30
	s_and_b32 vcc_lo, vcc_lo, s30
	s_delay_alu instid0(VALU_DEP_2) | instid1(SALU_CYCLE_1)
	s_and_b32 vcc_lo, s13, vcc_lo
	s_delay_alu instid0(SALU_CYCLE_1)
	s_and_saveexec_b32 s13, vcc_lo
	s_cbranch_execz .LBB6_16074
; %bb.16073:                            ;   in Loop: Header=BB6_16021 Depth=2
	v_mov_b32_e32 v2, 1
	s_waitcnt vmcnt(0)
	s_waitcnt_vscnt null, 0x0
	buffer_gl1_inv
	buffer_gl0_inv
.LBB6_16074:                            ;   in Loop: Header=BB6_16021 Depth=2
	s_or_b32 exec_lo, exec_lo, s13
.LBB6_16075:                            ;   in Loop: Header=BB6_16021 Depth=2
	s_and_not1_saveexec_b32 s13, s17
	s_cbranch_execz .LBB6_16097
; %bb.16076:                            ;   in Loop: Header=BB6_16021 Depth=2
	s_and_saveexec_b32 s17, s4
	s_delay_alu instid0(SALU_CYCLE_1)
	s_xor_b32 s17, exec_lo, s17
	s_cbranch_execz .LBB6_16094
; %bb.16077:                            ;   in Loop: Header=BB6_16021 Depth=2
	s_and_saveexec_b32 s30, s1
	s_cbranch_execz .LBB6_16093
; %bb.16078:                            ;   in Loop: Header=BB6_16021 Depth=2
	s_mov_b32 s38, exec_lo
	s_mov_b32 s37, exec_lo
	v_mbcnt_lo_u32_b32 v2, s38, 0
	;;#ASMSTART
	s_waitcnt lgkmcnt(0) vmcnt(0)
	;;#ASMEND
	s_delay_alu instid0(VALU_DEP_1)
	v_cmpx_eq_u32_e32 0, v2
	s_cbranch_execz .LBB6_16080
; %bb.16079:                            ;   in Loop: Header=BB6_16021 Depth=2
	s_bcnt1_i32_b32 vcc_lo, s38
	s_delay_alu instid0(SALU_CYCLE_1)
	v_mov_b32_e32 v2, vcc_lo
	ds_add_u64 v0, v[2:3]
	s_cbranch_execnz .LBB6_16888
.LBB6_16080:                            ;   in Loop: Header=BB6_16021 Depth=2
	s_or_b32 exec_lo, exec_lo, s37
	s_cbranch_execnz .LBB6_16876
; %bb.16081:                            ;   in Loop: Header=BB6_16021 Depth=2
	ds_load_b64 v[8:9], v0
	v_add_co_u32 v80, vcc_lo, v80, v129
	v_add_co_ci_u32_e32 v81, vcc_lo, 0, v81, vcc_lo
	s_mov_b32 s37, exec_lo
	s_waitcnt lgkmcnt(0)
	s_delay_alu instid0(VALU_DEP_1)
	v_cmpx_lt_u64_e64 v[8:9], v[80:81]
	s_cbranch_execz .LBB6_16092
; %bb.16082:                            ;   in Loop: Header=BB6_16021 Depth=2
	s_mov_b32 s38, 0
	s_mov_b32 s41, 0
                                        ; implicit-def: $sgpr39
                                        ; implicit-def: $sgpr40
	s_branch .LBB6_16084
.LBB6_16083:                            ;   in Loop: Header=BB6_16084 Depth=3
	s_or_b32 exec_lo, exec_lo, s43
	s_delay_alu instid0(SALU_CYCLE_1) | instskip(NEXT) | instid1(SALU_CYCLE_1)
	s_and_b32 vcc_lo, exec_lo, vcc_lo
	s_or_b32 s38, vcc_lo, s38
	s_and_not1_b32 vcc_lo, s39, exec_lo
	s_and_b32 s39, s40, exec_lo
	s_delay_alu instid0(SALU_CYCLE_1)
	s_or_b32 s39, vcc_lo, s39
	s_and_not1_b32 exec_lo, exec_lo, s38
	s_cbranch_execz .LBB6_16090
.LBB6_16084:                            ;   Parent Loop BB6_51 Depth=1
                                        ;     Parent Loop BB6_16021 Depth=2
                                        ; =>    This Inner Loop Header: Depth=3
	s_add_i32 s41, s41, 1
                                        ; implicit-def: $sgpr43
	s_delay_alu instid0(SALU_CYCLE_1) | instskip(SKIP_1) | instid1(SALU_CYCLE_1)
	s_cmpk_lg_i32 s41, 0x2710
	s_cselect_b32 s42, -1, 0
	s_and_b32 vcc_lo, exec_lo, s42
	s_cbranch_vccz .LBB6_16088
.LBB6_16085:                            ;   in Loop: Header=BB6_16084 Depth=3
	s_and_not1_b32 s40, s40, exec_lo
	s_and_b32 s43, s43, exec_lo
	s_mov_b32 vcc_lo, -1
	s_or_b32 s40, s40, s43
	s_and_saveexec_b32 s43, s42
	s_cbranch_execz .LBB6_16083
; %bb.16086:                            ;   in Loop: Header=BB6_16084 Depth=3
	s_sleep 1
	s_cbranch_execnz .LBB6_16944
; %bb.16087:                            ;   in Loop: Header=BB6_16084 Depth=3
	ds_load_b64 v[8:9], v0
	s_and_not1_b32 s40, s40, exec_lo
	s_waitcnt lgkmcnt(0)
	v_cmp_ge_u64_e32 vcc_lo, v[8:9], v[80:81]
	s_or_not1_b32 vcc_lo, vcc_lo, exec_lo
	s_branch .LBB6_16083
.LBB6_16088:                            ;   in Loop: Header=BB6_16084 Depth=3
	s_cbranch_execnz .LBB6_16956
; %bb.16089:                            ;   in Loop: Header=BB6_16084 Depth=3
	ds_load_b64 v[8:9], v0
	s_and_not1_b32 s42, s42, exec_lo
	s_mov_b32 s41, 0
	s_mov_b32 s43, -1
	s_waitcnt vmcnt(0) lgkmcnt(0)
	s_waitcnt_vscnt null, 0x0
	flat_load_b32 v2, v[8:9] glc
	s_waitcnt vmcnt(0) lgkmcnt(0)
	buffer_gl1_inv
	buffer_gl0_inv
	v_cmp_eq_u32_e32 vcc_lo, 0, v2
	s_and_b32 vcc_lo, vcc_lo, exec_lo
	s_delay_alu instid0(SALU_CYCLE_1)
	s_or_b32 s42, s42, vcc_lo
	s_branch .LBB6_16085
.LBB6_16090:                            ;   in Loop: Header=BB6_16021 Depth=2
	s_or_b32 exec_lo, exec_lo, s38
	s_and_saveexec_b32 vcc_lo, s39
	s_delay_alu instid0(SALU_CYCLE_1)
	s_xor_b32 vcc_lo, exec_lo, vcc_lo
	s_cbranch_execz .LBB6_16092
; %bb.16091:                            ;   in Loop: Header=BB6_16021 Depth=2
	ds_store_b32 v0, v176
	s_cbranch_execnz .LBB6_17144
.LBB6_16092:                            ;   in Loop: Header=BB6_16021 Depth=2
	s_or_b32 exec_lo, exec_lo, s37
	;;#ASMSTART
	s_wakeup
	;;#ASMEND
.LBB6_16093:                            ;   in Loop: Header=BB6_16021 Depth=2
	s_or_b32 exec_lo, exec_lo, s30
.LBB6_16094:                            ;   in Loop: Header=BB6_16021 Depth=2
	s_and_not1_saveexec_b32 s17, s17
	s_cbranch_execz .LBB6_16096
; %bb.16095:                            ;   in Loop: Header=BB6_16021 Depth=2
	;;#ASMSTART
	s_waitcnt lgkmcnt(0) vmcnt(0)
	;;#ASMEND
	s_waitcnt vmcnt(0) lgkmcnt(0)
	s_waitcnt_vscnt null, 0x0
	s_barrier
.LBB6_16096:                            ;   in Loop: Header=BB6_16021 Depth=2
	s_or_b32 exec_lo, exec_lo, s17
	v_and_b32_e32 v2, 16, v30
.LBB6_16097:                            ;   in Loop: Header=BB6_16021 Depth=2
	s_or_b32 exec_lo, exec_lo, s13
	s_delay_alu instid0(VALU_DEP_1) | instskip(SKIP_1) | instid1(SALU_CYCLE_1)
	v_cmp_ne_u32_e32 vcc_lo, 0, v2
	s_xor_b32 s13, s10, -1
	s_and_b32 s17, vcc_lo, s13
	s_delay_alu instid0(SALU_CYCLE_1)
	s_and_saveexec_b32 s13, s17
	s_cbranch_execz .LBB6_16099
; %bb.16098:                            ;   in Loop: Header=BB6_16021 Depth=2
	s_waitcnt vmcnt(0) lgkmcnt(0)
	s_waitcnt_vscnt null, 0x0
	flat_store_b32 v[70:71], v176
.LBB6_16099:                            ;   in Loop: Header=BB6_16021 Depth=2
	s_or_b32 exec_lo, exec_lo, s13
	v_and_b32_e32 v2, 48, v30
	s_mov_b32 s13, exec_lo
	s_delay_alu instid0(VALU_DEP_1)
	v_cmpx_ne_u32_e32 0, v2
	s_cbranch_execz .LBB6_16101
; %bb.16100:                            ;   in Loop: Header=BB6_16021 Depth=2
	v_add_co_u32 v66, vcc_lo, v66, 2
	v_add_co_ci_u32_e32 v67, vcc_lo, 0, v67, vcc_lo
	s_waitcnt vmcnt(0) lgkmcnt(0)
	s_waitcnt_vscnt null, 0x0
	flat_store_b64 v[64:65], v[66:67]
.LBB6_16101:                            ;   in Loop: Header=BB6_16021 Depth=2
	s_or_b32 exec_lo, exec_lo, s13
	v_add_nc_u32_e32 v179, v100, v179
	s_mov_b32 s13, 0
	s_and_not1_b32 exec_lo, exec_lo, s16
	s_cbranch_execnz .LBB6_16021
; %bb.16102:                            ;   in Loop: Header=BB6_51 Depth=1
	s_or_b32 exec_lo, exec_lo, s16
.LBB6_16103:                            ;   in Loop: Header=BB6_51 Depth=1
	s_delay_alu instid0(SALU_CYCLE_1)
	s_or_b32 exec_lo, exec_lo, s15
	s_mov_b32 s30, s14
	s_and_not1_b32 vcc_lo, exec_lo, s29
	s_cbranch_vccnz .LBB6_16400
; %bb.16104:                            ;   in Loop: Header=BB6_51 Depth=1
	s_mov_b32 s37, 1
.LBB6_16105:                            ;   Parent Loop BB6_51 Depth=1
                                        ; =>  This Loop Header: Depth=2
                                        ;       Child Loop BB6_16107 Depth 3
                                        ;         Child Loop BB6_16116 Depth 4
                                        ;         Child Loop BB6_16146 Depth 4
	;; [unrolled: 1-line block ×5, first 2 shown]
                                        ;           Child Loop BB6_16201 Depth 5
                                        ;         Child Loop BB6_16212 Depth 4
                                        ;         Child Loop BB6_16218 Depth 4
                                        ;           Child Loop BB6_16219 Depth 5
                                        ;         Child Loop BB6_16233 Depth 4
                                        ;         Child Loop BB6_16239 Depth 4
	;; [unrolled: 1-line block ×6, first 2 shown]
                                        ;       Child Loop BB6_16314 Depth 3
                                        ;         Child Loop BB6_16320 Depth 4
                                        ;         Child Loop BB6_16352 Depth 4
	;; [unrolled: 1-line block ×3, first 2 shown]
	s_delay_alu instid0(SALU_CYCLE_1)
	s_sub_i32 s13, s25, s37
	s_waitcnt vmcnt(0) lgkmcnt(1)
	v_mov_b32_e32 v16, 0
	s_cmp_le_i32 s19, s13
	s_mov_b32 s39, 0
	s_cselect_b32 s14, s19, 0
	s_delay_alu instid0(SALU_CYCLE_1) | instskip(NEXT) | instid1(SALU_CYCLE_1)
	s_sub_i32 s13, s13, s14
	s_ashr_i32 s14, s13, 31
	v_mul_lo_u32 v2, v97, s13
	v_mad_u64_u32 v[8:9], null, v96, s13, 0
	v_mul_lo_u32 v10, v96, s14
	s_delay_alu instid0(VALU_DEP_1) | instskip(NEXT) | instid1(VALU_DEP_3)
	v_add3_u32 v9, v9, v10, v2
	v_sub_co_u32 v10, vcc_lo, v98, v8
	s_delay_alu instid0(VALU_DEP_2) | instskip(NEXT) | instid1(VALU_DEP_1)
	v_sub_co_ci_u32_e32 v11, vcc_lo, v99, v9, vcc_lo
	v_cmp_lt_i64_e32 vcc_lo, v[96:97], v[10:11]
	v_cndmask_b32_e32 v10, v10, v96, vcc_lo
	s_delay_alu instid0(VALU_DEP_1) | instskip(NEXT) | instid1(VALU_DEP_1)
	v_max_i32_e32 v15, 0, v10
	v_add_nc_u32_e32 v2, 31, v15
	s_delay_alu instid0(VALU_DEP_1) | instskip(NEXT) | instid1(VALU_DEP_1)
	v_lshrrev_b32_e32 v2, 1, v2
	v_and_b32_e32 v11, 0x3ffffff0, v2
	v_cmp_lt_i32_e32 vcc_lo, 0, v10
	v_mov_b32_e32 v2, 0
	s_delay_alu instid0(VALU_DEP_3) | instskip(SKIP_1) | instid1(SALU_CYCLE_1)
	v_max_i32_e32 v12, s28, v11
	s_and_b32 s13, s30, vcc_lo
	s_and_saveexec_b32 s38, s13
	s_cbranch_execz .LBB6_16312
; %bb.16106:                            ;   in Loop: Header=BB6_16105 Depth=2
	v_add_co_u32 v17, vcc_lo, v8, v177
	v_add_co_ci_u32_e32 v18, vcc_lo, v9, v178, vcc_lo
	v_mov_b32_e32 v16, 0
	s_mov_b32 s41, 1
	s_mov_b32 s40, -1
.LBB6_16107:                            ;   Parent Loop BB6_51 Depth=1
                                        ;     Parent Loop BB6_16105 Depth=2
                                        ; =>    This Loop Header: Depth=3
                                        ;         Child Loop BB6_16116 Depth 4
                                        ;         Child Loop BB6_16146 Depth 4
	;; [unrolled: 1-line block ×5, first 2 shown]
                                        ;           Child Loop BB6_16201 Depth 5
                                        ;         Child Loop BB6_16212 Depth 4
                                        ;         Child Loop BB6_16218 Depth 4
                                        ;           Child Loop BB6_16219 Depth 5
                                        ;         Child Loop BB6_16233 Depth 4
                                        ;         Child Loop BB6_16239 Depth 4
	;; [unrolled: 1-line block ×6, first 2 shown]
	s_and_saveexec_b32 s14, s0
	s_cbranch_execz .LBB6_16110
; %bb.16108:                            ;   in Loop: Header=BB6_16107 Depth=3
	s_cbranch_execnz .LBB6_16800
; %bb.16109:                            ;   in Loop: Header=BB6_16107 Depth=3
	ds_load_b128 v[8:11], v0
	v_ashrrev_i32_e32 v2, 31, v16
	s_waitcnt lgkmcnt(0)
	v_add_co_u32 v13, vcc_lo, v10, v17
	v_add_co_ci_u32_e32 v14, vcc_lo, v11, v18, vcc_lo
	v_add_co_u32 v8, vcc_lo, v8, v17
	v_add_co_ci_u32_e32 v9, vcc_lo, v9, v18, vcc_lo
	s_delay_alu instid0(VALU_DEP_4) | instskip(NEXT) | instid1(VALU_DEP_4)
	v_add_co_u32 v13, vcc_lo, v13, v16
	v_add_co_ci_u32_e32 v14, vcc_lo, v14, v2, vcc_lo
	v_cmp_ne_u64_e32 vcc_lo, 0, v[10:11]
	v_add_co_u32 v8, s13, v8, v16
	s_delay_alu instid0(VALU_DEP_1) | instskip(NEXT) | instid1(VALU_DEP_4)
	v_add_co_ci_u32_e64 v9, s13, v9, v2, s13
	v_dual_cndmask_b32 v11, 0, v14 :: v_dual_cndmask_b32 v10, 0, v13
	ds_store_b64 v0, v[8:9]
	ds_store_b64 v0, v[10:11]
.LBB6_16110:                            ;   in Loop: Header=BB6_16107 Depth=3
	s_or_b32 exec_lo, exec_lo, s14
	v_and_b32_e32 v2, 12, v30
	s_mov_b32 s14, -1
	s_mov_b32 s13, exec_lo
	s_delay_alu instid0(VALU_DEP_1)
	v_cmpx_ne_u32_e32 0, v2
	s_cbranch_execz .LBB6_16124
; %bb.16111:                            ;   in Loop: Header=BB6_16107 Depth=3
	v_and_b32_e32 v2, 8, v30
	s_delay_alu instid0(VALU_DEP_1) | instskip(SKIP_3) | instid1(VALU_DEP_1)
	v_add_co_u32 v10, vcc_lo, v82, v2
	v_add_co_ci_u32_e32 v11, vcc_lo, 0, v83, vcc_lo
	v_add_co_u32 v8, vcc_lo, v66, 2
	v_add_co_ci_u32_e32 v9, vcc_lo, 0, v67, vcc_lo
	v_cmp_lt_u64_e32 vcc_lo, v[10:11], v[8:9]
	v_mov_b32_e32 v10, 1
	s_and_saveexec_b32 s14, vcc_lo
	s_cbranch_execz .LBB6_16123
; %bb.16112:                            ;   in Loop: Header=BB6_16107 Depth=3
	v_mov_b32_e32 v10, 0
	s_mov_b32 s15, 0
                                        ; implicit-def: $sgpr16
	s_branch .LBB6_16116
.LBB6_16113:                            ;   in Loop: Header=BB6_16116 Depth=4
	s_or_b32 exec_lo, exec_lo, s44
	v_mov_b32_e32 v11, 0
	s_or_not1_b32 s43, s43, exec_lo
.LBB6_16114:                            ;   in Loop: Header=BB6_16116 Depth=4
	s_or_b32 exec_lo, exec_lo, s42
	s_delay_alu instid0(VALU_DEP_1) | instskip(SKIP_2) | instid1(SALU_CYCLE_1)
	v_mov_b32_e32 v10, v11
	s_and_not1_b32 s16, s16, exec_lo
	s_and_b32 vcc_lo, s43, exec_lo
	s_or_b32 s16, s16, vcc_lo
.LBB6_16115:                            ;   in Loop: Header=BB6_16116 Depth=4
	s_or_b32 exec_lo, exec_lo, s17
	s_waitcnt vmcnt(0) lgkmcnt(0)
	v_add_co_u32 v13, vcc_lo, v82, v2
	v_add_co_ci_u32_e32 v14, vcc_lo, 0, v83, vcc_lo
	s_xor_b32 s17, s16, -1
	s_delay_alu instid0(VALU_DEP_1) | instskip(SKIP_1) | instid1(SALU_CYCLE_1)
	v_cmp_ge_u64_e32 vcc_lo, v[13:14], v[8:9]
	s_or_b32 s17, s17, vcc_lo
	s_and_b32 s17, exec_lo, s17
	s_delay_alu instid0(SALU_CYCLE_1) | instskip(NEXT) | instid1(SALU_CYCLE_1)
	s_or_b32 s15, s17, s15
	s_and_not1_b32 exec_lo, exec_lo, s15
	s_cbranch_execz .LBB6_16122
.LBB6_16116:                            ;   Parent Loop BB6_51 Depth=1
                                        ;     Parent Loop BB6_16105 Depth=2
                                        ;       Parent Loop BB6_16107 Depth=3
                                        ; =>      This Inner Loop Header: Depth=4
	s_sleep 1
	flat_load_b64 v[82:83], v[64:65] glc
	v_and_b32_e32 v11, 64, v30
	s_and_not1_b32 s16, s16, exec_lo
	s_mov_b32 s17, exec_lo
	s_delay_alu instid0(VALU_DEP_1)
	v_cmpx_eq_u32_e32 0, v11
	s_cbranch_execz .LBB6_16115
; %bb.16117:                            ;   in Loop: Header=BB6_16116 Depth=4
	v_add_nc_u32_e32 v11, 1, v10
	s_mov_b32 s43, -1
	s_mov_b32 s42, exec_lo
	v_cmpx_lt_i32_e32 0x270e, v10
	s_cbranch_execz .LBB6_16114
; %bb.16118:                            ;   in Loop: Header=BB6_16116 Depth=4
	s_cbranch_execnz .LBB6_16842
; %bb.16119:                            ;   in Loop: Header=BB6_16116 Depth=4
	ds_load_b64 v[10:11], v0
	s_mov_b32 s44, exec_lo
	s_waitcnt vmcnt(0) lgkmcnt(0)
	s_waitcnt_vscnt null, 0x0
	flat_load_b32 v10, v[10:11] glc
	s_waitcnt vmcnt(0) lgkmcnt(0)
	buffer_gl1_inv
	buffer_gl0_inv
	v_cmpx_ne_u32_e32 0, v10
	s_cbranch_execz .LBB6_16113
; %bb.16120:                            ;   in Loop: Header=BB6_16116 Depth=4
	ds_store_b32 v0, v10
	s_cbranch_execnz .LBB6_16920
; %bb.16121:                            ;   in Loop: Header=BB6_16116 Depth=4
	v_or_b32_e32 v30, 64, v30
	s_xor_b32 s43, exec_lo, -1
	s_branch .LBB6_16113
.LBB6_16122:                            ;   in Loop: Header=BB6_16107 Depth=3
	s_or_b32 exec_lo, exec_lo, s15
	v_and_b32_e32 v10, 12, v30
.LBB6_16123:                            ;   in Loop: Header=BB6_16107 Depth=3
	s_or_b32 exec_lo, exec_lo, s14
	s_delay_alu instid0(VALU_DEP_1)
	v_cmp_eq_u32_e32 vcc_lo, 0, v10
	;;#ASMSTART
	s_wakeup
	;;#ASMEND
	s_or_not1_b32 s14, vcc_lo, exec_lo
.LBB6_16124:                            ;   in Loop: Header=BB6_16107 Depth=3
	s_or_b32 exec_lo, exec_lo, s13
	v_sub_nc_u32_e32 v2, v15, v16
	s_xor_b32 s13, s14, -1
	s_delay_alu instid0(VALU_DEP_1)
	v_min_i32_e32 v12, v12, v2
	s_and_saveexec_b32 s14, s13
	s_cbranch_execz .LBB6_16137
; %bb.16125:                            ;   in Loop: Header=BB6_16107 Depth=3
	v_and_b32_e32 v2, 0x108, v30
	s_delay_alu instid0(VALU_DEP_1) | instskip(SKIP_2) | instid1(SALU_CYCLE_1)
	v_cmp_ne_u32_e32 vcc_lo, 0x108, v2
	v_and_b32_e32 v2, 7, v66
	s_and_saveexec_b32 s13, vcc_lo
	s_xor_b32 s13, exec_lo, s13
	s_delay_alu instid0(SALU_CYCLE_1)
	s_and_not1_saveexec_b32 s13, s13
	s_cbranch_execz .LBB6_16127
; %bb.16126:                            ;   in Loop: Header=BB6_16107 Depth=3
	v_mad_u64_u32 v[8:9], null, v2, 24, v[6:7]
	v_ashrrev_i32_e32 v13, 31, v12
	flat_store_b64 v[8:9], v[12:13] offset:8
.LBB6_16127:                            ;   in Loop: Header=BB6_16107 Depth=3
	s_or_b32 exec_lo, exec_lo, s13
	v_and_b32_e32 v8, 0x100, v30
	s_mov_b32 s13, -1
	s_delay_alu instid0(VALU_DEP_1)
	v_cmp_ne_u32_e32 vcc_lo, 0, v8
                                        ; implicit-def: $vgpr8_vgpr9
	s_and_saveexec_b32 s15, vcc_lo
	s_cbranch_execnz .LBB6_16130
; %bb.16128:                            ;   in Loop: Header=BB6_16107 Depth=3
	s_or_b32 exec_lo, exec_lo, s15
	s_and_saveexec_b32 s15, s13
	s_cbranch_execnz .LBB6_16133
.LBB6_16129:                            ;   in Loop: Header=BB6_16107 Depth=3
	s_or_b32 exec_lo, exec_lo, s15
	s_cbranch_execnz .LBB6_16832
	s_branch .LBB6_16134
.LBB6_16130:                            ;   in Loop: Header=BB6_16107 Depth=3
	v_mad_u64_u32 v[10:11], null, v2, 24, v[6:7]
	s_delay_alu instid0(VALU_DEP_1) | instskip(NEXT) | instid1(VALU_DEP_1)
	v_mov_b32_e32 v8, v11
	v_mad_u64_u32 v[13:14], null, v3, 24, v[8:9]
	s_delay_alu instid0(VALU_DEP_1) | instskip(SKIP_4) | instid1(VALU_DEP_1)
	v_mov_b32_e32 v11, v13
	flat_load_b32 v8, v[10:11]
	s_waitcnt vmcnt(0) lgkmcnt(0)
	v_cmp_ne_u32_e32 vcc_lo, 1, v8
	v_cmp_eq_u32_e64 s13, 1, v8
                                        ; implicit-def: $vgpr8_vgpr9
	s_and_saveexec_b32 s16, s13
	s_cbranch_execz .LBB6_16132
; %bb.16131:                            ;   in Loop: Header=BB6_16107 Depth=3
	flat_load_b32 v8, v[10:11] offset:4 glc
	s_waitcnt vmcnt(0) lgkmcnt(0)
	v_ashrrev_i32_e32 v9, 31, v8
.LBB6_16132:                            ;   in Loop: Header=BB6_16107 Depth=3
	s_or_b32 exec_lo, exec_lo, s16
	s_delay_alu instid0(SALU_CYCLE_1)
	s_or_not1_b32 s13, vcc_lo, exec_lo
	s_or_b32 exec_lo, exec_lo, s15
	s_and_saveexec_b32 s15, s13
	s_cbranch_execz .LBB6_16129
.LBB6_16133:                            ;   in Loop: Header=BB6_16107 Depth=3
	v_mul_lo_u32 v10, v3, v118
	v_mul_lo_u32 v11, v2, v128
	v_mad_u64_u32 v[8:9], null, v2, v118, 0
	s_delay_alu instid0(VALU_DEP_1)
	v_add3_u32 v9, v9, v11, v10
	s_or_b32 exec_lo, exec_lo, s15
	s_cbranch_execnz .LBB6_16832
.LBB6_16134:                            ;   in Loop: Header=BB6_16107 Depth=3
	s_delay_alu instid0(VALU_DEP_2)
	v_add_co_u32 v8, vcc_lo, v68, v8
	v_and_b32_e32 v2, 0x2000, v30
	v_add_co_ci_u32_e32 v9, vcc_lo, v69, v9, vcc_lo
	s_mov_b32 s13, exec_lo
	ds_store_b64 v0, v[8:9]
	v_cmpx_ne_u32_e32 0, v2
	s_cbranch_execz .LBB6_16136
; %bb.16135:                            ;   in Loop: Header=BB6_16107 Depth=3
	ds_load_b64 v[8:9], v0 offset:584
	s_waitcnt lgkmcnt(0)
	v_add_co_u32 v8, vcc_lo, v8, 1
	v_add_co_ci_u32_e32 v9, vcc_lo, 0, v9, vcc_lo
	ds_store_b64 v0, v[8:9] offset:584
.LBB6_16136:                            ;   in Loop: Header=BB6_16107 Depth=3
	s_or_b32 exec_lo, exec_lo, s13
	v_add_co_u32 v66, vcc_lo, v66, 2
	v_add_co_ci_u32_e32 v67, vcc_lo, 0, v67, vcc_lo
.LBB6_16137:                            ;   in Loop: Header=BB6_16107 Depth=3
	s_or_b32 exec_lo, exec_lo, s14
	s_and_saveexec_b32 s13, s3
	s_cbranch_execz .LBB6_16159
; %bb.16138:                            ;   in Loop: Header=BB6_16107 Depth=3
	s_and_saveexec_b32 s14, s4
	s_delay_alu instid0(SALU_CYCLE_1)
	s_xor_b32 s14, exec_lo, s14
	s_cbranch_execz .LBB6_16156
; %bb.16139:                            ;   in Loop: Header=BB6_16107 Depth=3
	s_and_saveexec_b32 s15, s1
	s_cbranch_execz .LBB6_16155
; %bb.16140:                            ;   in Loop: Header=BB6_16107 Depth=3
	s_mov_b32 s17, exec_lo
	s_mov_b32 s16, exec_lo
	v_mbcnt_lo_u32_b32 v2, s17, 0
	s_waitcnt lgkmcnt(0)
	s_waitcnt_vscnt null, 0x0
	buffer_gl1_inv
	buffer_gl0_inv
	v_cmpx_eq_u32_e32 0, v2
	s_cbranch_execz .LBB6_16142
; %bb.16141:                            ;   in Loop: Header=BB6_16107 Depth=3
	s_bcnt1_i32_b32 s17, s17
	s_delay_alu instid0(SALU_CYCLE_1)
	v_mov_b32_e32 v2, s17
	ds_add_u64 v0, v[2:3]
	s_cbranch_execnz .LBB6_16976
.LBB6_16142:                            ;   in Loop: Header=BB6_16107 Depth=3
	s_or_b32 exec_lo, exec_lo, s16
	s_cbranch_execnz .LBB6_16946
; %bb.16143:                            ;   in Loop: Header=BB6_16107 Depth=3
	ds_load_b64 v[8:9], v0
	v_add_co_u32 v80, vcc_lo, v80, v129
	v_add_co_ci_u32_e32 v81, vcc_lo, 0, v81, vcc_lo
	s_mov_b32 s16, exec_lo
	s_waitcnt lgkmcnt(0)
	s_delay_alu instid0(VALU_DEP_1)
	v_cmpx_lt_u64_e64 v[8:9], v[80:81]
	s_cbranch_execz .LBB6_16154
; %bb.16144:                            ;   in Loop: Header=BB6_16107 Depth=3
	s_mov_b32 s17, 0
	s_mov_b32 s44, 0
                                        ; implicit-def: $sgpr42
                                        ; implicit-def: $sgpr43
	s_branch .LBB6_16146
.LBB6_16145:                            ;   in Loop: Header=BB6_16146 Depth=4
	s_or_b32 exec_lo, exec_lo, s46
	s_delay_alu instid0(SALU_CYCLE_1) | instskip(NEXT) | instid1(SALU_CYCLE_1)
	s_and_b32 vcc_lo, exec_lo, vcc_lo
	s_or_b32 s17, vcc_lo, s17
	s_and_not1_b32 vcc_lo, s42, exec_lo
	s_and_b32 s42, s43, exec_lo
	s_delay_alu instid0(SALU_CYCLE_1)
	s_or_b32 s42, vcc_lo, s42
	s_and_not1_b32 exec_lo, exec_lo, s17
	s_cbranch_execz .LBB6_16152
.LBB6_16146:                            ;   Parent Loop BB6_51 Depth=1
                                        ;     Parent Loop BB6_16105 Depth=2
                                        ;       Parent Loop BB6_16107 Depth=3
                                        ; =>      This Inner Loop Header: Depth=4
	s_add_i32 s44, s44, 1
                                        ; implicit-def: $sgpr46
	s_delay_alu instid0(SALU_CYCLE_1) | instskip(SKIP_1) | instid1(SALU_CYCLE_1)
	s_cmpk_lg_i32 s44, 0x2710
	s_cselect_b32 s45, -1, 0
	s_and_b32 vcc_lo, exec_lo, s45
	s_cbranch_vccz .LBB6_16150
.LBB6_16147:                            ;   in Loop: Header=BB6_16146 Depth=4
	s_and_not1_b32 s43, s43, exec_lo
	s_and_b32 s46, s46, exec_lo
	s_mov_b32 vcc_lo, -1
	s_or_b32 s43, s43, s46
	s_and_saveexec_b32 s46, s45
	s_cbranch_execz .LBB6_16145
; %bb.16148:                            ;   in Loop: Header=BB6_16146 Depth=4
	s_sleep 1
	s_cbranch_execnz .LBB6_17026
; %bb.16149:                            ;   in Loop: Header=BB6_16146 Depth=4
	ds_load_b64 v[8:9], v0
	s_and_not1_b32 s43, s43, exec_lo
	s_waitcnt lgkmcnt(0)
	v_cmp_ge_u64_e32 vcc_lo, v[8:9], v[80:81]
	s_or_not1_b32 vcc_lo, vcc_lo, exec_lo
	s_branch .LBB6_16145
.LBB6_16150:                            ;   in Loop: Header=BB6_16146 Depth=4
	s_cbranch_execnz .LBB6_17048
; %bb.16151:                            ;   in Loop: Header=BB6_16146 Depth=4
	ds_load_b64 v[8:9], v0
	s_and_not1_b32 s45, s45, exec_lo
	s_mov_b32 s44, 0
	s_mov_b32 s46, -1
	s_waitcnt lgkmcnt(0)
	flat_load_b32 v2, v[8:9] glc
	s_waitcnt vmcnt(0) lgkmcnt(0)
	buffer_gl1_inv
	buffer_gl0_inv
	v_cmp_eq_u32_e32 vcc_lo, 0, v2
	s_and_b32 vcc_lo, vcc_lo, exec_lo
	s_delay_alu instid0(SALU_CYCLE_1)
	s_or_b32 s45, s45, vcc_lo
	s_branch .LBB6_16147
.LBB6_16152:                            ;   in Loop: Header=BB6_16107 Depth=3
	s_or_b32 exec_lo, exec_lo, s17
	s_and_saveexec_b32 s17, s42
	s_delay_alu instid0(SALU_CYCLE_1)
	s_xor_b32 s17, exec_lo, s17
	s_cbranch_execz .LBB6_16154
; %bb.16153:                            ;   in Loop: Header=BB6_16107 Depth=3
	ds_store_b32 v0, v176
	s_cbranch_execnz .LBB6_17162
.LBB6_16154:                            ;   in Loop: Header=BB6_16107 Depth=3
	s_or_b32 exec_lo, exec_lo, s16
	;;#ASMSTART
	s_wakeup
	;;#ASMEND
.LBB6_16155:                            ;   in Loop: Header=BB6_16107 Depth=3
	s_or_b32 exec_lo, exec_lo, s15
.LBB6_16156:                            ;   in Loop: Header=BB6_16107 Depth=3
	s_and_not1_saveexec_b32 s14, s14
	s_cbranch_execz .LBB6_16158
; %bb.16157:                            ;   in Loop: Header=BB6_16107 Depth=3
	s_waitcnt lgkmcnt(0)
	s_waitcnt_vscnt null, 0x0
	buffer_gl1_inv
	buffer_gl0_inv
	s_barrier
.LBB6_16158:                            ;   in Loop: Header=BB6_16107 Depth=3
	s_or_b32 exec_lo, exec_lo, s14
.LBB6_16159:                            ;   in Loop: Header=BB6_16107 Depth=3
	s_delay_alu instid0(SALU_CYCLE_1)
	s_or_b32 exec_lo, exec_lo, s13
	s_cbranch_execnz .LBB6_16814
; %bb.16160:                            ;   in Loop: Header=BB6_16107 Depth=3
	ds_load_b32 v8, v0
	v_and_b32_e32 v2, 0x4000, v30
	s_xor_b32 s13, s2, -1
	s_delay_alu instid0(VALU_DEP_1) | instskip(SKIP_1) | instid1(SALU_CYCLE_1)
	v_cmp_ne_u32_e32 vcc_lo, 0, v2
	s_and_b32 s14, s13, vcc_lo
	s_and_saveexec_b32 s13, s14
	s_cbranch_execz .LBB6_16182
; %bb.16161:                            ;   in Loop: Header=BB6_16107 Depth=3
	s_and_saveexec_b32 s14, s4
	s_delay_alu instid0(SALU_CYCLE_1)
	s_xor_b32 s14, exec_lo, s14
	s_cbranch_execz .LBB6_16179
; %bb.16162:                            ;   in Loop: Header=BB6_16107 Depth=3
	s_and_saveexec_b32 s15, s1
	s_cbranch_execz .LBB6_16178
; %bb.16163:                            ;   in Loop: Header=BB6_16107 Depth=3
	s_mov_b32 s17, exec_lo
	s_mov_b32 s16, exec_lo
	v_mbcnt_lo_u32_b32 v2, s17, 0
	s_waitcnt lgkmcnt(0)
	s_waitcnt_vscnt null, 0x0
	buffer_gl1_inv
	buffer_gl0_inv
	v_cmpx_eq_u32_e32 0, v2
	s_cbranch_execz .LBB6_16165
; %bb.16164:                            ;   in Loop: Header=BB6_16107 Depth=3
	s_bcnt1_i32_b32 s17, s17
	s_delay_alu instid0(SALU_CYCLE_1)
	v_mov_b32_e32 v2, s17
	ds_add_u64 v0, v[2:3]
	s_cbranch_execnz .LBB6_17014
.LBB6_16165:                            ;   in Loop: Header=BB6_16107 Depth=3
	s_or_b32 exec_lo, exec_lo, s16
	s_cbranch_execnz .LBB6_16996
; %bb.16166:                            ;   in Loop: Header=BB6_16107 Depth=3
	ds_load_b64 v[9:10], v0
	v_add_co_u32 v80, vcc_lo, v80, v129
	v_add_co_ci_u32_e32 v81, vcc_lo, 0, v81, vcc_lo
	s_mov_b32 s16, exec_lo
	s_waitcnt lgkmcnt(0)
	s_delay_alu instid0(VALU_DEP_1)
	v_cmpx_lt_u64_e64 v[9:10], v[80:81]
	s_cbranch_execz .LBB6_16177
; %bb.16167:                            ;   in Loop: Header=BB6_16107 Depth=3
	s_mov_b32 s17, 0
	s_mov_b32 s44, 0
                                        ; implicit-def: $sgpr42
                                        ; implicit-def: $sgpr43
	s_branch .LBB6_16169
.LBB6_16168:                            ;   in Loop: Header=BB6_16169 Depth=4
	s_or_b32 exec_lo, exec_lo, s46
	s_delay_alu instid0(SALU_CYCLE_1) | instskip(NEXT) | instid1(SALU_CYCLE_1)
	s_and_b32 vcc_lo, exec_lo, vcc_lo
	s_or_b32 s17, vcc_lo, s17
	s_and_not1_b32 vcc_lo, s42, exec_lo
	s_and_b32 s42, s43, exec_lo
	s_delay_alu instid0(SALU_CYCLE_1)
	s_or_b32 s42, vcc_lo, s42
	s_and_not1_b32 exec_lo, exec_lo, s17
	s_cbranch_execz .LBB6_16175
.LBB6_16169:                            ;   Parent Loop BB6_51 Depth=1
                                        ;     Parent Loop BB6_16105 Depth=2
                                        ;       Parent Loop BB6_16107 Depth=3
                                        ; =>      This Inner Loop Header: Depth=4
	s_add_i32 s44, s44, 1
                                        ; implicit-def: $sgpr46
	s_delay_alu instid0(SALU_CYCLE_1) | instskip(SKIP_1) | instid1(SALU_CYCLE_1)
	s_cmpk_lg_i32 s44, 0x2710
	s_cselect_b32 s45, -1, 0
	s_and_b32 vcc_lo, exec_lo, s45
	s_cbranch_vccz .LBB6_16173
.LBB6_16170:                            ;   in Loop: Header=BB6_16169 Depth=4
	s_and_not1_b32 s43, s43, exec_lo
	s_and_b32 s46, s46, exec_lo
	s_mov_b32 vcc_lo, -1
	s_or_b32 s43, s43, s46
	s_and_saveexec_b32 s46, s45
	s_cbranch_execz .LBB6_16168
; %bb.16171:                            ;   in Loop: Header=BB6_16169 Depth=4
	s_sleep 1
	s_cbranch_execnz .LBB6_17084
; %bb.16172:                            ;   in Loop: Header=BB6_16169 Depth=4
	ds_load_b64 v[9:10], v0
	s_and_not1_b32 s43, s43, exec_lo
	s_waitcnt lgkmcnt(0)
	v_cmp_ge_u64_e32 vcc_lo, v[9:10], v[80:81]
	s_or_not1_b32 vcc_lo, vcc_lo, exec_lo
	s_branch .LBB6_16168
.LBB6_16173:                            ;   in Loop: Header=BB6_16169 Depth=4
	s_cbranch_execnz .LBB6_17092
; %bb.16174:                            ;   in Loop: Header=BB6_16169 Depth=4
	ds_load_b64 v[9:10], v0
	s_and_not1_b32 s45, s45, exec_lo
	s_mov_b32 s44, 0
	s_mov_b32 s46, -1
	s_waitcnt lgkmcnt(0)
	flat_load_b32 v2, v[9:10] glc
	s_waitcnt vmcnt(0) lgkmcnt(0)
	buffer_gl1_inv
	buffer_gl0_inv
	v_cmp_eq_u32_e32 vcc_lo, 0, v2
	s_and_b32 vcc_lo, vcc_lo, exec_lo
	s_delay_alu instid0(SALU_CYCLE_1)
	s_or_b32 s45, s45, vcc_lo
	s_branch .LBB6_16170
.LBB6_16175:                            ;   in Loop: Header=BB6_16107 Depth=3
	s_or_b32 exec_lo, exec_lo, s17
	s_and_saveexec_b32 s17, s42
	s_delay_alu instid0(SALU_CYCLE_1)
	s_xor_b32 s17, exec_lo, s17
	s_cbranch_execz .LBB6_16177
; %bb.16176:                            ;   in Loop: Header=BB6_16107 Depth=3
	ds_store_b32 v0, v176
	s_cbranch_execnz .LBB6_17178
.LBB6_16177:                            ;   in Loop: Header=BB6_16107 Depth=3
	s_or_b32 exec_lo, exec_lo, s16
	;;#ASMSTART
	s_wakeup
	;;#ASMEND
.LBB6_16178:                            ;   in Loop: Header=BB6_16107 Depth=3
	s_or_b32 exec_lo, exec_lo, s15
.LBB6_16179:                            ;   in Loop: Header=BB6_16107 Depth=3
	s_and_not1_saveexec_b32 s14, s14
	s_cbranch_execz .LBB6_16181
; %bb.16180:                            ;   in Loop: Header=BB6_16107 Depth=3
	s_waitcnt lgkmcnt(0)
	s_waitcnt_vscnt null, 0x0
	buffer_gl1_inv
	buffer_gl0_inv
	s_barrier
.LBB6_16181:                            ;   in Loop: Header=BB6_16107 Depth=3
	s_or_b32 exec_lo, exec_lo, s14
.LBB6_16182:                            ;   in Loop: Header=BB6_16107 Depth=3
	s_delay_alu instid0(SALU_CYCLE_1)
	s_or_b32 exec_lo, exec_lo, s13
	s_cbranch_execnz .LBB6_16872
; %bb.16183:                            ;   in Loop: Header=BB6_16107 Depth=3
	ds_load_b64 v[9:10], v0
	v_mov_b32_e32 v19, 0
	s_waitcnt lgkmcnt(0)
	v_cmp_eq_u64_e32 vcc_lo, 0, v[9:10]
	s_or_b32 s13, vcc_lo, vcc_lo
	s_delay_alu instid0(SALU_CYCLE_1)
	s_and_b32 vcc_lo, exec_lo, s13
	s_cbranch_vccnz .LBB6_16258
; %bb.16184:                            ;   in Loop: Header=BB6_16107 Depth=3
	v_cmp_eq_u32_e32 vcc_lo, 0, v8
	s_cbranch_execnz .LBB6_16938
; %bb.16185:                            ;   in Loop: Header=BB6_16107 Depth=3
	ds_load_b64 v[8:9], v0
	v_cndmask_b32_e32 v19, 0, v12, vcc_lo
	s_waitcnt lgkmcnt(0)
	v_cmp_ne_u64_e64 s13, 0, v[8:9]
	s_delay_alu instid0(VALU_DEP_1)
	s_and_b32 vcc_lo, exec_lo, s13
	s_cbranch_vccz .LBB6_16223
; %bb.16186:                            ;   in Loop: Header=BB6_16107 Depth=3
	s_mov_b32 s13, -1
	s_and_saveexec_b32 s14, s6
	s_cbranch_execz .LBB6_16188
; %bb.16187:                            ;   in Loop: Header=BB6_16107 Depth=3
	ds_load_b32 v2, v0 offset:720
	s_waitcnt lgkmcnt(0)
	v_and_b32_e32 v2, 15, v2
	s_delay_alu instid0(VALU_DEP_1)
	v_cmp_eq_u32_e32 vcc_lo, 0, v2
	s_or_not1_b32 s13, vcc_lo, exec_lo
.LBB6_16188:                            ;   in Loop: Header=BB6_16107 Depth=3
	s_or_b32 exec_lo, exec_lo, s14
	s_and_saveexec_b32 s14, s12
	s_cbranch_execz .LBB6_16190
; %bb.16189:                            ;   in Loop: Header=BB6_16107 Depth=3
	ds_load_b32 v2, v0 offset:784
	s_waitcnt lgkmcnt(0)
	v_and_b32_e32 v2, 15, v2
	s_delay_alu instid0(VALU_DEP_1) | instskip(SKIP_3) | instid1(SALU_CYCLE_1)
	v_cmp_eq_u32_e32 vcc_lo, 0, v2
	s_and_b32 s15, s13, vcc_lo
	s_and_not1_b32 s13, s13, exec_lo
	s_and_b32 s15, s15, exec_lo
	s_or_b32 s13, s13, s15
.LBB6_16190:                            ;   in Loop: Header=BB6_16107 Depth=3
	s_or_b32 exec_lo, exec_lo, s14
	s_xor_b32 s13, s13, -1
	v_mov_b32_e32 v20, v19
	v_cndmask_b32_e64 v2, 0, 1, s13
	;;#ASMSTART
	;;#ASMEND
	s_delay_alu instid0(VALU_DEP_1)
	v_cmp_ne_u32_e32 vcc_lo, 0, v2
	v_dual_mov_b32 v2, 0 :: v_dual_mov_b32 v21, v0
	v_mov_b32_e32 v8, v130
	s_mov_b32 s13, -1
	s_cbranch_vccnz .LBB6_16208
; %bb.16191:                            ;   in Loop: Header=BB6_16107 Depth=3
	v_ashrrev_i32_e32 v2, 31, v19
	s_mov_b32 s14, exec_lo
	s_delay_alu instid0(VALU_DEP_1) | instskip(NEXT) | instid1(VALU_DEP_1)
	v_lshrrev_b32_e32 v2, 21, v2
	v_add_nc_u32_e32 v2, v19, v2
	s_delay_alu instid0(VALU_DEP_1) | instskip(NEXT) | instid1(VALU_DEP_1)
	v_ashrrev_i32_e32 v2, 11, v2
	v_sub_nc_u32_e32 v23, v2, v130
	s_delay_alu instid0(VALU_DEP_1)
	v_cmpx_lt_i32_e32 0, v23
	s_cbranch_execz .LBB6_16196
; %bb.16192:                            ;   in Loop: Header=BB6_16107 Depth=3
	s_cbranch_execnz .LBB6_17108
; %bb.16193:                            ;   in Loop: Header=BB6_16107 Depth=3
	ds_load_b64 v[8:9], v0
	ds_load_b128 v[24:27], v0
	s_mov_b32 s15, 0
	s_waitcnt lgkmcnt(1)
	v_add_co_u32 v8, vcc_lo, v8, v164
	v_add_co_ci_u32_e32 v9, vcc_lo, v9, v165, vcc_lo
	s_waitcnt lgkmcnt(0)
	v_add_co_u32 v10, vcc_lo, v24, v164
	v_add_co_ci_u32_e32 v11, vcc_lo, v25, v165, vcc_lo
	v_add_co_u32 v13, vcc_lo, v26, v164
	v_add_co_ci_u32_e32 v14, vcc_lo, v27, v165, vcc_lo
	s_set_inst_prefetch_distance 0x1
.LBB6_16194:                            ;   Parent Loop BB6_51 Depth=1
                                        ;     Parent Loop BB6_16105 Depth=2
                                        ;       Parent Loop BB6_16107 Depth=3
                                        ; =>      This Inner Loop Header: Depth=4
	s_clause 0x3
	global_load_b128 v[24:27], v[8:9], off slc dlc
	global_load_b128 v[32:35], v[8:9], off offset:512 slc dlc
	global_load_b128 v[36:39], v[8:9], off offset:1024 slc dlc
	;; [unrolled: 1-line block ×3, first 2 shown]
	v_sub_nc_u32_e32 v23, v23, v129
	v_add_co_u32 v8, vcc_lo, v8, v166
	v_add_co_ci_u32_e32 v9, vcc_lo, v9, v167, vcc_lo
	s_delay_alu instid0(VALU_DEP_3)
	v_cmp_gt_i32_e32 vcc_lo, 1, v23
	s_waitcnt vmcnt(3)
	global_store_b128 v[10:11], v[24:27], off glc slc dlc
	s_waitcnt vmcnt(2)
	global_store_b128 v[10:11], v[32:35], off offset:512 glc slc dlc
	s_waitcnt vmcnt(1)
	global_store_b128 v[10:11], v[36:39], off offset:1024 glc slc dlc
	;; [unrolled: 2-line block ×3, first 2 shown]
	s_clause 0x3
	global_store_b128 v[13:14], v[24:27], off glc slc dlc
	global_store_b128 v[13:14], v[32:35], off offset:512 glc slc dlc
	global_store_b128 v[13:14], v[36:39], off offset:1024 glc slc dlc
	global_store_b128 v[13:14], v[48:51], off offset:1536 glc slc dlc
	v_add_co_u32 v10, s13, v10, v166
	s_delay_alu instid0(VALU_DEP_1) | instskip(SKIP_1) | instid1(VALU_DEP_1)
	v_add_co_ci_u32_e64 v11, s13, v11, v167, s13
	v_add_co_u32 v13, s13, v13, v166
	v_add_co_ci_u32_e64 v14, s13, v14, v167, s13
	s_or_b32 s15, vcc_lo, s15
	s_delay_alu instid0(SALU_CYCLE_1)
	s_and_not1_b32 exec_lo, exec_lo, s15
	s_cbranch_execnz .LBB6_16194
; %bb.16195:                            ;   in Loop: Header=BB6_16107 Depth=3
	s_set_inst_prefetch_distance 0x2
	s_or_b32 exec_lo, exec_lo, s15
.LBB6_16196:                            ;   in Loop: Header=BB6_16107 Depth=3
	s_delay_alu instid0(SALU_CYCLE_1) | instskip(SKIP_4) | instid1(VALU_DEP_2)
	s_or_b32 exec_lo, exec_lo, s14
	v_lshlrev_b32_e32 v22, 11, v2
	v_mov_b32_e32 v2, 0
	s_mov_b32 s13, 0
	s_mov_b32 s16, exec_lo
                                        ; implicit-def: $vgpr20
                                        ; implicit-def: $vgpr21
                                        ; implicit-def: $vgpr8
	v_cmpx_ne_u32_e64 v19, v22
	s_cbranch_execz .LBB6_16207
; %bb.16197:                            ;   in Loop: Header=BB6_16107 Depth=3
	v_lshlrev_b32_e32 v2, 5, v23
	v_sub_nc_u32_e32 v9, v19, v22
	s_mov_b32 s17, exec_lo
	s_delay_alu instid0(VALU_DEP_2) | instskip(NEXT) | instid1(VALU_DEP_2)
	v_sub_nc_u32_e32 v2, v131, v2
	v_ashrrev_i32_e32 v10, 31, v9
	s_delay_alu instid0(VALU_DEP_2) | instskip(NEXT) | instid1(VALU_DEP_2)
	v_ashrrev_i32_e32 v8, 31, v2
	v_lshrrev_b32_e32 v10, 23, v10
	s_delay_alu instid0(VALU_DEP_2) | instskip(NEXT) | instid1(VALU_DEP_2)
	v_lshrrev_b32_e32 v8, 27, v8
	v_add_nc_u32_e32 v10, v9, v10
	s_delay_alu instid0(VALU_DEP_2) | instskip(NEXT) | instid1(VALU_DEP_2)
	v_add_nc_u32_e32 v8, v2, v8
	v_and_b32_e32 v23, 0xfffffe00, v10
	v_ashrrev_i32_e32 v10, 9, v10
	s_delay_alu instid0(VALU_DEP_3) | instskip(NEXT) | instid1(VALU_DEP_3)
	v_and_b32_e32 v11, 0xffffffe0, v8
	v_sub_nc_u32_e32 v25, v9, v23
	s_delay_alu instid0(VALU_DEP_2) | instskip(SKIP_1) | instid1(VALU_DEP_3)
	v_sub_nc_u32_e32 v24, v2, v11
	v_ashrrev_i32_e32 v11, 5, v8
	v_cmp_lt_i32_e64 s13, 15, v25
	s_delay_alu instid0(VALU_DEP_3) | instskip(NEXT) | instid1(VALU_DEP_2)
	v_lshlrev_b32_e32 v2, 4, v24
	v_add_co_ci_u32_e64 v10, vcc_lo, 0, v10, s13
	s_delay_alu instid0(VALU_DEP_2) | instskip(NEXT) | instid1(VALU_DEP_2)
	v_lshl_add_u32 v8, v11, 9, v2
	v_sub_nc_u32_e32 v26, v10, v11
	s_delay_alu instid0(VALU_DEP_2) | instskip(NEXT) | instid1(VALU_DEP_1)
	v_sub_nc_u32_e32 v2, v9, v8
	v_cmpx_lt_i32_e32 15, v2
	s_cbranch_execz .LBB6_16204
; %bb.16198:                            ;   in Loop: Header=BB6_16107 Depth=3
	s_cbranch_execnz .LBB6_17146
; %bb.16199:                            ;   in Loop: Header=BB6_16107 Depth=3
	ds_load_b64 v[9:10], v0
	ds_load_b128 v[32:35], v0
	v_add_nc_u32_e32 v8, v8, v22
	s_mov_b32 s42, 0
	s_delay_alu instid0(VALU_DEP_1) | instskip(SKIP_2) | instid1(VALU_DEP_2)
	v_ashrrev_i32_e32 v11, 31, v8
	s_waitcnt lgkmcnt(1)
	v_add_co_u32 v13, vcc_lo, v9, v8
	v_add_co_ci_u32_e32 v14, vcc_lo, v10, v11, vcc_lo
	s_waitcnt lgkmcnt(0)
	v_add_co_u32 v20, vcc_lo, v32, v8
	v_add_co_ci_u32_e32 v21, vcc_lo, v33, v11, vcc_lo
	v_add_co_u32 v27, vcc_lo, v34, v8
	v_add_co_ci_u32_e32 v32, vcc_lo, v35, v11, vcc_lo
.LBB6_16200:                            ;   Parent Loop BB6_51 Depth=1
                                        ;     Parent Loop BB6_16105 Depth=2
                                        ;       Parent Loop BB6_16107 Depth=3
                                        ; =>      This Loop Header: Depth=4
                                        ;           Child Loop BB6_16201 Depth 5
	global_load_b128 v[8:11], v[13:14], off slc dlc
	s_mov_b64 s[14:15], 0
	s_mov_b32 s43, -1
.LBB6_16201:                            ;   Parent Loop BB6_51 Depth=1
                                        ;     Parent Loop BB6_16105 Depth=2
                                        ;       Parent Loop BB6_16107 Depth=3
                                        ;         Parent Loop BB6_16200 Depth=4
                                        ; =>        This Inner Loop Header: Depth=5
	s_cmp_eq_u32 s14, 0
	v_cndmask_b32_e64 v35, 0, 1, s43
	s_cselect_b32 vcc_lo, -1, 0
	s_cmp_eq_u32 s14, 1
	s_mov_b32 s43, 0
	s_cselect_b32 s14, -1, 0
	s_delay_alu instid0(SALU_CYCLE_1) | instskip(SKIP_1) | instid1(VALU_DEP_2)
	v_cndmask_b32_e64 v33, v20, v27, s14
	v_cndmask_b32_e64 v34, v21, v32, s14
	v_add_co_u32 v36, s15, 0x200, v33
	s_delay_alu instid0(VALU_DEP_1) | instskip(SKIP_1) | instid1(VALU_DEP_3)
	v_add_co_ci_u32_e64 v37, s15, 0, v34, s15
	v_cmp_ne_u32_e64 s15, 1, v35
	v_cndmask_b32_e64 v27, v27, v36, s14
	v_cndmask_b32_e32 v20, v20, v36, vcc_lo
	s_delay_alu instid0(VALU_DEP_4)
	v_cndmask_b32_e64 v32, v32, v37, s14
	v_cndmask_b32_e32 v21, v21, v37, vcc_lo
	s_and_b32 vcc_lo, exec_lo, s15
	s_mov_b64 s[14:15], 1
	s_waitcnt vmcnt(0)
	global_store_b128 v[33:34], v[8:11], off glc slc dlc
	s_cbranch_vccz .LBB6_16201
; %bb.16202:                            ;   in Loop: Header=BB6_16200 Depth=4
	v_add_co_u32 v20, vcc_lo, v20, v134
	v_sub_nc_u32_e32 v2, v2, v132
	v_add_co_ci_u32_e32 v21, vcc_lo, v21, v146, vcc_lo
	v_add_co_u32 v27, vcc_lo, v27, v134
	v_add_co_ci_u32_e32 v32, vcc_lo, v32, v146, vcc_lo
	s_delay_alu instid0(VALU_DEP_4) | instskip(SKIP_1) | instid1(VALU_DEP_1)
	v_cmp_gt_i32_e32 vcc_lo, 16, v2
	v_add_co_u32 v13, s14, v148, v13
	v_add_co_ci_u32_e64 v14, s14, v149, v14, s14
	v_sub_nc_u32_e32 v26, v26, v129
	s_or_b32 s42, vcc_lo, s42
	s_delay_alu instid0(SALU_CYCLE_1)
	s_and_not1_b32 exec_lo, exec_lo, s42
	s_cbranch_execnz .LBB6_16200
; %bb.16203:                            ;   in Loop: Header=BB6_16107 Depth=3
	s_or_b32 exec_lo, exec_lo, s42
.LBB6_16204:                            ;   in Loop: Header=BB6_16107 Depth=3
	s_delay_alu instid0(SALU_CYCLE_1) | instskip(SKIP_3) | instid1(VALU_DEP_1)
	s_or_b32 exec_lo, exec_lo, s17
	v_dual_mov_b32 v2, 0 :: v_dual_and_b32 v9, 15, v19
	s_mov_b32 s14, 0
	s_mov_b32 s15, exec_lo
                                        ; implicit-def: $vgpr21
                                        ; implicit-def: $vgpr8
	v_cndmask_b32_e64 v20, v25, v9, s13
	s_delay_alu instid0(VALU_DEP_1)
	v_cmpx_ne_u32_e32 0, v20
	s_cbranch_execz .LBB6_16206
; %bb.16205:                            ;   in Loop: Header=BB6_16107 Depth=3
	v_cmp_lt_i32_e32 vcc_lo, 0, v26
	v_sub_nc_u32_e32 v8, v25, v9
	s_mov_b32 s14, exec_lo
	v_cndmask_b32_e32 v2, 0, v129, vcc_lo
	s_delay_alu instid0(VALU_DEP_2) | instskip(NEXT) | instid1(VALU_DEP_2)
	v_cndmask_b32_e64 v8, 0, v8, s13
	v_sub_nc_u32_e32 v2, v2, v26
	s_delay_alu instid0(VALU_DEP_1) | instskip(NEXT) | instid1(VALU_DEP_1)
	v_lshl_add_u32 v21, v2, 5, v24
	v_ashrrev_i32_e32 v2, 31, v21
	s_delay_alu instid0(VALU_DEP_1) | instskip(NEXT) | instid1(VALU_DEP_1)
	v_lshrrev_b32_e32 v2, 27, v2
	v_add_nc_u32_e32 v9, v21, v2
	v_add3_u32 v2, v23, v22, v8
	s_delay_alu instid0(VALU_DEP_2)
	v_ashrrev_i32_e32 v8, 5, v9
.LBB6_16206:                            ;   in Loop: Header=BB6_16107 Depth=3
	s_or_b32 exec_lo, exec_lo, s15
	s_delay_alu instid0(SALU_CYCLE_1)
	s_and_b32 s13, s14, exec_lo
.LBB6_16207:                            ;   in Loop: Header=BB6_16107 Depth=3
	s_or_b32 exec_lo, exec_lo, s16
.LBB6_16208:                            ;   in Loop: Header=BB6_16107 Depth=3
	s_and_saveexec_b32 s15, s13
	s_cbranch_execz .LBB6_16222
; %bb.16209:                            ;   in Loop: Header=BB6_16107 Depth=3
	v_ashrrev_i32_e32 v9, 31, v20
	s_mov_b32 s14, exec_lo
	s_delay_alu instid0(VALU_DEP_1) | instskip(NEXT) | instid1(VALU_DEP_1)
	v_lshrrev_b32_e32 v9, 22, v9
	v_add_nc_u32_e32 v9, v20, v9
	s_delay_alu instid0(VALU_DEP_1) | instskip(NEXT) | instid1(VALU_DEP_1)
	v_ashrrev_i32_e32 v23, 10, v9
	v_sub_nc_u32_e32 v22, v23, v8
	s_delay_alu instid0(VALU_DEP_1)
	v_cmpx_lt_i32_e32 0, v22
	s_cbranch_execz .LBB6_16214
; %bb.16210:                            ;   in Loop: Header=BB6_16107 Depth=3
	s_cbranch_execnz .LBB6_17104
; %bb.16211:                            ;   in Loop: Header=BB6_16107 Depth=3
	v_ashrrev_i32_e32 v9, 31, v21
	v_lshlrev_b32_e32 v8, 10, v8
	s_mov_b32 s16, 0
	ds_load_b128 v[24:27], v0
	v_lshrrev_b32_e32 v9, 27, v9
	s_delay_alu instid0(VALU_DEP_1) | instskip(SKIP_2) | instid1(VALU_DEP_1)
	v_add_nc_u32_e32 v11, v21, v9
	ds_load_b64 v[9:10], v0
	v_and_b32_e32 v11, 0xffffffe0, v11
	v_sub_nc_u32_e32 v11, v21, v11
	s_delay_alu instid0(VALU_DEP_1) | instskip(NEXT) | instid1(VALU_DEP_1)
	v_add3_u32 v13, v2, v11, v8
	v_ashrrev_i32_e32 v14, 31, v13
	s_waitcnt lgkmcnt(0)
	v_add_co_u32 v32, vcc_lo, 0x3e0, v9
	v_add_co_ci_u32_e32 v33, vcc_lo, 0, v10, vcc_lo
	v_add_co_u32 v8, vcc_lo, v24, v13
	v_add_co_ci_u32_e32 v9, vcc_lo, v25, v14, vcc_lo
	;; [unrolled: 2-line block ×4, first 2 shown]
.LBB6_16212:                            ;   Parent Loop BB6_51 Depth=1
                                        ;     Parent Loop BB6_16105 Depth=2
                                        ;       Parent Loop BB6_16107 Depth=3
                                        ; =>      This Inner Loop Header: Depth=4
	s_delay_alu instid0(VALU_DEP_2) | instskip(NEXT) | instid1(VALU_DEP_2)
	v_add_co_u32 v24, vcc_lo, 0xfffffc20, v13
	v_add_co_ci_u32_e32 v25, vcc_lo, -1, v14, vcc_lo
	v_add_co_u32 v26, vcc_lo, 0xfffffc40, v13
	v_add_co_ci_u32_e32 v27, vcc_lo, -1, v14, vcc_lo
	;; [unrolled: 2-line block ×31, first 2 shown]
	flat_load_u8 v183, v[13:14] slc dlc
	flat_load_u8 v24, v[24:25] slc dlc
	;; [unrolled: 1-line block ×32, first 2 shown]
	v_sub_nc_u32_e32 v22, v22, v129
	v_add_co_u32 v13, vcc_lo, v13, v151
	v_add_co_ci_u32_e32 v14, vcc_lo, v14, v160, vcc_lo
	s_delay_alu instid0(VALU_DEP_3)
	v_cmp_gt_i32_e32 vcc_lo, 1, v22
	s_waitcnt vmcnt(30) lgkmcnt(30)
	flat_store_b8 v[8:9], v24 glc slc dlc
	s_waitcnt vmcnt(29) lgkmcnt(30)
	flat_store_b8 v[8:9], v25 offset:32 glc slc dlc
	s_waitcnt vmcnt(28) lgkmcnt(30)
	flat_store_b8 v[8:9], v26 offset:64 glc slc dlc
	s_waitcnt vmcnt(27) lgkmcnt(30)
	flat_store_b8 v[8:9], v27 offset:96 glc slc dlc
	s_waitcnt vmcnt(26) lgkmcnt(30)
	flat_store_b8 v[8:9], v32 offset:128 glc slc dlc
	s_waitcnt vmcnt(25) lgkmcnt(30)
	flat_store_b8 v[8:9], v33 offset:160 glc slc dlc
	s_waitcnt vmcnt(24) lgkmcnt(30)
	flat_store_b8 v[8:9], v34 offset:192 glc slc dlc
	s_waitcnt vmcnt(23) lgkmcnt(30)
	flat_store_b8 v[8:9], v35 offset:224 glc slc dlc
	s_waitcnt vmcnt(22) lgkmcnt(30)
	flat_store_b8 v[8:9], v36 offset:256 glc slc dlc
	s_waitcnt vmcnt(21) lgkmcnt(30)
	flat_store_b8 v[8:9], v37 offset:288 glc slc dlc
	s_waitcnt vmcnt(20) lgkmcnt(30)
	flat_store_b8 v[8:9], v38 offset:320 glc slc dlc
	s_waitcnt vmcnt(19) lgkmcnt(30)
	flat_store_b8 v[8:9], v39 offset:352 glc slc dlc
	s_waitcnt vmcnt(18) lgkmcnt(30)
	flat_store_b8 v[8:9], v48 offset:384 glc slc dlc
	s_waitcnt vmcnt(17) lgkmcnt(30)
	flat_store_b8 v[8:9], v49 offset:416 glc slc dlc
	s_waitcnt vmcnt(16) lgkmcnt(30)
	flat_store_b8 v[8:9], v50 offset:448 glc slc dlc
	s_waitcnt vmcnt(15) lgkmcnt(30)
	flat_store_b8 v[8:9], v51 offset:480 glc slc dlc
	s_waitcnt vmcnt(14) lgkmcnt(30)
	flat_store_b8 v[8:9], v100 offset:512 glc slc dlc
	s_waitcnt vmcnt(13) lgkmcnt(30)
	flat_store_b8 v[8:9], v101 offset:544 glc slc dlc
	s_waitcnt vmcnt(12) lgkmcnt(30)
	flat_store_b8 v[8:9], v102 offset:576 glc slc dlc
	s_waitcnt vmcnt(11) lgkmcnt(30)
	flat_store_b8 v[8:9], v103 offset:608 glc slc dlc
	s_waitcnt vmcnt(10) lgkmcnt(30)
	flat_store_b8 v[8:9], v112 offset:640 glc slc dlc
	s_waitcnt vmcnt(9) lgkmcnt(30)
	flat_store_b8 v[8:9], v113 offset:672 glc slc dlc
	s_waitcnt vmcnt(8) lgkmcnt(30)
	flat_store_b8 v[8:9], v114 offset:704 glc slc dlc
	s_waitcnt vmcnt(7) lgkmcnt(30)
	flat_store_b8 v[8:9], v115 offset:736 glc slc dlc
	s_waitcnt vmcnt(6) lgkmcnt(30)
	flat_store_b8 v[8:9], v116 offset:768 glc slc dlc
	s_waitcnt vmcnt(5) lgkmcnt(30)
	flat_store_b8 v[8:9], v117 offset:800 glc slc dlc
	s_waitcnt vmcnt(4) lgkmcnt(30)
	flat_store_b8 v[8:9], v179 offset:832 glc slc dlc
	s_waitcnt vmcnt(3) lgkmcnt(30)
	flat_store_b8 v[8:9], v180 offset:864 glc slc dlc
	s_waitcnt vmcnt(2) lgkmcnt(30)
	flat_store_b8 v[8:9], v181 offset:896 glc slc dlc
	s_waitcnt vmcnt(1) lgkmcnt(30)
	flat_store_b8 v[8:9], v182 offset:928 glc slc dlc
	s_waitcnt vmcnt(0) lgkmcnt(30)
	s_clause 0x1
	flat_store_b8 v[8:9], v40 offset:960 glc slc dlc
	flat_store_b8 v[8:9], v183 offset:992 glc slc dlc
	s_clause 0x1f
	flat_store_b8 v[10:11], v24 glc slc dlc
	flat_store_b8 v[10:11], v25 offset:32 glc slc dlc
	flat_store_b8 v[10:11], v26 offset:64 glc slc dlc
	flat_store_b8 v[10:11], v27 offset:96 glc slc dlc
	flat_store_b8 v[10:11], v32 offset:128 glc slc dlc
	flat_store_b8 v[10:11], v33 offset:160 glc slc dlc
	flat_store_b8 v[10:11], v34 offset:192 glc slc dlc
	flat_store_b8 v[10:11], v35 offset:224 glc slc dlc
	flat_store_b8 v[10:11], v36 offset:256 glc slc dlc
	flat_store_b8 v[10:11], v37 offset:288 glc slc dlc
	flat_store_b8 v[10:11], v38 offset:320 glc slc dlc
	flat_store_b8 v[10:11], v39 offset:352 glc slc dlc
	flat_store_b8 v[10:11], v48 offset:384 glc slc dlc
	flat_store_b8 v[10:11], v49 offset:416 glc slc dlc
	flat_store_b8 v[10:11], v50 offset:448 glc slc dlc
	flat_store_b8 v[10:11], v51 offset:480 glc slc dlc
	flat_store_b8 v[10:11], v100 offset:512 glc slc dlc
	flat_store_b8 v[10:11], v101 offset:544 glc slc dlc
	flat_store_b8 v[10:11], v102 offset:576 glc slc dlc
	flat_store_b8 v[10:11], v103 offset:608 glc slc dlc
	flat_store_b8 v[10:11], v112 offset:640 glc slc dlc
	flat_store_b8 v[10:11], v113 offset:672 glc slc dlc
	flat_store_b8 v[10:11], v114 offset:704 glc slc dlc
	flat_store_b8 v[10:11], v115 offset:736 glc slc dlc
	flat_store_b8 v[10:11], v116 offset:768 glc slc dlc
	flat_store_b8 v[10:11], v117 offset:800 glc slc dlc
	flat_store_b8 v[10:11], v179 offset:832 glc slc dlc
	flat_store_b8 v[10:11], v180 offset:864 glc slc dlc
	flat_store_b8 v[10:11], v181 offset:896 glc slc dlc
	flat_store_b8 v[10:11], v182 offset:928 glc slc dlc
	flat_store_b8 v[10:11], v40 offset:960 glc slc dlc
	flat_store_b8 v[10:11], v183 offset:992 glc slc dlc
	v_add_co_u32 v8, s13, v8, v151
	s_delay_alu instid0(VALU_DEP_1) | instskip(SKIP_1) | instid1(VALU_DEP_1)
	v_add_co_ci_u32_e64 v9, s13, v9, v160, s13
	v_add_co_u32 v10, s13, v10, v151
	v_add_co_ci_u32_e64 v11, s13, v11, v160, s13
	s_or_b32 s16, vcc_lo, s16
	s_delay_alu instid0(SALU_CYCLE_1)
	s_and_not1_b32 exec_lo, exec_lo, s16
	s_cbranch_execnz .LBB6_16212
; %bb.16213:                            ;   in Loop: Header=BB6_16107 Depth=3
	s_or_b32 exec_lo, exec_lo, s16
.LBB6_16214:                            ;   in Loop: Header=BB6_16107 Depth=3
	s_delay_alu instid0(SALU_CYCLE_1) | instskip(SKIP_2) | instid1(VALU_DEP_1)
	s_or_b32 exec_lo, exec_lo, s14
	v_lshlrev_b32_e32 v8, 10, v23
	s_mov_b32 s42, exec_lo
	v_cmpx_ne_u32_e64 v20, v8
	s_cbranch_execz .LBB6_16221
; %bb.16215:                            ;   in Loop: Header=BB6_16107 Depth=3
	v_ashrrev_i32_e32 v9, 31, v21
	v_lshlrev_b32_e32 v10, 5, v22
	s_delay_alu instid0(VALU_DEP_2) | instskip(NEXT) | instid1(VALU_DEP_1)
	v_lshrrev_b32_e32 v9, 27, v9
	v_add_nc_u32_e32 v9, v21, v9
	s_delay_alu instid0(VALU_DEP_1) | instskip(NEXT) | instid1(VALU_DEP_1)
	v_and_b32_e32 v9, 0xffffffe0, v9
	v_sub_nc_u32_e32 v9, v21, v9
	s_delay_alu instid0(VALU_DEP_1) | instskip(NEXT) | instid1(VALU_DEP_1)
	v_sub_nc_u32_e32 v9, v9, v10
	v_add_nc_u32_e32 v8, v8, v9
	s_delay_alu instid0(VALU_DEP_1) | instskip(NEXT) | instid1(VALU_DEP_1)
	v_sub_nc_u32_e32 v10, v20, v8
	v_cmp_lt_i32_e32 vcc_lo, 0, v10
	s_and_b32 exec_lo, exec_lo, vcc_lo
	s_cbranch_execz .LBB6_16221
; %bb.16216:                            ;   in Loop: Header=BB6_16107 Depth=3
	s_cbranch_execnz .LBB6_17140
; %bb.16217:                            ;   in Loop: Header=BB6_16107 Depth=3
	ds_load_b64 v[13:14], v0
	ds_load_b128 v[20:23], v0
	v_add_nc_u32_e32 v24, v8, v2
	s_mov_b32 s43, 0
	s_delay_alu instid0(VALU_DEP_1) | instskip(SKIP_2) | instid1(VALU_DEP_2)
	v_ashrrev_i32_e32 v25, 31, v24
	s_waitcnt lgkmcnt(1)
	v_add_co_u32 v8, vcc_lo, v13, v24
	v_add_co_ci_u32_e32 v9, vcc_lo, v14, v25, vcc_lo
	s_waitcnt lgkmcnt(0)
	v_add_co_u32 v2, vcc_lo, v20, v24
	v_add_co_ci_u32_e32 v11, vcc_lo, v21, v25, vcc_lo
	v_add_co_u32 v13, vcc_lo, v22, v24
	v_add_co_ci_u32_e32 v14, vcc_lo, v23, v25, vcc_lo
	s_set_inst_prefetch_distance 0x1
.LBB6_16218:                            ;   Parent Loop BB6_51 Depth=1
                                        ;     Parent Loop BB6_16105 Depth=2
                                        ;       Parent Loop BB6_16107 Depth=3
                                        ; =>      This Loop Header: Depth=4
                                        ;           Child Loop BB6_16219 Depth 5
	flat_load_u8 v20, v[8:9] slc dlc
	s_mov_b64 s[16:17], 0
	s_mov_b32 s44, -1
.LBB6_16219:                            ;   Parent Loop BB6_51 Depth=1
                                        ;     Parent Loop BB6_16105 Depth=2
                                        ;       Parent Loop BB6_16107 Depth=3
                                        ;         Parent Loop BB6_16218 Depth=4
                                        ; =>        This Inner Loop Header: Depth=5
	s_cmp_eq_u32 s16, 1
	s_cselect_b32 vcc_lo, -1, 0
	s_cmp_eq_u32 s16, 0
	v_dual_cndmask_b32 v22, v11, v14 :: v_dual_cndmask_b32 v21, v2, v13
	s_mov_b64 s[16:17], 1
	s_delay_alu instid0(VALU_DEP_1) | instskip(NEXT) | instid1(VALU_DEP_1)
	v_add_co_u32 v23, s13, v21, 32
	v_add_co_ci_u32_e64 v24, s13, 0, v22, s13
	s_cselect_b32 s13, -1, 0
	s_and_b32 s14, exec_lo, s44
	s_delay_alu instid0(VALU_DEP_1)
	v_dual_cndmask_b32 v13, v13, v23 :: v_dual_cndmask_b32 v14, v14, v24
	v_cndmask_b32_e64 v11, v11, v24, s13
	v_cndmask_b32_e64 v2, v2, v23, s13
	s_mov_b32 s44, 0
	s_mov_b32 vcc_lo, s14
	s_waitcnt vmcnt(0) lgkmcnt(0)
	flat_store_b8 v[21:22], v20 glc slc dlc
	s_cbranch_vccnz .LBB6_16219
; %bb.16220:                            ;   in Loop: Header=BB6_16218 Depth=4
	v_add_co_u32 v2, vcc_lo, v2, v150
	v_sub_nc_u32_e32 v10, v10, v147
	v_add_co_ci_u32_e32 v11, vcc_lo, v11, v161, vcc_lo
	v_add_co_u32 v13, vcc_lo, v13, v150
	v_add_co_ci_u32_e32 v14, vcc_lo, v14, v161, vcc_lo
	s_delay_alu instid0(VALU_DEP_4) | instskip(SKIP_1) | instid1(VALU_DEP_1)
	v_cmp_gt_i32_e32 vcc_lo, 1, v10
	v_add_co_u32 v8, s13, v162, v8
	v_add_co_ci_u32_e64 v9, s13, v163, v9, s13
	s_or_b32 s43, vcc_lo, s43
	s_delay_alu instid0(SALU_CYCLE_1)
	s_and_not1_b32 exec_lo, exec_lo, s43
	s_cbranch_execnz .LBB6_16218
.LBB6_16221:                            ;   in Loop: Header=BB6_16107 Depth=3
	s_set_inst_prefetch_distance 0x2
	s_or_b32 exec_lo, exec_lo, s42
.LBB6_16222:                            ;   in Loop: Header=BB6_16107 Depth=3
	s_delay_alu instid0(SALU_CYCLE_1)
	s_or_b32 exec_lo, exec_lo, s15
	s_mov_b32 s13, 0
	s_branch .LBB6_16224
.LBB6_16223:                            ;   in Loop: Header=BB6_16107 Depth=3
	s_mov_b32 s13, -1
.LBB6_16224:                            ;   in Loop: Header=BB6_16107 Depth=3
	s_delay_alu instid0(SALU_CYCLE_1)
	s_and_b32 vcc_lo, exec_lo, s13
	s_cbranch_vccz .LBB6_16258
; %bb.16225:                            ;   in Loop: Header=BB6_16107 Depth=3
	s_mov_b32 s13, -1
	s_and_saveexec_b32 s14, s6
	s_cbranch_execz .LBB6_16227
; %bb.16226:                            ;   in Loop: Header=BB6_16107 Depth=3
	ds_load_b32 v2, v0 offset:720
	s_waitcnt lgkmcnt(0)
	v_and_b32_e32 v2, 15, v2
	s_delay_alu instid0(VALU_DEP_1)
	v_cmp_eq_u32_e32 vcc_lo, 0, v2
	s_or_not1_b32 s13, vcc_lo, exec_lo
.LBB6_16227:                            ;   in Loop: Header=BB6_16107 Depth=3
	s_or_b32 exec_lo, exec_lo, s14
	s_and_saveexec_b32 s14, s5
	s_cbranch_execz .LBB6_16229
; %bb.16228:                            ;   in Loop: Header=BB6_16107 Depth=3
	ds_load_b32 v2, v0 offset:784
	s_waitcnt lgkmcnt(0)
	v_and_b32_e32 v2, 15, v2
	s_delay_alu instid0(VALU_DEP_1) | instskip(SKIP_3) | instid1(SALU_CYCLE_1)
	v_cmp_eq_u32_e32 vcc_lo, 0, v2
	s_and_b32 s15, s13, vcc_lo
	s_and_not1_b32 s13, s13, exec_lo
	s_and_b32 s15, s15, exec_lo
	s_or_b32 s13, s13, s15
.LBB6_16229:                            ;   in Loop: Header=BB6_16107 Depth=3
	s_or_b32 exec_lo, exec_lo, s14
	s_xor_b32 s13, s13, -1
	v_mov_b32_e32 v14, v0
	v_cndmask_b32_e64 v2, 0, 1, s13
	;;#ASMSTART
	;;#ASMEND
	s_delay_alu instid0(VALU_DEP_1)
	v_cmp_ne_u32_e32 vcc_lo, 0, v2
	v_dual_mov_b32 v2, 0 :: v_dual_mov_b32 v13, v19
	v_mov_b32_e32 v22, v130
	s_mov_b32 s13, -1
	s_cbranch_vccnz .LBB6_16245
; %bb.16230:                            ;   in Loop: Header=BB6_16107 Depth=3
	v_ashrrev_i32_e32 v2, 31, v19
	s_mov_b32 s13, exec_lo
	s_delay_alu instid0(VALU_DEP_1) | instskip(NEXT) | instid1(VALU_DEP_1)
	v_lshrrev_b32_e32 v2, 20, v2
	v_add_nc_u32_e32 v2, v19, v2
	s_delay_alu instid0(VALU_DEP_1) | instskip(NEXT) | instid1(VALU_DEP_1)
	v_ashrrev_i32_e32 v2, 12, v2
	v_sub_nc_u32_e32 v20, v2, v130
	s_delay_alu instid0(VALU_DEP_1)
	v_cmpx_lt_i32_e32 0, v20
	s_cbranch_execz .LBB6_16235
; %bb.16231:                            ;   in Loop: Header=BB6_16107 Depth=3
	s_cbranch_execnz .LBB6_17124
; %bb.16232:                            ;   in Loop: Header=BB6_16107 Depth=3
	ds_load_b64 v[8:9], v0
	s_mov_b32 s14, 0
	s_waitcnt lgkmcnt(0)
	v_dual_mov_b32 v11, v9 :: v_dual_mov_b32 v10, v8
.LBB6_16233:                            ;   Parent Loop BB6_51 Depth=1
                                        ;     Parent Loop BB6_16105 Depth=2
                                        ;       Parent Loop BB6_16107 Depth=3
                                        ; =>      This Inner Loop Header: Depth=4
	s_delay_alu instid0(VALU_DEP_1) | instskip(NEXT) | instid1(VALU_DEP_2)
	v_add_co_u32 v13, vcc_lo, v133, v10
	v_add_co_ci_u32_e32 v14, vcc_lo, v135, v11, vcc_lo
	v_sub_nc_u32_e32 v20, v20, v129
	s_clause 0x7
	global_load_b128 v[21:24], v[13:14], off slc dlc
	global_load_b128 v[32:35], v[13:14], off offset:512 slc dlc
	global_load_b128 v[36:39], v[13:14], off offset:1024 slc dlc
	;; [unrolled: 1-line block ×7, first 2 shown]
	v_add_co_u32 v13, vcc_lo, v133, v8
	v_add_co_ci_u32_e32 v14, vcc_lo, v135, v9, vcc_lo
	v_add_co_u32 v10, vcc_lo, v10, v144
	v_add_co_ci_u32_e32 v11, vcc_lo, v11, v145, vcc_lo
	;; [unrolled: 2-line block ×3, first 2 shown]
	v_cmp_gt_i32_e32 vcc_lo, 1, v20
	s_waitcnt vmcnt(7)
	global_store_b128 v[13:14], v[21:24], off glc slc dlc
	s_waitcnt vmcnt(6)
	global_store_b128 v[13:14], v[32:35], off offset:512 glc slc dlc
	s_waitcnt vmcnt(5)
	global_store_b128 v[13:14], v[36:39], off offset:1024 glc slc dlc
	;; [unrolled: 2-line block ×7, first 2 shown]
	s_or_b32 s14, vcc_lo, s14
	s_delay_alu instid0(SALU_CYCLE_1)
	s_and_not1_b32 exec_lo, exec_lo, s14
	s_cbranch_execnz .LBB6_16233
; %bb.16234:                            ;   in Loop: Header=BB6_16107 Depth=3
	s_or_b32 exec_lo, exec_lo, s14
.LBB6_16235:                            ;   in Loop: Header=BB6_16107 Depth=3
	s_delay_alu instid0(SALU_CYCLE_1) | instskip(SKIP_4) | instid1(VALU_DEP_2)
	s_or_b32 exec_lo, exec_lo, s13
	v_lshlrev_b32_e32 v10, 12, v2
	v_mov_b32_e32 v2, 0
	s_mov_b32 s13, 0
	s_mov_b32 s15, exec_lo
                                        ; implicit-def: $vgpr13
                                        ; implicit-def: $vgpr14
                                        ; implicit-def: $vgpr22
	v_cmpx_ne_u32_e64 v19, v10
	s_cbranch_execz .LBB6_16244
; %bb.16236:                            ;   in Loop: Header=BB6_16107 Depth=3
	v_lshlrev_b32_e32 v2, 5, v20
	v_sub_nc_u32_e32 v9, v19, v10
	s_mov_b32 s16, exec_lo
	s_delay_alu instid0(VALU_DEP_2) | instskip(NEXT) | instid1(VALU_DEP_2)
	v_sub_nc_u32_e32 v2, v131, v2
	v_ashrrev_i32_e32 v11, 31, v9
	s_delay_alu instid0(VALU_DEP_2) | instskip(NEXT) | instid1(VALU_DEP_2)
	v_ashrrev_i32_e32 v8, 31, v2
	v_lshrrev_b32_e32 v11, 23, v11
	s_delay_alu instid0(VALU_DEP_2) | instskip(NEXT) | instid1(VALU_DEP_2)
	v_lshrrev_b32_e32 v8, 27, v8
	v_add_nc_u32_e32 v14, v9, v11
	s_delay_alu instid0(VALU_DEP_2) | instskip(NEXT) | instid1(VALU_DEP_2)
	v_add_nc_u32_e32 v8, v2, v8
	v_and_b32_e32 v11, 0xfffffe00, v14
	v_ashrrev_i32_e32 v14, 9, v14
	s_delay_alu instid0(VALU_DEP_3) | instskip(NEXT) | instid1(VALU_DEP_3)
	v_and_b32_e32 v13, 0xffffffe0, v8
	v_sub_nc_u32_e32 v21, v9, v11
	v_ashrrev_i32_e32 v8, 5, v8
	s_delay_alu instid0(VALU_DEP_3) | instskip(NEXT) | instid1(VALU_DEP_3)
	v_sub_nc_u32_e32 v20, v2, v13
	v_cmp_lt_i32_e32 vcc_lo, 15, v21
	s_delay_alu instid0(VALU_DEP_2) | instskip(SKIP_1) | instid1(VALU_DEP_2)
	v_lshlrev_b32_e32 v2, 4, v20
	v_add_co_ci_u32_e64 v14, s13, 0, v14, vcc_lo
	v_lshl_add_u32 v13, v8, 9, v2
	s_delay_alu instid0(VALU_DEP_2) | instskip(NEXT) | instid1(VALU_DEP_2)
	v_sub_nc_u32_e32 v23, v14, v8
	v_sub_nc_u32_e32 v2, v9, v13
	s_delay_alu instid0(VALU_DEP_1)
	v_cmpx_lt_i32_e32 15, v2
	s_cbranch_execz .LBB6_16241
; %bb.16237:                            ;   in Loop: Header=BB6_16107 Depth=3
	s_cbranch_execnz .LBB6_17154
; %bb.16238:                            ;   in Loop: Header=BB6_16107 Depth=3
	ds_load_b64 v[8:9], v0
	v_add_nc_u32_e32 v13, v13, v10
	s_mov_b32 s17, 0
	s_delay_alu instid0(VALU_DEP_1)
	v_ashrrev_i32_e32 v14, 31, v13
.LBB6_16239:                            ;   Parent Loop BB6_51 Depth=1
                                        ;     Parent Loop BB6_16105 Depth=2
                                        ;       Parent Loop BB6_16107 Depth=3
                                        ; =>      This Inner Loop Header: Depth=4
	s_waitcnt lgkmcnt(0)
	v_add_co_u32 v32, s13, v8, v13
	s_delay_alu instid0(VALU_DEP_1)
	v_add_co_ci_u32_e64 v33, s13, v9, v14, s13
	v_sub_nc_u32_e32 v2, v2, v132
	v_add_co_u32 v13, s14, v13, v148
	global_load_b128 v[24:27], v[32:33], off slc dlc
	v_sub_nc_u32_e32 v23, v23, v129
	v_cmp_gt_i32_e64 s13, 16, v2
	v_add_co_ci_u32_e64 v14, s14, v14, v149, s14
	s_delay_alu instid0(VALU_DEP_2)
	s_or_b32 s17, s13, s17
	s_waitcnt vmcnt(0)
	global_store_b128 v[32:33], v[24:27], off glc slc dlc
	s_and_not1_b32 exec_lo, exec_lo, s17
	s_cbranch_execnz .LBB6_16239
; %bb.16240:                            ;   in Loop: Header=BB6_16107 Depth=3
	s_or_b32 exec_lo, exec_lo, s17
.LBB6_16241:                            ;   in Loop: Header=BB6_16107 Depth=3
	s_delay_alu instid0(SALU_CYCLE_1) | instskip(SKIP_3) | instid1(VALU_DEP_1)
	s_or_b32 exec_lo, exec_lo, s16
	v_and_b32_e32 v8, 15, v19
	s_mov_b32 s14, 0
	s_mov_b32 s16, exec_lo
                                        ; implicit-def: $vgpr14
                                        ; implicit-def: $vgpr22
	v_dual_mov_b32 v2, 0 :: v_dual_cndmask_b32 v13, v21, v8
	s_delay_alu instid0(VALU_DEP_1)
	v_cmpx_ne_u32_e32 0, v13
; %bb.16242:                            ;   in Loop: Header=BB6_16107 Depth=3
	v_cmp_lt_i32_e64 s13, 0, v23
	v_sub_nc_u32_e32 v8, v21, v8
	s_mov_b32 s14, exec_lo
	s_delay_alu instid0(VALU_DEP_2) | instskip(NEXT) | instid1(VALU_DEP_1)
	v_cndmask_b32_e64 v2, 0, v129, s13
	v_sub_nc_u32_e32 v2, v2, v23
	s_delay_alu instid0(VALU_DEP_1) | instskip(NEXT) | instid1(VALU_DEP_1)
	v_lshl_add_u32 v14, v2, 5, v20
	v_ashrrev_i32_e32 v2, 31, v14
	s_delay_alu instid0(VALU_DEP_1) | instskip(NEXT) | instid1(VALU_DEP_1)
	v_lshrrev_b32_e32 v2, 27, v2
	v_dual_cndmask_b32 v8, 0, v8 :: v_dual_add_nc_u32 v9, v14, v2
	s_delay_alu instid0(VALU_DEP_1) | instskip(NEXT) | instid1(VALU_DEP_2)
	v_add3_u32 v2, v11, v10, v8
	v_ashrrev_i32_e32 v22, 5, v9
; %bb.16243:                            ;   in Loop: Header=BB6_16107 Depth=3
	s_or_b32 exec_lo, exec_lo, s16
	s_delay_alu instid0(SALU_CYCLE_1)
	s_and_b32 s13, s14, exec_lo
.LBB6_16244:                            ;   in Loop: Header=BB6_16107 Depth=3
	s_or_b32 exec_lo, exec_lo, s15
.LBB6_16245:                            ;   in Loop: Header=BB6_16107 Depth=3
	s_and_saveexec_b32 s14, s13
	s_cbranch_execz .LBB6_16257
; %bb.16246:                            ;   in Loop: Header=BB6_16107 Depth=3
	v_ashrrev_i32_e32 v8, 31, v13
	s_mov_b32 s13, exec_lo
	s_delay_alu instid0(VALU_DEP_1) | instskip(NEXT) | instid1(VALU_DEP_1)
	v_lshrrev_b32_e32 v8, 22, v8
	v_add_nc_u32_e32 v8, v13, v8
	s_delay_alu instid0(VALU_DEP_1) | instskip(NEXT) | instid1(VALU_DEP_1)
	v_ashrrev_i32_e32 v21, 10, v8
	v_sub_nc_u32_e32 v20, v21, v22
	s_delay_alu instid0(VALU_DEP_1)
	v_cmpx_lt_i32_e32 0, v20
	s_cbranch_execz .LBB6_16251
; %bb.16247:                            ;   in Loop: Header=BB6_16107 Depth=3
	s_cbranch_execnz .LBB6_17112
; %bb.16248:                            ;   in Loop: Header=BB6_16107 Depth=3
	v_ashrrev_i32_e32 v8, 31, v14
	s_mov_b32 s15, 0
	s_delay_alu instid0(VALU_DEP_1) | instskip(NEXT) | instid1(VALU_DEP_1)
	v_lshrrev_b32_e32 v8, 27, v8
	v_add_nc_u32_e32 v10, v14, v8
	ds_load_b64 v[8:9], v0
	v_lshlrev_b32_e32 v11, 10, v22
	v_and_b32_e32 v10, 0xffffffe0, v10
	s_delay_alu instid0(VALU_DEP_1) | instskip(NEXT) | instid1(VALU_DEP_1)
	v_sub_nc_u32_e32 v10, v14, v10
	v_add3_u32 v22, v2, v10, v11
	s_delay_alu instid0(VALU_DEP_1)
	v_ashrrev_i32_e32 v23, 31, v22
	s_waitcnt lgkmcnt(0)
	v_dual_mov_b32 v11, v9 :: v_dual_mov_b32 v10, v8
.LBB6_16249:                            ;   Parent Loop BB6_51 Depth=1
                                        ;     Parent Loop BB6_16105 Depth=2
                                        ;       Parent Loop BB6_16107 Depth=3
                                        ; =>      This Inner Loop Header: Depth=4
	s_delay_alu instid0(VALU_DEP_1) | instskip(NEXT) | instid1(VALU_DEP_2)
	v_add_co_u32 v24, vcc_lo, v22, v10
	v_add_co_ci_u32_e32 v25, vcc_lo, v23, v11, vcc_lo
	v_sub_nc_u32_e32 v20, v20, v129
	s_clause 0x1f
	flat_load_u8 v26, v[24:25] slc dlc
	flat_load_u8 v27, v[24:25] offset:32 slc dlc
	flat_load_u8 v32, v[24:25] offset:64 slc dlc
	;; [unrolled: 1-line block ×31, first 2 shown]
	v_add_co_u32 v24, vcc_lo, v22, v8
	v_add_co_ci_u32_e32 v25, vcc_lo, v23, v9, vcc_lo
	v_add_co_u32 v10, vcc_lo, v10, v151
	v_add_co_ci_u32_e32 v11, vcc_lo, v11, v160, vcc_lo
	;; [unrolled: 2-line block ×3, first 2 shown]
	v_cmp_gt_i32_e32 vcc_lo, 1, v20
	s_waitcnt vmcnt(31) lgkmcnt(31)
	flat_store_b8 v[24:25], v26 glc slc dlc
	s_waitcnt vmcnt(30) lgkmcnt(31)
	flat_store_b8 v[24:25], v27 offset:32 glc slc dlc
	s_waitcnt vmcnt(29) lgkmcnt(31)
	flat_store_b8 v[24:25], v32 offset:64 glc slc dlc
	;; [unrolled: 2-line block ×31, first 2 shown]
	s_or_b32 s15, vcc_lo, s15
	s_delay_alu instid0(SALU_CYCLE_1)
	s_and_not1_b32 exec_lo, exec_lo, s15
	s_cbranch_execnz .LBB6_16249
; %bb.16250:                            ;   in Loop: Header=BB6_16107 Depth=3
	s_or_b32 exec_lo, exec_lo, s15
.LBB6_16251:                            ;   in Loop: Header=BB6_16107 Depth=3
	s_delay_alu instid0(SALU_CYCLE_1) | instskip(SKIP_2) | instid1(VALU_DEP_1)
	s_or_b32 exec_lo, exec_lo, s13
	v_lshlrev_b32_e32 v8, 10, v21
	s_mov_b32 s15, exec_lo
	v_cmpx_ne_u32_e64 v13, v8
	s_cbranch_execz .LBB6_16256
; %bb.16252:                            ;   in Loop: Header=BB6_16107 Depth=3
	v_ashrrev_i32_e32 v9, 31, v14
	v_lshlrev_b32_e32 v10, 5, v20
	s_delay_alu instid0(VALU_DEP_2) | instskip(NEXT) | instid1(VALU_DEP_1)
	v_lshrrev_b32_e32 v9, 27, v9
	v_add_nc_u32_e32 v9, v14, v9
	s_delay_alu instid0(VALU_DEP_1) | instskip(NEXT) | instid1(VALU_DEP_1)
	v_and_b32_e32 v9, 0xffffffe0, v9
	v_sub_nc_u32_e32 v9, v14, v9
	s_delay_alu instid0(VALU_DEP_1) | instskip(NEXT) | instid1(VALU_DEP_1)
	v_sub_nc_u32_e32 v9, v9, v10
	v_add_nc_u32_e32 v11, v8, v9
	s_delay_alu instid0(VALU_DEP_1) | instskip(NEXT) | instid1(VALU_DEP_1)
	v_sub_nc_u32_e32 v10, v13, v11
	v_cmp_lt_i32_e32 vcc_lo, 0, v10
	s_and_b32 exec_lo, exec_lo, vcc_lo
	s_cbranch_execz .LBB6_16256
; %bb.16253:                            ;   in Loop: Header=BB6_16107 Depth=3
	s_cbranch_execnz .LBB6_17150
; %bb.16254:                            ;   in Loop: Header=BB6_16107 Depth=3
	ds_load_b64 v[8:9], v0
	v_add_nc_u32_e32 v2, v11, v2
	s_mov_b32 s16, 0
	s_delay_alu instid0(VALU_DEP_1)
	v_ashrrev_i32_e32 v11, 31, v2
.LBB6_16255:                            ;   Parent Loop BB6_51 Depth=1
                                        ;     Parent Loop BB6_16105 Depth=2
                                        ;       Parent Loop BB6_16107 Depth=3
                                        ; =>      This Inner Loop Header: Depth=4
	s_waitcnt lgkmcnt(0)
	v_add_co_u32 v13, vcc_lo, v8, v2
	s_delay_alu instid0(VALU_DEP_2)
	v_add_co_ci_u32_e32 v14, vcc_lo, v9, v11, vcc_lo
	v_sub_nc_u32_e32 v10, v10, v147
	v_add_co_u32 v2, s13, v2, v162
	flat_load_u8 v20, v[13:14] slc dlc
	v_add_co_ci_u32_e64 v11, s13, v11, v163, s13
	v_cmp_gt_i32_e32 vcc_lo, 1, v10
	s_or_b32 s16, vcc_lo, s16
	s_waitcnt vmcnt(0) lgkmcnt(0)
	flat_store_b8 v[13:14], v20 glc slc dlc
	s_and_not1_b32 exec_lo, exec_lo, s16
	s_cbranch_execnz .LBB6_16255
.LBB6_16256:                            ;   in Loop: Header=BB6_16107 Depth=3
	s_or_b32 exec_lo, exec_lo, s15
.LBB6_16257:                            ;   in Loop: Header=BB6_16107 Depth=3
	s_delay_alu instid0(SALU_CYCLE_1)
	s_or_b32 exec_lo, exec_lo, s14
.LBB6_16258:                            ;   in Loop: Header=BB6_16107 Depth=3
	s_and_saveexec_b32 s13, s3
	s_cbranch_execz .LBB6_16280
; %bb.16259:                            ;   in Loop: Header=BB6_16107 Depth=3
	s_and_saveexec_b32 s14, s4
	s_delay_alu instid0(SALU_CYCLE_1)
	s_xor_b32 s14, exec_lo, s14
	s_cbranch_execz .LBB6_16277
; %bb.16260:                            ;   in Loop: Header=BB6_16107 Depth=3
	s_and_saveexec_b32 s15, s1
	s_cbranch_execz .LBB6_16276
; %bb.16261:                            ;   in Loop: Header=BB6_16107 Depth=3
	s_mov_b32 s17, exec_lo
	s_mov_b32 s16, exec_lo
	v_mbcnt_lo_u32_b32 v2, s17, 0
	s_waitcnt lgkmcnt(0)
	s_waitcnt_vscnt null, 0x0
	buffer_gl1_inv
	buffer_gl0_inv
	v_cmpx_eq_u32_e32 0, v2
	s_cbranch_execz .LBB6_16263
; %bb.16262:                            ;   in Loop: Header=BB6_16107 Depth=3
	s_bcnt1_i32_b32 s17, s17
	s_delay_alu instid0(SALU_CYCLE_1)
	v_mov_b32_e32 v2, s17
	ds_add_u64 v0, v[2:3]
	s_cbranch_execnz .LBB6_17098
.LBB6_16263:                            ;   in Loop: Header=BB6_16107 Depth=3
	s_or_b32 exec_lo, exec_lo, s16
	s_cbranch_execnz .LBB6_17076
; %bb.16264:                            ;   in Loop: Header=BB6_16107 Depth=3
	ds_load_b64 v[8:9], v0
	v_add_co_u32 v80, vcc_lo, v80, v129
	v_add_co_ci_u32_e32 v81, vcc_lo, 0, v81, vcc_lo
	s_mov_b32 s16, exec_lo
	s_waitcnt lgkmcnt(0)
	s_delay_alu instid0(VALU_DEP_1)
	v_cmpx_lt_u64_e64 v[8:9], v[80:81]
	s_cbranch_execz .LBB6_16275
; %bb.16265:                            ;   in Loop: Header=BB6_16107 Depth=3
	s_mov_b32 s17, 0
	s_mov_b32 s44, 0
                                        ; implicit-def: $sgpr42
                                        ; implicit-def: $sgpr43
	s_branch .LBB6_16267
.LBB6_16266:                            ;   in Loop: Header=BB6_16267 Depth=4
	s_or_b32 exec_lo, exec_lo, s46
	s_delay_alu instid0(SALU_CYCLE_1) | instskip(NEXT) | instid1(SALU_CYCLE_1)
	s_and_b32 vcc_lo, exec_lo, vcc_lo
	s_or_b32 s17, vcc_lo, s17
	s_and_not1_b32 vcc_lo, s42, exec_lo
	s_and_b32 s42, s43, exec_lo
	s_delay_alu instid0(SALU_CYCLE_1)
	s_or_b32 s42, vcc_lo, s42
	s_and_not1_b32 exec_lo, exec_lo, s17
	s_cbranch_execz .LBB6_16273
.LBB6_16267:                            ;   Parent Loop BB6_51 Depth=1
                                        ;     Parent Loop BB6_16105 Depth=2
                                        ;       Parent Loop BB6_16107 Depth=3
                                        ; =>      This Inner Loop Header: Depth=4
	s_add_i32 s44, s44, 1
                                        ; implicit-def: $sgpr46
	s_delay_alu instid0(SALU_CYCLE_1) | instskip(SKIP_1) | instid1(SALU_CYCLE_1)
	s_cmpk_lg_i32 s44, 0x2710
	s_cselect_b32 s45, -1, 0
	s_and_b32 vcc_lo, exec_lo, s45
	s_cbranch_vccnz .LBB6_16270
; %bb.16268:                            ;   in Loop: Header=BB6_16267 Depth=4
	s_cbranch_execnz .LBB6_17138
; %bb.16269:                            ;   in Loop: Header=BB6_16267 Depth=4
	ds_load_b64 v[8:9], v0
	s_and_not1_b32 s45, s45, exec_lo
	s_mov_b32 s44, 0
	s_mov_b32 s46, -1
	s_waitcnt lgkmcnt(0)
	flat_load_b32 v2, v[8:9] glc
	s_waitcnt vmcnt(0) lgkmcnt(0)
	buffer_gl1_inv
	buffer_gl0_inv
	v_cmp_eq_u32_e32 vcc_lo, 0, v2
	s_and_b32 vcc_lo, vcc_lo, exec_lo
	s_delay_alu instid0(SALU_CYCLE_1)
	s_or_b32 s45, s45, vcc_lo
.LBB6_16270:                            ;   in Loop: Header=BB6_16267 Depth=4
	s_and_not1_b32 s43, s43, exec_lo
	s_and_b32 s46, s46, exec_lo
	s_mov_b32 vcc_lo, -1
	s_or_b32 s43, s43, s46
	s_and_saveexec_b32 s46, s45
	s_cbranch_execz .LBB6_16266
; %bb.16271:                            ;   in Loop: Header=BB6_16267 Depth=4
	s_sleep 1
	s_cbranch_execnz .LBB6_17130
; %bb.16272:                            ;   in Loop: Header=BB6_16267 Depth=4
	ds_load_b64 v[8:9], v0
	s_and_not1_b32 s43, s43, exec_lo
	s_waitcnt lgkmcnt(0)
	v_cmp_ge_u64_e32 vcc_lo, v[8:9], v[80:81]
	s_or_not1_b32 vcc_lo, vcc_lo, exec_lo
	s_branch .LBB6_16266
.LBB6_16273:                            ;   in Loop: Header=BB6_16107 Depth=3
	s_or_b32 exec_lo, exec_lo, s17
	s_and_saveexec_b32 s17, s42
	s_delay_alu instid0(SALU_CYCLE_1)
	s_xor_b32 s17, exec_lo, s17
	s_cbranch_execz .LBB6_16275
; %bb.16274:                            ;   in Loop: Header=BB6_16107 Depth=3
	ds_store_b32 v0, v176
	s_cbranch_execnz .LBB6_17184
.LBB6_16275:                            ;   in Loop: Header=BB6_16107 Depth=3
	s_or_b32 exec_lo, exec_lo, s16
	;;#ASMSTART
	s_wakeup
	;;#ASMEND
.LBB6_16276:                            ;   in Loop: Header=BB6_16107 Depth=3
	s_or_b32 exec_lo, exec_lo, s15
.LBB6_16277:                            ;   in Loop: Header=BB6_16107 Depth=3
	s_and_not1_saveexec_b32 s14, s14
	s_cbranch_execz .LBB6_16279
; %bb.16278:                            ;   in Loop: Header=BB6_16107 Depth=3
	s_waitcnt lgkmcnt(0)
	s_waitcnt_vscnt null, 0x0
	buffer_gl1_inv
	buffer_gl0_inv
	s_barrier
.LBB6_16279:                            ;   in Loop: Header=BB6_16107 Depth=3
	s_or_b32 exec_lo, exec_lo, s14
.LBB6_16280:                            ;   in Loop: Header=BB6_16107 Depth=3
	s_delay_alu instid0(SALU_CYCLE_1) | instskip(SKIP_1) | instid1(SALU_CYCLE_1)
	s_or_b32 exec_lo, exec_lo, s13
                                        ; implicit-def: $vgpr2
	s_and_saveexec_b32 s13, s7
	s_xor_b32 s14, exec_lo, s13
	s_cbranch_execz .LBB6_16284
; %bb.16281:                            ;   in Loop: Header=BB6_16107 Depth=3
	v_and_b32_e32 v2, 16, v30
	v_cmp_lt_i32_e32 vcc_lo, 0, v19
	s_delay_alu instid0(VALU_DEP_2) | instskip(SKIP_1) | instid1(VALU_DEP_2)
	v_cmp_ne_u32_e64 s13, 0, v2
	v_and_b32_e32 v2, 16, v30
	s_and_b32 s15, s13, vcc_lo
	s_delay_alu instid0(SALU_CYCLE_1)
	s_and_saveexec_b32 s13, s15
	s_cbranch_execz .LBB6_16283
; %bb.16282:                            ;   in Loop: Header=BB6_16107 Depth=3
	v_mov_b32_e32 v2, 1
	s_waitcnt lgkmcnt(0)
	s_waitcnt_vscnt null, 0x0
	buffer_gl1_inv
	buffer_gl0_inv
.LBB6_16283:                            ;   in Loop: Header=BB6_16107 Depth=3
	s_or_b32 exec_lo, exec_lo, s13
.LBB6_16284:                            ;   in Loop: Header=BB6_16107 Depth=3
	s_and_not1_saveexec_b32 s13, s14
	s_cbranch_execz .LBB6_16306
; %bb.16285:                            ;   in Loop: Header=BB6_16107 Depth=3
	s_and_saveexec_b32 s14, s4
	s_delay_alu instid0(SALU_CYCLE_1)
	s_xor_b32 s14, exec_lo, s14
	s_cbranch_execz .LBB6_16303
; %bb.16286:                            ;   in Loop: Header=BB6_16107 Depth=3
	s_and_saveexec_b32 s15, s1
	s_cbranch_execz .LBB6_16302
; %bb.16287:                            ;   in Loop: Header=BB6_16107 Depth=3
	s_mov_b32 s17, exec_lo
	s_mov_b32 s16, exec_lo
	v_mbcnt_lo_u32_b32 v2, s17, 0
	;;#ASMSTART
	s_waitcnt lgkmcnt(0) vmcnt(0)
	;;#ASMEND
	s_delay_alu instid0(VALU_DEP_1)
	v_cmpx_eq_u32_e32 0, v2
	s_cbranch_execz .LBB6_16289
; %bb.16288:                            ;   in Loop: Header=BB6_16107 Depth=3
	s_bcnt1_i32_b32 s17, s17
	s_delay_alu instid0(SALU_CYCLE_1)
	v_mov_b32_e32 v2, s17
	ds_add_u64 v0, v[2:3]
	s_cbranch_execnz .LBB6_17100
.LBB6_16289:                            ;   in Loop: Header=BB6_16107 Depth=3
	s_or_b32 exec_lo, exec_lo, s16
	s_cbranch_execnz .LBB6_17080
; %bb.16290:                            ;   in Loop: Header=BB6_16107 Depth=3
	ds_load_b64 v[8:9], v0
	v_add_co_u32 v80, vcc_lo, v80, v129
	v_add_co_ci_u32_e32 v81, vcc_lo, 0, v81, vcc_lo
	s_mov_b32 s16, exec_lo
	s_waitcnt lgkmcnt(0)
	s_delay_alu instid0(VALU_DEP_1)
	v_cmpx_lt_u64_e64 v[8:9], v[80:81]
	s_cbranch_execz .LBB6_16301
; %bb.16291:                            ;   in Loop: Header=BB6_16107 Depth=3
	s_mov_b32 s17, 0
	s_mov_b32 s44, 0
                                        ; implicit-def: $sgpr42
                                        ; implicit-def: $sgpr43
	s_branch .LBB6_16293
.LBB6_16292:                            ;   in Loop: Header=BB6_16293 Depth=4
	s_or_b32 exec_lo, exec_lo, s46
	s_delay_alu instid0(SALU_CYCLE_1) | instskip(NEXT) | instid1(SALU_CYCLE_1)
	s_and_b32 vcc_lo, exec_lo, vcc_lo
	s_or_b32 s17, vcc_lo, s17
	s_and_not1_b32 vcc_lo, s42, exec_lo
	s_and_b32 s42, s43, exec_lo
	s_delay_alu instid0(SALU_CYCLE_1)
	s_or_b32 s42, vcc_lo, s42
	s_and_not1_b32 exec_lo, exec_lo, s17
	s_cbranch_execz .LBB6_16299
.LBB6_16293:                            ;   Parent Loop BB6_51 Depth=1
                                        ;     Parent Loop BB6_16105 Depth=2
                                        ;       Parent Loop BB6_16107 Depth=3
                                        ; =>      This Inner Loop Header: Depth=4
	s_add_i32 s44, s44, 1
                                        ; implicit-def: $sgpr46
	s_delay_alu instid0(SALU_CYCLE_1) | instskip(SKIP_1) | instid1(SALU_CYCLE_1)
	s_cmpk_lg_i32 s44, 0x2710
	s_cselect_b32 s45, -1, 0
	s_and_b32 vcc_lo, exec_lo, s45
	s_cbranch_vccz .LBB6_16297
.LBB6_16294:                            ;   in Loop: Header=BB6_16293 Depth=4
	s_and_not1_b32 s43, s43, exec_lo
	s_and_b32 s46, s46, exec_lo
	s_mov_b32 vcc_lo, -1
	s_or_b32 s43, s43, s46
	s_and_saveexec_b32 s46, s45
	s_cbranch_execz .LBB6_16292
; %bb.16295:                            ;   in Loop: Header=BB6_16293 Depth=4
	s_sleep 1
	s_cbranch_execnz .LBB6_17136
; %bb.16296:                            ;   in Loop: Header=BB6_16293 Depth=4
	ds_load_b64 v[8:9], v0
	s_and_not1_b32 s43, s43, exec_lo
	s_waitcnt lgkmcnt(0)
	v_cmp_ge_u64_e32 vcc_lo, v[8:9], v[80:81]
	s_or_not1_b32 vcc_lo, vcc_lo, exec_lo
	s_branch .LBB6_16292
.LBB6_16297:                            ;   in Loop: Header=BB6_16293 Depth=4
	s_cbranch_execnz .LBB6_17142
; %bb.16298:                            ;   in Loop: Header=BB6_16293 Depth=4
	ds_load_b64 v[8:9], v0
	s_and_not1_b32 s45, s45, exec_lo
	s_mov_b32 s44, 0
	s_mov_b32 s46, -1
	s_waitcnt lgkmcnt(0)
	s_waitcnt_vscnt null, 0x0
	flat_load_b32 v2, v[8:9] glc
	s_waitcnt vmcnt(0) lgkmcnt(0)
	buffer_gl1_inv
	buffer_gl0_inv
	v_cmp_eq_u32_e32 vcc_lo, 0, v2
	s_and_b32 vcc_lo, vcc_lo, exec_lo
	s_delay_alu instid0(SALU_CYCLE_1)
	s_or_b32 s45, s45, vcc_lo
	s_branch .LBB6_16294
.LBB6_16299:                            ;   in Loop: Header=BB6_16107 Depth=3
	s_or_b32 exec_lo, exec_lo, s17
	s_and_saveexec_b32 s17, s42
	s_delay_alu instid0(SALU_CYCLE_1)
	s_xor_b32 s17, exec_lo, s17
	s_cbranch_execz .LBB6_16301
; %bb.16300:                            ;   in Loop: Header=BB6_16107 Depth=3
	ds_store_b32 v0, v176
	s_cbranch_execnz .LBB6_17186
.LBB6_16301:                            ;   in Loop: Header=BB6_16107 Depth=3
	s_or_b32 exec_lo, exec_lo, s16
	;;#ASMSTART
	s_wakeup
	;;#ASMEND
.LBB6_16302:                            ;   in Loop: Header=BB6_16107 Depth=3
	s_or_b32 exec_lo, exec_lo, s15
.LBB6_16303:                            ;   in Loop: Header=BB6_16107 Depth=3
	s_and_not1_saveexec_b32 s14, s14
	s_cbranch_execz .LBB6_16305
; %bb.16304:                            ;   in Loop: Header=BB6_16107 Depth=3
	;;#ASMSTART
	s_waitcnt lgkmcnt(0) vmcnt(0)
	;;#ASMEND
	s_waitcnt lgkmcnt(0)
	s_waitcnt_vscnt null, 0x0
	s_barrier
.LBB6_16305:                            ;   in Loop: Header=BB6_16107 Depth=3
	s_or_b32 exec_lo, exec_lo, s14
	v_and_b32_e32 v2, 16, v30
.LBB6_16306:                            ;   in Loop: Header=BB6_16107 Depth=3
	s_or_b32 exec_lo, exec_lo, s13
	s_delay_alu instid0(VALU_DEP_1) | instskip(SKIP_1) | instid1(SALU_CYCLE_1)
	v_cmp_ne_u32_e32 vcc_lo, 0, v2
	s_xor_b32 s13, s10, -1
	s_and_b32 s14, vcc_lo, s13
	s_delay_alu instid0(SALU_CYCLE_1)
	s_and_saveexec_b32 s13, s14
	s_cbranch_execz .LBB6_16308
; %bb.16307:                            ;   in Loop: Header=BB6_16107 Depth=3
	s_waitcnt lgkmcnt(0)
	s_waitcnt_vscnt null, 0x0
	flat_store_b32 v[70:71], v176
.LBB6_16308:                            ;   in Loop: Header=BB6_16107 Depth=3
	s_or_b32 exec_lo, exec_lo, s13
	v_and_b32_e32 v2, 48, v30
	s_mov_b32 s13, exec_lo
	s_delay_alu instid0(VALU_DEP_1)
	v_cmpx_ne_u32_e32 0, v2
	s_cbranch_execz .LBB6_16310
; %bb.16309:                            ;   in Loop: Header=BB6_16107 Depth=3
	v_add_co_u32 v66, vcc_lo, v66, 2
	v_add_co_ci_u32_e32 v67, vcc_lo, 0, v67, vcc_lo
	s_waitcnt lgkmcnt(0)
	s_waitcnt_vscnt null, 0x0
	flat_store_b64 v[64:65], v[66:67]
.LBB6_16310:                            ;   in Loop: Header=BB6_16107 Depth=3
	s_or_b32 exec_lo, exec_lo, s13
	v_add_nc_u32_e32 v16, v12, v16
	s_xor_b32 s13, s40, -1
	v_mov_b32_e32 v2, s41
	s_mov_b32 s40, 0
	s_mov_b32 s41, 2
	v_cmp_ge_i32_e32 vcc_lo, v16, v15
	s_or_b32 s13, s13, vcc_lo
	s_delay_alu instid0(SALU_CYCLE_1) | instskip(NEXT) | instid1(SALU_CYCLE_1)
	s_and_b32 s13, exec_lo, s13
	s_or_b32 s39, s13, s39
	s_delay_alu instid0(SALU_CYCLE_1)
	s_and_not1_b32 exec_lo, exec_lo, s39
	s_cbranch_execnz .LBB6_16107
; %bb.16311:                            ;   in Loop: Header=BB6_16105 Depth=2
	s_or_b32 exec_lo, exec_lo, s39
.LBB6_16312:                            ;   in Loop: Header=BB6_16105 Depth=2
	s_delay_alu instid0(SALU_CYCLE_1) | instskip(NEXT) | instid1(SALU_CYCLE_1)
	s_or_b32 exec_lo, exec_lo, s38
	s_mov_b32 s14, exec_lo
	v_cmpx_gt_i32_e32 2, v2
	s_cbranch_execz .LBB6_16398
; %bb.16313:                            ;   in Loop: Header=BB6_16105 Depth=2
	v_cmp_eq_u32_e64 s13, 0, v2
	s_mov_b32 s15, 0
.LBB6_16314:                            ;   Parent Loop BB6_51 Depth=1
                                        ;     Parent Loop BB6_16105 Depth=2
                                        ; =>    This Loop Header: Depth=3
                                        ;         Child Loop BB6_16320 Depth 4
                                        ;         Child Loop BB6_16352 Depth 4
	;; [unrolled: 1-line block ×3, first 2 shown]
	v_and_b32_e32 v2, 12, v30
	s_mov_b32 s17, -1
	s_mov_b32 s16, exec_lo
	s_delay_alu instid0(VALU_DEP_1)
	v_cmpx_ne_u32_e32 0, v2
	s_cbranch_execz .LBB6_16328
; %bb.16315:                            ;   in Loop: Header=BB6_16314 Depth=3
	v_and_b32_e32 v2, 8, v30
	s_delay_alu instid0(VALU_DEP_1) | instskip(SKIP_3) | instid1(VALU_DEP_1)
	v_add_co_u32 v10, vcc_lo, v82, v2
	v_add_co_ci_u32_e32 v11, vcc_lo, 0, v83, vcc_lo
	v_add_co_u32 v8, vcc_lo, v66, 2
	v_add_co_ci_u32_e32 v9, vcc_lo, 0, v67, vcc_lo
	v_cmp_lt_u64_e32 vcc_lo, v[10:11], v[8:9]
	v_mov_b32_e32 v10, 1
	s_and_saveexec_b32 s17, vcc_lo
	s_cbranch_execz .LBB6_16327
; %bb.16316:                            ;   in Loop: Header=BB6_16314 Depth=3
	v_mov_b32_e32 v10, 0
	s_mov_b32 s38, 0
                                        ; implicit-def: $sgpr39
	s_branch .LBB6_16320
.LBB6_16317:                            ;   in Loop: Header=BB6_16320 Depth=4
	s_or_b32 exec_lo, exec_lo, s43
	v_mov_b32_e32 v11, 0
	s_or_not1_b32 s42, s42, exec_lo
.LBB6_16318:                            ;   in Loop: Header=BB6_16320 Depth=4
	s_or_b32 exec_lo, exec_lo, s41
	s_delay_alu instid0(VALU_DEP_1) | instskip(SKIP_2) | instid1(SALU_CYCLE_1)
	v_mov_b32_e32 v10, v11
	s_and_not1_b32 vcc_lo, s39, exec_lo
	s_and_b32 s39, s42, exec_lo
	s_or_b32 s39, vcc_lo, s39
.LBB6_16319:                            ;   in Loop: Header=BB6_16320 Depth=4
	s_or_b32 exec_lo, exec_lo, s40
	s_waitcnt vmcnt(0) lgkmcnt(0)
	v_add_co_u32 v13, vcc_lo, v82, v2
	v_add_co_ci_u32_e32 v14, vcc_lo, 0, v83, vcc_lo
	s_xor_b32 s40, s39, -1
	s_delay_alu instid0(VALU_DEP_1) | instskip(SKIP_1) | instid1(SALU_CYCLE_1)
	v_cmp_ge_u64_e32 vcc_lo, v[13:14], v[8:9]
	s_or_b32 vcc_lo, s40, vcc_lo
	s_and_b32 vcc_lo, exec_lo, vcc_lo
	s_delay_alu instid0(SALU_CYCLE_1) | instskip(NEXT) | instid1(SALU_CYCLE_1)
	s_or_b32 s38, vcc_lo, s38
	s_and_not1_b32 exec_lo, exec_lo, s38
	s_cbranch_execz .LBB6_16326
.LBB6_16320:                            ;   Parent Loop BB6_51 Depth=1
                                        ;     Parent Loop BB6_16105 Depth=2
                                        ;       Parent Loop BB6_16314 Depth=3
                                        ; =>      This Inner Loop Header: Depth=4
	s_sleep 1
	flat_load_b64 v[82:83], v[64:65] glc
	v_and_b32_e32 v11, 64, v30
	s_and_not1_b32 s39, s39, exec_lo
	s_mov_b32 s40, exec_lo
	s_delay_alu instid0(VALU_DEP_1)
	v_cmpx_eq_u32_e32 0, v11
	s_cbranch_execz .LBB6_16319
; %bb.16321:                            ;   in Loop: Header=BB6_16320 Depth=4
	v_add_nc_u32_e32 v11, 1, v10
	s_mov_b32 s42, -1
	s_mov_b32 s41, exec_lo
	v_cmpx_lt_i32_e32 0x270e, v10
	s_cbranch_execz .LBB6_16318
; %bb.16322:                            ;   in Loop: Header=BB6_16320 Depth=4
	s_cbranch_execnz .LBB6_16844
; %bb.16323:                            ;   in Loop: Header=BB6_16320 Depth=4
	ds_load_b64 v[10:11], v0
	s_mov_b32 s43, exec_lo
	s_waitcnt vmcnt(0) lgkmcnt(0)
	s_waitcnt_vscnt null, 0x0
	flat_load_b32 v10, v[10:11] glc
	s_waitcnt vmcnt(0) lgkmcnt(0)
	buffer_gl1_inv
	buffer_gl0_inv
	v_cmpx_ne_u32_e32 0, v10
	s_cbranch_execz .LBB6_16317
; %bb.16324:                            ;   in Loop: Header=BB6_16320 Depth=4
	ds_store_b32 v0, v10
	s_cbranch_execnz .LBB6_16924
; %bb.16325:                            ;   in Loop: Header=BB6_16320 Depth=4
	v_or_b32_e32 v30, 64, v30
	s_xor_b32 s42, exec_lo, -1
	s_branch .LBB6_16317
.LBB6_16326:                            ;   in Loop: Header=BB6_16314 Depth=3
	s_or_b32 exec_lo, exec_lo, s38
	v_and_b32_e32 v10, 12, v30
.LBB6_16327:                            ;   in Loop: Header=BB6_16314 Depth=3
	s_or_b32 exec_lo, exec_lo, s17
	s_delay_alu instid0(VALU_DEP_1)
	v_cmp_eq_u32_e32 vcc_lo, 0, v10
	;;#ASMSTART
	s_wakeup
	;;#ASMEND
	s_or_not1_b32 s17, vcc_lo, exec_lo
.LBB6_16328:                            ;   in Loop: Header=BB6_16314 Depth=3
	s_or_b32 exec_lo, exec_lo, s16
	v_sub_nc_u32_e32 v2, v15, v16
	s_xor_b32 s13, s13, -1
	s_delay_alu instid0(SALU_CYCLE_1) | instskip(NEXT) | instid1(SALU_CYCLE_1)
	s_and_b32 s13, exec_lo, s13
	s_or_b32 s15, s13, s15
	s_delay_alu instid0(VALU_DEP_1) | instskip(SKIP_1) | instid1(SALU_CYCLE_1)
	v_min_i32_e32 v12, v12, v2
	s_xor_b32 s13, s17, -1
	s_and_saveexec_b32 s16, s13
	s_cbranch_execz .LBB6_16343
; %bb.16329:                            ;   in Loop: Header=BB6_16314 Depth=3
	v_and_b32_e32 v2, 0x108, v30
	s_mov_b32 s13, exec_lo
	s_delay_alu instid0(VALU_DEP_1)
	v_cmpx_ne_u32_e32 0x108, v2
	s_xor_b32 s13, exec_lo, s13
                                        ; implicit-def: $vgpr8_vgpr9
; %bb.16330:                            ;   in Loop: Header=BB6_16314 Depth=3
	v_and_b32_e32 v8, 7, v66
; %bb.16331:                            ;   in Loop: Header=BB6_16314 Depth=3
	s_and_not1_saveexec_b32 s13, s13
	s_cbranch_execz .LBB6_16333
; %bb.16332:                            ;   in Loop: Header=BB6_16314 Depth=3
	v_and_b32_e32 v8, 7, v66
	v_ashrrev_i32_e32 v13, 31, v12
	s_delay_alu instid0(VALU_DEP_2)
	v_mad_u64_u32 v[9:10], null, v8, 24, v[6:7]
	flat_store_b64 v[9:10], v[12:13] offset:8
.LBB6_16333:                            ;   in Loop: Header=BB6_16314 Depth=3
	s_or_b32 exec_lo, exec_lo, s13
	v_and_b32_e32 v2, 0x100, v30
	s_mov_b32 s13, -1
	s_mov_b32 s17, exec_lo
                                        ; implicit-def: $vgpr9_vgpr10
	s_delay_alu instid0(VALU_DEP_1)
	v_cmpx_ne_u32_e32 0, v2
	s_cbranch_execnz .LBB6_16336
; %bb.16334:                            ;   in Loop: Header=BB6_16314 Depth=3
	s_or_b32 exec_lo, exec_lo, s17
	s_and_saveexec_b32 s17, s13
	s_cbranch_execnz .LBB6_16339
.LBB6_16335:                            ;   in Loop: Header=BB6_16314 Depth=3
	s_or_b32 exec_lo, exec_lo, s17
	s_cbranch_execnz .LBB6_16834
	s_branch .LBB6_16340
.LBB6_16336:                            ;   in Loop: Header=BB6_16314 Depth=3
	v_mad_u64_u32 v[13:14], null, v8, 24, v[6:7]
	s_mov_b32 s38, exec_lo
	s_delay_alu instid0(VALU_DEP_1) | instskip(NEXT) | instid1(VALU_DEP_1)
	v_mov_b32_e32 v2, v14
	v_mad_u64_u32 v[9:10], null, v3, 24, v[2:3]
	s_delay_alu instid0(VALU_DEP_1)
	v_mov_b32_e32 v14, v9
                                        ; implicit-def: $vgpr9_vgpr10
	flat_load_b32 v2, v[13:14]
	s_waitcnt vmcnt(0) lgkmcnt(0)
	v_cmp_ne_u32_e32 vcc_lo, 1, v2
	v_cmpx_eq_u32_e32 1, v2
	s_cbranch_execz .LBB6_16338
; %bb.16337:                            ;   in Loop: Header=BB6_16314 Depth=3
	flat_load_b32 v9, v[13:14] offset:4 glc
	s_waitcnt vmcnt(0) lgkmcnt(0)
	v_ashrrev_i32_e32 v10, 31, v9
.LBB6_16338:                            ;   in Loop: Header=BB6_16314 Depth=3
	s_or_b32 exec_lo, exec_lo, s38
	s_delay_alu instid0(SALU_CYCLE_1)
	s_or_not1_b32 s13, vcc_lo, exec_lo
	s_or_b32 exec_lo, exec_lo, s17
	s_and_saveexec_b32 s17, s13
	s_cbranch_execz .LBB6_16335
.LBB6_16339:                            ;   in Loop: Header=BB6_16314 Depth=3
	v_mul_lo_u32 v2, v3, v118
	v_mul_lo_u32 v11, v8, v128
	v_mad_u64_u32 v[9:10], null, v8, v118, 0
	s_delay_alu instid0(VALU_DEP_1)
	v_add3_u32 v10, v10, v11, v2
	s_or_b32 exec_lo, exec_lo, s17
	s_cbranch_execnz .LBB6_16834
.LBB6_16340:                            ;   in Loop: Header=BB6_16314 Depth=3
	s_delay_alu instid0(VALU_DEP_2)
	v_add_co_u32 v8, vcc_lo, v68, v9
	v_and_b32_e32 v2, 0x2000, v30
	v_add_co_ci_u32_e32 v9, vcc_lo, v69, v10, vcc_lo
	s_mov_b32 s13, exec_lo
	ds_store_b64 v0, v[8:9]
	v_cmpx_ne_u32_e32 0, v2
	s_cbranch_execz .LBB6_16342
; %bb.16341:                            ;   in Loop: Header=BB6_16314 Depth=3
	ds_load_b64 v[8:9], v0 offset:584
	s_waitcnt lgkmcnt(0)
	v_add_co_u32 v8, vcc_lo, v8, 1
	v_add_co_ci_u32_e32 v9, vcc_lo, 0, v9, vcc_lo
	ds_store_b64 v0, v[8:9] offset:584
.LBB6_16342:                            ;   in Loop: Header=BB6_16314 Depth=3
	s_or_b32 exec_lo, exec_lo, s13
	v_add_co_u32 v66, vcc_lo, v66, 2
	v_add_co_ci_u32_e32 v67, vcc_lo, 0, v67, vcc_lo
.LBB6_16343:                            ;   in Loop: Header=BB6_16314 Depth=3
	s_or_b32 exec_lo, exec_lo, s16
	s_and_saveexec_b32 s13, s3
	s_cbranch_execz .LBB6_16365
; %bb.16344:                            ;   in Loop: Header=BB6_16314 Depth=3
	s_and_saveexec_b32 s16, s4
	s_delay_alu instid0(SALU_CYCLE_1)
	s_xor_b32 s16, exec_lo, s16
	s_cbranch_execz .LBB6_16362
; %bb.16345:                            ;   in Loop: Header=BB6_16314 Depth=3
	s_and_saveexec_b32 s17, s1
	s_cbranch_execz .LBB6_16361
; %bb.16346:                            ;   in Loop: Header=BB6_16314 Depth=3
	s_mov_b32 s39, exec_lo
	s_mov_b32 s38, exec_lo
	v_mbcnt_lo_u32_b32 v2, s39, 0
	s_waitcnt lgkmcnt(0)
	s_waitcnt_vscnt null, 0x0
	buffer_gl1_inv
	buffer_gl0_inv
	v_cmpx_eq_u32_e32 0, v2
	s_cbranch_execz .LBB6_16348
; %bb.16347:                            ;   in Loop: Header=BB6_16314 Depth=3
	s_bcnt1_i32_b32 vcc_lo, s39
	s_delay_alu instid0(SALU_CYCLE_1)
	v_mov_b32_e32 v2, vcc_lo
	ds_add_u64 v0, v[2:3]
	s_cbranch_execnz .LBB6_16980
.LBB6_16348:                            ;   in Loop: Header=BB6_16314 Depth=3
	s_or_b32 exec_lo, exec_lo, s38
	s_cbranch_execnz .LBB6_16948
; %bb.16349:                            ;   in Loop: Header=BB6_16314 Depth=3
	ds_load_b64 v[8:9], v0
	v_add_co_u32 v80, vcc_lo, v80, v129
	v_add_co_ci_u32_e32 v81, vcc_lo, 0, v81, vcc_lo
	s_mov_b32 s38, exec_lo
	s_waitcnt lgkmcnt(0)
	s_delay_alu instid0(VALU_DEP_1)
	v_cmpx_lt_u64_e64 v[8:9], v[80:81]
	s_cbranch_execz .LBB6_16360
; %bb.16350:                            ;   in Loop: Header=BB6_16314 Depth=3
	s_mov_b32 s39, 0
	s_mov_b32 s42, 0
                                        ; implicit-def: $sgpr40
                                        ; implicit-def: $sgpr41
	s_branch .LBB6_16352
.LBB6_16351:                            ;   in Loop: Header=BB6_16352 Depth=4
	s_or_b32 exec_lo, exec_lo, s44
	s_delay_alu instid0(SALU_CYCLE_1) | instskip(NEXT) | instid1(SALU_CYCLE_1)
	s_and_b32 vcc_lo, exec_lo, vcc_lo
	s_or_b32 s39, vcc_lo, s39
	s_and_not1_b32 vcc_lo, s40, exec_lo
	s_and_b32 s40, s41, exec_lo
	s_delay_alu instid0(SALU_CYCLE_1)
	s_or_b32 s40, vcc_lo, s40
	s_and_not1_b32 exec_lo, exec_lo, s39
	s_cbranch_execz .LBB6_16358
.LBB6_16352:                            ;   Parent Loop BB6_51 Depth=1
                                        ;     Parent Loop BB6_16105 Depth=2
                                        ;       Parent Loop BB6_16314 Depth=3
                                        ; =>      This Inner Loop Header: Depth=4
	s_add_i32 s42, s42, 1
                                        ; implicit-def: $sgpr44
	s_delay_alu instid0(SALU_CYCLE_1) | instskip(SKIP_1) | instid1(SALU_CYCLE_1)
	s_cmpk_lg_i32 s42, 0x2710
	s_cselect_b32 s43, -1, 0
	s_and_b32 vcc_lo, exec_lo, s43
	s_cbranch_vccz .LBB6_16356
.LBB6_16353:                            ;   in Loop: Header=BB6_16352 Depth=4
	s_and_not1_b32 s41, s41, exec_lo
	s_and_b32 s44, s44, exec_lo
	s_mov_b32 vcc_lo, -1
	s_or_b32 s41, s41, s44
	s_and_saveexec_b32 s44, s43
	s_cbranch_execz .LBB6_16351
; %bb.16354:                            ;   in Loop: Header=BB6_16352 Depth=4
	s_sleep 1
	s_cbranch_execnz .LBB6_17028
; %bb.16355:                            ;   in Loop: Header=BB6_16352 Depth=4
	ds_load_b64 v[8:9], v0
	s_and_not1_b32 s41, s41, exec_lo
	s_waitcnt lgkmcnt(0)
	v_cmp_ge_u64_e32 vcc_lo, v[8:9], v[80:81]
	s_or_not1_b32 vcc_lo, vcc_lo, exec_lo
	s_branch .LBB6_16351
.LBB6_16356:                            ;   in Loop: Header=BB6_16352 Depth=4
	s_cbranch_execnz .LBB6_17050
; %bb.16357:                            ;   in Loop: Header=BB6_16352 Depth=4
	ds_load_b64 v[8:9], v0
	s_and_not1_b32 s43, s43, exec_lo
	s_mov_b32 s42, 0
	s_mov_b32 s44, -1
	s_waitcnt lgkmcnt(0)
	flat_load_b32 v2, v[8:9] glc
	s_waitcnt vmcnt(0) lgkmcnt(0)
	buffer_gl1_inv
	buffer_gl0_inv
	v_cmp_eq_u32_e32 vcc_lo, 0, v2
	s_and_b32 vcc_lo, vcc_lo, exec_lo
	s_delay_alu instid0(SALU_CYCLE_1)
	s_or_b32 s43, s43, vcc_lo
	s_branch .LBB6_16353
.LBB6_16358:                            ;   in Loop: Header=BB6_16314 Depth=3
	s_or_b32 exec_lo, exec_lo, s39
	s_and_saveexec_b32 vcc_lo, s40
	s_delay_alu instid0(SALU_CYCLE_1)
	s_xor_b32 vcc_lo, exec_lo, vcc_lo
	s_cbranch_execz .LBB6_16360
; %bb.16359:                            ;   in Loop: Header=BB6_16314 Depth=3
	ds_store_b32 v0, v176
	s_cbranch_execnz .LBB6_17164
.LBB6_16360:                            ;   in Loop: Header=BB6_16314 Depth=3
	s_or_b32 exec_lo, exec_lo, s38
	;;#ASMSTART
	s_wakeup
	;;#ASMEND
.LBB6_16361:                            ;   in Loop: Header=BB6_16314 Depth=3
	s_or_b32 exec_lo, exec_lo, s17
.LBB6_16362:                            ;   in Loop: Header=BB6_16314 Depth=3
	s_and_not1_saveexec_b32 s16, s16
	s_cbranch_execz .LBB6_16364
; %bb.16363:                            ;   in Loop: Header=BB6_16314 Depth=3
	s_waitcnt lgkmcnt(0)
	s_waitcnt_vscnt null, 0x0
	buffer_gl1_inv
	buffer_gl0_inv
	s_barrier
.LBB6_16364:                            ;   in Loop: Header=BB6_16314 Depth=3
	s_or_b32 exec_lo, exec_lo, s16
.LBB6_16365:                            ;   in Loop: Header=BB6_16314 Depth=3
	s_delay_alu instid0(SALU_CYCLE_1) | instskip(SKIP_1) | instid1(SALU_CYCLE_1)
	s_or_b32 exec_lo, exec_lo, s13
                                        ; implicit-def: $vgpr2
	s_and_saveexec_b32 s13, s7
	s_xor_b32 s16, exec_lo, s13
	s_cbranch_execz .LBB6_16370
; %bb.16366:                            ;   in Loop: Header=BB6_16314 Depth=3
	s_cbranch_execnz .LBB6_16866
; %bb.16367:                            ;   in Loop: Header=BB6_16314 Depth=3
	ds_load_b32 v2, v0
	v_cmp_lt_i32_e32 vcc_lo, 0, v12
	s_waitcnt lgkmcnt(0)
	v_readfirstlane_b32 s13, v2
	v_and_b32_e32 v2, 16, v30
	s_delay_alu instid0(VALU_DEP_2) | instskip(NEXT) | instid1(VALU_DEP_1)
	s_cmp_eq_u32 s13, 0
	v_cmp_ne_u32_e64 s13, 0, v2
	s_cselect_b32 s17, -1, 0
	v_and_b32_e32 v2, 16, v30
	s_and_b32 s17, vcc_lo, s17
	s_delay_alu instid0(VALU_DEP_2) | instid1(SALU_CYCLE_1)
	s_and_b32 s17, s13, s17
	s_delay_alu instid0(SALU_CYCLE_1)
	s_and_saveexec_b32 s13, s17
	s_cbranch_execz .LBB6_16369
; %bb.16368:                            ;   in Loop: Header=BB6_16314 Depth=3
	v_mov_b32_e32 v2, 1
	s_waitcnt_vscnt null, 0x0
	buffer_gl1_inv
	buffer_gl0_inv
.LBB6_16369:                            ;   in Loop: Header=BB6_16314 Depth=3
	s_or_b32 exec_lo, exec_lo, s13
.LBB6_16370:                            ;   in Loop: Header=BB6_16314 Depth=3
	s_and_not1_saveexec_b32 s13, s16
	s_cbranch_execz .LBB6_16392
; %bb.16371:                            ;   in Loop: Header=BB6_16314 Depth=3
	s_and_saveexec_b32 s16, s4
	s_delay_alu instid0(SALU_CYCLE_1)
	s_xor_b32 s16, exec_lo, s16
	s_cbranch_execz .LBB6_16389
; %bb.16372:                            ;   in Loop: Header=BB6_16314 Depth=3
	s_and_saveexec_b32 s17, s1
	s_cbranch_execz .LBB6_16388
; %bb.16373:                            ;   in Loop: Header=BB6_16314 Depth=3
	s_mov_b32 s39, exec_lo
	s_mov_b32 s38, exec_lo
	v_mbcnt_lo_u32_b32 v2, s39, 0
	;;#ASMSTART
	s_waitcnt lgkmcnt(0) vmcnt(0)
	;;#ASMEND
	s_delay_alu instid0(VALU_DEP_1)
	v_cmpx_eq_u32_e32 0, v2
	s_cbranch_execz .LBB6_16375
; %bb.16374:                            ;   in Loop: Header=BB6_16314 Depth=3
	s_bcnt1_i32_b32 vcc_lo, s39
	s_delay_alu instid0(SALU_CYCLE_1)
	v_mov_b32_e32 v2, vcc_lo
	ds_add_u64 v0, v[2:3]
	s_cbranch_execnz .LBB6_17000
.LBB6_16375:                            ;   in Loop: Header=BB6_16314 Depth=3
	s_or_b32 exec_lo, exec_lo, s38
	s_cbranch_execnz .LBB6_16978
; %bb.16376:                            ;   in Loop: Header=BB6_16314 Depth=3
	ds_load_b64 v[8:9], v0
	v_add_co_u32 v80, vcc_lo, v80, v129
	v_add_co_ci_u32_e32 v81, vcc_lo, 0, v81, vcc_lo
	s_mov_b32 s38, exec_lo
	s_waitcnt lgkmcnt(0)
	s_delay_alu instid0(VALU_DEP_1)
	v_cmpx_lt_u64_e64 v[8:9], v[80:81]
	s_cbranch_execz .LBB6_16387
; %bb.16377:                            ;   in Loop: Header=BB6_16314 Depth=3
	s_mov_b32 s39, 0
	s_mov_b32 s42, 0
                                        ; implicit-def: $sgpr40
                                        ; implicit-def: $sgpr41
	s_branch .LBB6_16379
.LBB6_16378:                            ;   in Loop: Header=BB6_16379 Depth=4
	s_or_b32 exec_lo, exec_lo, s44
	s_delay_alu instid0(SALU_CYCLE_1) | instskip(NEXT) | instid1(SALU_CYCLE_1)
	s_and_b32 vcc_lo, exec_lo, vcc_lo
	s_or_b32 s39, vcc_lo, s39
	s_and_not1_b32 vcc_lo, s40, exec_lo
	s_and_b32 s40, s41, exec_lo
	s_delay_alu instid0(SALU_CYCLE_1)
	s_or_b32 s40, vcc_lo, s40
	s_and_not1_b32 exec_lo, exec_lo, s39
	s_cbranch_execz .LBB6_16385
.LBB6_16379:                            ;   Parent Loop BB6_51 Depth=1
                                        ;     Parent Loop BB6_16105 Depth=2
                                        ;       Parent Loop BB6_16314 Depth=3
                                        ; =>      This Inner Loop Header: Depth=4
	s_add_i32 s42, s42, 1
                                        ; implicit-def: $sgpr44
	s_delay_alu instid0(SALU_CYCLE_1) | instskip(SKIP_1) | instid1(SALU_CYCLE_1)
	s_cmpk_lg_i32 s42, 0x2710
	s_cselect_b32 s43, -1, 0
	s_and_b32 vcc_lo, exec_lo, s43
	s_cbranch_vccz .LBB6_16383
.LBB6_16380:                            ;   in Loop: Header=BB6_16379 Depth=4
	s_and_not1_b32 s41, s41, exec_lo
	s_and_b32 s44, s44, exec_lo
	s_mov_b32 vcc_lo, -1
	s_or_b32 s41, s41, s44
	s_and_saveexec_b32 s44, s43
	s_cbranch_execz .LBB6_16378
; %bb.16381:                            ;   in Loop: Header=BB6_16379 Depth=4
	s_sleep 1
	s_cbranch_execnz .LBB6_17060
; %bb.16382:                            ;   in Loop: Header=BB6_16379 Depth=4
	ds_load_b64 v[8:9], v0
	s_and_not1_b32 s41, s41, exec_lo
	s_waitcnt lgkmcnt(0)
	v_cmp_ge_u64_e32 vcc_lo, v[8:9], v[80:81]
	s_or_not1_b32 vcc_lo, vcc_lo, exec_lo
	s_branch .LBB6_16378
.LBB6_16383:                            ;   in Loop: Header=BB6_16379 Depth=4
	s_cbranch_execnz .LBB6_17074
; %bb.16384:                            ;   in Loop: Header=BB6_16379 Depth=4
	ds_load_b64 v[8:9], v0
	s_and_not1_b32 s43, s43, exec_lo
	s_mov_b32 s42, 0
	s_mov_b32 s44, -1
	s_waitcnt lgkmcnt(0)
	s_waitcnt_vscnt null, 0x0
	flat_load_b32 v2, v[8:9] glc
	s_waitcnt vmcnt(0) lgkmcnt(0)
	buffer_gl1_inv
	buffer_gl0_inv
	v_cmp_eq_u32_e32 vcc_lo, 0, v2
	s_and_b32 vcc_lo, vcc_lo, exec_lo
	s_delay_alu instid0(SALU_CYCLE_1)
	s_or_b32 s43, s43, vcc_lo
	s_branch .LBB6_16380
.LBB6_16385:                            ;   in Loop: Header=BB6_16314 Depth=3
	s_or_b32 exec_lo, exec_lo, s39
	s_and_saveexec_b32 vcc_lo, s40
	s_delay_alu instid0(SALU_CYCLE_1)
	s_xor_b32 vcc_lo, exec_lo, vcc_lo
	s_cbranch_execz .LBB6_16387
; %bb.16386:                            ;   in Loop: Header=BB6_16314 Depth=3
	ds_store_b32 v0, v176
	s_cbranch_execnz .LBB6_17174
.LBB6_16387:                            ;   in Loop: Header=BB6_16314 Depth=3
	s_or_b32 exec_lo, exec_lo, s38
	;;#ASMSTART
	s_wakeup
	;;#ASMEND
.LBB6_16388:                            ;   in Loop: Header=BB6_16314 Depth=3
	s_or_b32 exec_lo, exec_lo, s17
.LBB6_16389:                            ;   in Loop: Header=BB6_16314 Depth=3
	s_and_not1_saveexec_b32 s16, s16
	s_cbranch_execz .LBB6_16391
; %bb.16390:                            ;   in Loop: Header=BB6_16314 Depth=3
	;;#ASMSTART
	s_waitcnt lgkmcnt(0) vmcnt(0)
	;;#ASMEND
	s_waitcnt lgkmcnt(0)
	s_waitcnt_vscnt null, 0x0
	s_barrier
.LBB6_16391:                            ;   in Loop: Header=BB6_16314 Depth=3
	s_or_b32 exec_lo, exec_lo, s16
	v_and_b32_e32 v2, 16, v30
.LBB6_16392:                            ;   in Loop: Header=BB6_16314 Depth=3
	s_or_b32 exec_lo, exec_lo, s13
	s_delay_alu instid0(VALU_DEP_1) | instskip(SKIP_1) | instid1(SALU_CYCLE_1)
	v_cmp_ne_u32_e32 vcc_lo, 0, v2
	s_xor_b32 s13, s10, -1
	s_and_b32 s16, vcc_lo, s13
	s_delay_alu instid0(SALU_CYCLE_1)
	s_and_saveexec_b32 s13, s16
	s_cbranch_execz .LBB6_16394
; %bb.16393:                            ;   in Loop: Header=BB6_16314 Depth=3
	s_waitcnt lgkmcnt(0)
	s_waitcnt_vscnt null, 0x0
	flat_store_b32 v[70:71], v176
.LBB6_16394:                            ;   in Loop: Header=BB6_16314 Depth=3
	s_or_b32 exec_lo, exec_lo, s13
	v_and_b32_e32 v2, 48, v30
	s_mov_b32 s13, exec_lo
	s_delay_alu instid0(VALU_DEP_1)
	v_cmpx_ne_u32_e32 0, v2
	s_cbranch_execz .LBB6_16396
; %bb.16395:                            ;   in Loop: Header=BB6_16314 Depth=3
	v_add_co_u32 v66, vcc_lo, v66, 2
	v_add_co_ci_u32_e32 v67, vcc_lo, 0, v67, vcc_lo
	s_waitcnt lgkmcnt(0)
	s_waitcnt_vscnt null, 0x0
	flat_store_b64 v[64:65], v[66:67]
.LBB6_16396:                            ;   in Loop: Header=BB6_16314 Depth=3
	s_or_b32 exec_lo, exec_lo, s13
	v_add_nc_u32_e32 v16, v12, v16
	s_mov_b32 s13, 0
	s_and_not1_b32 exec_lo, exec_lo, s15
	s_cbranch_execnz .LBB6_16314
; %bb.16397:                            ;   in Loop: Header=BB6_16105 Depth=2
	s_or_b32 exec_lo, exec_lo, s15
.LBB6_16398:                            ;   in Loop: Header=BB6_16105 Depth=2
	s_delay_alu instid0(SALU_CYCLE_1)
	s_or_b32 exec_lo, exec_lo, s14
	s_add_i32 s13, s37, 1
	s_cmp_eq_u32 s37, s31
	s_cbranch_scc1 .LBB6_16400
; %bb.16399:                            ;   in Loop: Header=BB6_16105 Depth=2
	s_mov_b32 s37, s13
	s_branch .LBB6_16105
.LBB6_16400:                            ;   in Loop: Header=BB6_51 Depth=1
	s_mov_b32 s13, s36
	v_mul_lo_u32 v10, v96, s34
	v_mul_lo_u32 v2, v97, s13
	v_mad_u64_u32 v[8:9], null, v96, s13, 0
	v_mov_b32_e32 v14, 0
	s_mov_b32 s16, 0
	s_delay_alu instid0(VALU_DEP_2) | instskip(NEXT) | instid1(VALU_DEP_3)
	v_add3_u32 v9, v9, v10, v2
	v_sub_co_u32 v10, vcc_lo, v98, v8
	s_delay_alu instid0(VALU_DEP_2) | instskip(NEXT) | instid1(VALU_DEP_1)
	v_sub_co_ci_u32_e32 v11, vcc_lo, v99, v9, vcc_lo
	v_cmp_lt_i64_e32 vcc_lo, v[96:97], v[10:11]
	v_cndmask_b32_e32 v10, v10, v96, vcc_lo
	s_delay_alu instid0(VALU_DEP_1) | instskip(NEXT) | instid1(VALU_DEP_1)
	v_max_i32_e32 v12, 0, v10
	v_add_nc_u32_e32 v2, 31, v12
	s_delay_alu instid0(VALU_DEP_1) | instskip(NEXT) | instid1(VALU_DEP_1)
	v_lshrrev_b32_e32 v2, 1, v2
	v_and_b32_e32 v11, 0x3ffffff0, v2
	v_cmp_lt_i32_e32 vcc_lo, 0, v10
	v_mov_b32_e32 v2, 0
	s_delay_alu instid0(VALU_DEP_3) | instskip(SKIP_1) | instid1(SALU_CYCLE_1)
	v_max_i32_e32 v13, s28, v11
	s_and_b32 s13, s30, vcc_lo
	s_and_saveexec_b32 s15, s13
	s_cbranch_execz .LBB6_16561
; %bb.16401:                            ;   in Loop: Header=BB6_51 Depth=1
	v_add_co_u32 v15, vcc_lo, v8, v177
	s_waitcnt vmcnt(0) lgkmcnt(1)
	v_add_co_ci_u32_e32 v16, vcc_lo, v9, v178, vcc_lo
	v_mov_b32_e32 v14, 0
	s_mov_b32 s37, 1
	s_mov_b32 s17, -1
.LBB6_16402:                            ;   Parent Loop BB6_51 Depth=1
                                        ; =>  This Loop Header: Depth=2
                                        ;       Child Loop BB6_16411 Depth 3
                                        ;       Child Loop BB6_16438 Depth 3
	;; [unrolled: 1-line block ×9, first 2 shown]
	s_and_saveexec_b32 s14, s0
	s_cbranch_execz .LBB6_16405
; %bb.16403:                            ;   in Loop: Header=BB6_16402 Depth=2
	s_cbranch_execnz .LBB6_16816
; %bb.16404:                            ;   in Loop: Header=BB6_16402 Depth=2
	ds_load_b128 v[8:11], v0
	v_ashrrev_i32_e32 v2, 31, v14
	s_waitcnt lgkmcnt(0)
	v_add_co_u32 v17, vcc_lo, v10, v15
	v_add_co_ci_u32_e32 v18, vcc_lo, v11, v16, vcc_lo
	v_add_co_u32 v8, vcc_lo, v8, v15
	v_add_co_ci_u32_e32 v9, vcc_lo, v9, v16, vcc_lo
	s_delay_alu instid0(VALU_DEP_4) | instskip(NEXT) | instid1(VALU_DEP_4)
	v_add_co_u32 v17, vcc_lo, v17, v14
	v_add_co_ci_u32_e32 v18, vcc_lo, v18, v2, vcc_lo
	v_cmp_ne_u64_e32 vcc_lo, 0, v[10:11]
	v_add_co_u32 v8, s13, v8, v14
	s_delay_alu instid0(VALU_DEP_1) | instskip(NEXT) | instid1(VALU_DEP_4)
	v_add_co_ci_u32_e64 v9, s13, v9, v2, s13
	v_dual_cndmask_b32 v11, 0, v18 :: v_dual_cndmask_b32 v10, 0, v17
	ds_store_b64 v0, v[8:9]
	ds_store_b64 v0, v[10:11]
.LBB6_16405:                            ;   in Loop: Header=BB6_16402 Depth=2
	s_or_b32 exec_lo, exec_lo, s14
	v_and_b32_e32 v2, 4, v30
	s_mov_b32 s14, -1
	s_mov_b32 s13, exec_lo
	s_delay_alu instid0(VALU_DEP_1)
	v_cmpx_ne_u32_e32 0, v2
	s_cbranch_execz .LBB6_16419
; %bb.16406:                            ;   in Loop: Header=BB6_16402 Depth=2
	v_add_co_u32 v8, vcc_lo, v66, 2
	v_add_co_ci_u32_e32 v9, vcc_lo, 0, v67, vcc_lo
	v_mov_b32_e32 v2, 1
	s_mov_b32 s14, exec_lo
	s_delay_alu instid0(VALU_DEP_2)
	v_cmpx_lt_u64_e64 v[82:83], v[8:9]
	s_cbranch_execz .LBB6_16418
; %bb.16407:                            ;   in Loop: Header=BB6_16402 Depth=2
	v_mov_b32_e32 v2, 0
	s_mov_b32 s38, 0
                                        ; implicit-def: $sgpr39
	s_branch .LBB6_16411
.LBB6_16408:                            ;   in Loop: Header=BB6_16411 Depth=3
	s_or_b32 exec_lo, exec_lo, s43
	v_mov_b32_e32 v10, 0
	s_or_not1_b32 s42, s42, exec_lo
.LBB6_16409:                            ;   in Loop: Header=BB6_16411 Depth=3
	s_or_b32 exec_lo, exec_lo, s41
	s_delay_alu instid0(VALU_DEP_1) | instskip(SKIP_2) | instid1(SALU_CYCLE_1)
	v_mov_b32_e32 v2, v10
	s_and_not1_b32 vcc_lo, s39, exec_lo
	s_and_b32 s39, s42, exec_lo
	s_or_b32 s39, vcc_lo, s39
.LBB6_16410:                            ;   in Loop: Header=BB6_16411 Depth=3
	s_or_b32 exec_lo, exec_lo, s40
	s_waitcnt vmcnt(0) lgkmcnt(0)
	v_cmp_ge_u64_e32 vcc_lo, v[82:83], v[8:9]
	s_xor_b32 s40, s39, -1
	s_delay_alu instid0(SALU_CYCLE_1) | instskip(NEXT) | instid1(SALU_CYCLE_1)
	s_or_b32 vcc_lo, s40, vcc_lo
	s_and_b32 vcc_lo, exec_lo, vcc_lo
	s_delay_alu instid0(SALU_CYCLE_1) | instskip(NEXT) | instid1(SALU_CYCLE_1)
	s_or_b32 s38, vcc_lo, s38
	s_and_not1_b32 exec_lo, exec_lo, s38
	s_cbranch_execz .LBB6_16417
.LBB6_16411:                            ;   Parent Loop BB6_51 Depth=1
                                        ;     Parent Loop BB6_16402 Depth=2
                                        ; =>    This Inner Loop Header: Depth=3
	s_sleep 1
	flat_load_b64 v[82:83], v[64:65] glc
	v_and_b32_e32 v10, 64, v30
	s_and_not1_b32 s39, s39, exec_lo
	s_mov_b32 s40, exec_lo
	s_delay_alu instid0(VALU_DEP_1)
	v_cmpx_eq_u32_e32 0, v10
	s_cbranch_execz .LBB6_16410
; %bb.16412:                            ;   in Loop: Header=BB6_16411 Depth=3
	v_add_nc_u32_e32 v10, 1, v2
	s_mov_b32 s42, -1
	s_mov_b32 s41, exec_lo
	v_cmpx_lt_i32_e32 0x270e, v2
	s_cbranch_execz .LBB6_16409
; %bb.16413:                            ;   in Loop: Header=BB6_16411 Depth=3
	s_cbranch_execnz .LBB6_16862
; %bb.16414:                            ;   in Loop: Header=BB6_16411 Depth=3
	ds_load_b64 v[10:11], v0
	s_mov_b32 s43, exec_lo
	s_waitcnt vmcnt(0) lgkmcnt(0)
	s_waitcnt_vscnt null, 0x0
	flat_load_b32 v2, v[10:11] glc
	s_waitcnt vmcnt(0) lgkmcnt(0)
	buffer_gl1_inv
	buffer_gl0_inv
	v_cmpx_ne_u32_e32 0, v2
	s_cbranch_execz .LBB6_16408
; %bb.16415:                            ;   in Loop: Header=BB6_16411 Depth=3
	ds_store_b32 v0, v2
	s_cbranch_execnz .LBB6_16932
; %bb.16416:                            ;   in Loop: Header=BB6_16411 Depth=3
	v_or_b32_e32 v30, 64, v30
	s_xor_b32 s42, exec_lo, -1
	s_branch .LBB6_16408
.LBB6_16417:                            ;   in Loop: Header=BB6_16402 Depth=2
	s_or_b32 exec_lo, exec_lo, s38
	v_and_b32_e32 v2, 4, v30
.LBB6_16418:                            ;   in Loop: Header=BB6_16402 Depth=2
	s_or_b32 exec_lo, exec_lo, s14
	s_delay_alu instid0(VALU_DEP_1)
	v_cmp_eq_u32_e32 vcc_lo, 0, v2
	;;#ASMSTART
	s_wakeup
	;;#ASMEND
	s_or_not1_b32 s14, vcc_lo, exec_lo
.LBB6_16419:                            ;   in Loop: Header=BB6_16402 Depth=2
	s_or_b32 exec_lo, exec_lo, s13
	s_xor_b32 s13, s14, -1
	s_delay_alu instid0(SALU_CYCLE_1)
	s_and_saveexec_b32 s14, s13
	s_cbranch_execz .LBB6_16429
; %bb.16420:                            ;   in Loop: Header=BB6_16402 Depth=2
	v_and_b32_e32 v2, 0x100, v30
	s_mov_b32 s13, -1
                                        ; implicit-def: $vgpr8_vgpr9
	s_delay_alu instid0(VALU_DEP_1)
	v_cmp_ne_u32_e32 vcc_lo, 0, v2
	v_and_b32_e32 v2, 7, v66
	s_and_saveexec_b32 s38, vcc_lo
	s_cbranch_execz .LBB6_16424
; %bb.16421:                            ;   in Loop: Header=BB6_16402 Depth=2
	s_delay_alu instid0(VALU_DEP_1) | instskip(SKIP_4) | instid1(VALU_DEP_1)
	v_mad_u64_u32 v[10:11], null, v2, 24, v[6:7]
	flat_load_b32 v8, v[10:11]
	s_waitcnt vmcnt(0) lgkmcnt(0)
	v_cmp_ne_u32_e32 vcc_lo, 1, v8
	v_cmp_eq_u32_e64 s13, 1, v8
                                        ; implicit-def: $vgpr8_vgpr9
	s_and_saveexec_b32 s39, s13
	s_cbranch_execz .LBB6_16423
; %bb.16422:                            ;   in Loop: Header=BB6_16402 Depth=2
	flat_load_b32 v8, v[10:11] offset:4 glc
	s_waitcnt vmcnt(0) lgkmcnt(0)
	v_ashrrev_i32_e32 v9, 31, v8
.LBB6_16423:                            ;   in Loop: Header=BB6_16402 Depth=2
	s_or_b32 exec_lo, exec_lo, s39
	s_delay_alu instid0(SALU_CYCLE_1)
	s_or_not1_b32 s13, vcc_lo, exec_lo
.LBB6_16424:                            ;   in Loop: Header=BB6_16402 Depth=2
	s_or_b32 exec_lo, exec_lo, s38
	s_and_saveexec_b32 vcc_lo, s13
; %bb.16425:                            ;   in Loop: Header=BB6_16402 Depth=2
	v_mad_i64_i32 v[8:9], null, v2, v118, 0
; %bb.16426:                            ;   in Loop: Header=BB6_16402 Depth=2
	s_or_b32 exec_lo, exec_lo, vcc_lo
	s_delay_alu instid0(VALU_DEP_1) | instskip(SKIP_1) | instid1(VALU_DEP_3)
	v_add_co_u32 v8, vcc_lo, v68, v8
	v_and_b32_e32 v2, 0x2000, v30
	v_add_co_ci_u32_e32 v9, vcc_lo, v69, v9, vcc_lo
	s_mov_b32 s13, exec_lo
	ds_store_b64 v0, v[8:9] offset:720
	v_cmpx_ne_u32_e32 0, v2
	s_cbranch_execz .LBB6_16428
; %bb.16427:                            ;   in Loop: Header=BB6_16402 Depth=2
	ds_load_b64 v[8:9], v0 offset:584
	s_waitcnt lgkmcnt(0)
	v_add_co_u32 v8, vcc_lo, v8, 1
	v_add_co_ci_u32_e32 v9, vcc_lo, 0, v9, vcc_lo
	ds_store_b64 v0, v[8:9] offset:584
.LBB6_16428:                            ;   in Loop: Header=BB6_16402 Depth=2
	s_or_b32 exec_lo, exec_lo, s13
	v_add_co_u32 v66, vcc_lo, v66, 2
	v_add_co_ci_u32_e32 v67, vcc_lo, 0, v67, vcc_lo
.LBB6_16429:                            ;   in Loop: Header=BB6_16402 Depth=2
	s_or_b32 exec_lo, exec_lo, s14
	s_and_saveexec_b32 s13, s3
	s_cbranch_execz .LBB6_16451
; %bb.16430:                            ;   in Loop: Header=BB6_16402 Depth=2
	s_and_saveexec_b32 s14, s4
	s_delay_alu instid0(SALU_CYCLE_1)
	s_xor_b32 s14, exec_lo, s14
	s_cbranch_execz .LBB6_16448
; %bb.16431:                            ;   in Loop: Header=BB6_16402 Depth=2
	s_and_saveexec_b32 s38, s1
	s_cbranch_execz .LBB6_16447
; %bb.16432:                            ;   in Loop: Header=BB6_16402 Depth=2
	s_mov_b32 s40, exec_lo
	s_mov_b32 s39, exec_lo
	v_mbcnt_lo_u32_b32 v2, s40, 0
	s_waitcnt lgkmcnt(0)
	s_waitcnt_vscnt null, 0x0
	buffer_gl1_inv
	buffer_gl0_inv
	v_cmpx_eq_u32_e32 0, v2
	s_cbranch_execz .LBB6_16434
; %bb.16433:                            ;   in Loop: Header=BB6_16402 Depth=2
	s_bcnt1_i32_b32 vcc_lo, s40
	s_delay_alu instid0(SALU_CYCLE_1)
	v_mov_b32_e32 v2, vcc_lo
	ds_add_u64 v0, v[2:3]
	s_cbranch_execnz .LBB6_16974
.LBB6_16434:                            ;   in Loop: Header=BB6_16402 Depth=2
	s_or_b32 exec_lo, exec_lo, s39
	s_cbranch_execnz .LBB6_16942
; %bb.16435:                            ;   in Loop: Header=BB6_16402 Depth=2
	ds_load_b64 v[8:9], v0
	v_add_co_u32 v80, vcc_lo, v80, v129
	v_add_co_ci_u32_e32 v81, vcc_lo, 0, v81, vcc_lo
	s_mov_b32 s39, exec_lo
	s_waitcnt lgkmcnt(0)
	s_delay_alu instid0(VALU_DEP_1)
	v_cmpx_lt_u64_e64 v[8:9], v[80:81]
	s_cbranch_execz .LBB6_16446
; %bb.16436:                            ;   in Loop: Header=BB6_16402 Depth=2
	s_mov_b32 s40, 0
	s_mov_b32 s43, 0
                                        ; implicit-def: $sgpr41
                                        ; implicit-def: $sgpr42
	s_branch .LBB6_16438
.LBB6_16437:                            ;   in Loop: Header=BB6_16438 Depth=3
	s_or_b32 exec_lo, exec_lo, s45
	s_delay_alu instid0(SALU_CYCLE_1) | instskip(NEXT) | instid1(SALU_CYCLE_1)
	s_and_b32 vcc_lo, exec_lo, vcc_lo
	s_or_b32 s40, vcc_lo, s40
	s_and_not1_b32 vcc_lo, s41, exec_lo
	s_and_b32 s41, s42, exec_lo
	s_delay_alu instid0(SALU_CYCLE_1)
	s_or_b32 s41, vcc_lo, s41
	s_and_not1_b32 exec_lo, exec_lo, s40
	s_cbranch_execz .LBB6_16444
.LBB6_16438:                            ;   Parent Loop BB6_51 Depth=1
                                        ;     Parent Loop BB6_16402 Depth=2
                                        ; =>    This Inner Loop Header: Depth=3
	s_add_i32 s43, s43, 1
                                        ; implicit-def: $sgpr45
	s_delay_alu instid0(SALU_CYCLE_1) | instskip(SKIP_1) | instid1(SALU_CYCLE_1)
	s_cmpk_lg_i32 s43, 0x2710
	s_cselect_b32 s44, -1, 0
	s_and_b32 vcc_lo, exec_lo, s44
	s_cbranch_vccz .LBB6_16442
.LBB6_16439:                            ;   in Loop: Header=BB6_16438 Depth=3
	s_and_not1_b32 s42, s42, exec_lo
	s_and_b32 s45, s45, exec_lo
	s_mov_b32 vcc_lo, -1
	s_or_b32 s42, s42, s45
	s_and_saveexec_b32 s45, s44
	s_cbranch_execz .LBB6_16437
; %bb.16440:                            ;   in Loop: Header=BB6_16438 Depth=3
	s_sleep 1
	s_cbranch_execnz .LBB6_17024
; %bb.16441:                            ;   in Loop: Header=BB6_16438 Depth=3
	ds_load_b64 v[8:9], v0
	s_and_not1_b32 s42, s42, exec_lo
	s_waitcnt lgkmcnt(0)
	v_cmp_ge_u64_e32 vcc_lo, v[8:9], v[80:81]
	s_or_not1_b32 vcc_lo, vcc_lo, exec_lo
	s_branch .LBB6_16437
.LBB6_16442:                            ;   in Loop: Header=BB6_16438 Depth=3
	s_cbranch_execnz .LBB6_17040
; %bb.16443:                            ;   in Loop: Header=BB6_16438 Depth=3
	ds_load_b64 v[8:9], v0
	s_and_not1_b32 s44, s44, exec_lo
	s_mov_b32 s43, 0
	s_mov_b32 s45, -1
	s_waitcnt lgkmcnt(0)
	flat_load_b32 v2, v[8:9] glc
	s_waitcnt vmcnt(0) lgkmcnt(0)
	buffer_gl1_inv
	buffer_gl0_inv
	v_cmp_eq_u32_e32 vcc_lo, 0, v2
	s_and_b32 vcc_lo, vcc_lo, exec_lo
	s_delay_alu instid0(SALU_CYCLE_1)
	s_or_b32 s44, s44, vcc_lo
	s_branch .LBB6_16439
.LBB6_16444:                            ;   in Loop: Header=BB6_16402 Depth=2
	s_or_b32 exec_lo, exec_lo, s40
	s_and_saveexec_b32 vcc_lo, s41
	s_delay_alu instid0(SALU_CYCLE_1)
	s_xor_b32 vcc_lo, exec_lo, vcc_lo
	s_cbranch_execz .LBB6_16446
; %bb.16445:                            ;   in Loop: Header=BB6_16402 Depth=2
	ds_store_b32 v0, v176
	s_cbranch_execnz .LBB6_17160
.LBB6_16446:                            ;   in Loop: Header=BB6_16402 Depth=2
	s_or_b32 exec_lo, exec_lo, s39
	;;#ASMSTART
	s_wakeup
	;;#ASMEND
.LBB6_16447:                            ;   in Loop: Header=BB6_16402 Depth=2
	s_or_b32 exec_lo, exec_lo, s38
.LBB6_16448:                            ;   in Loop: Header=BB6_16402 Depth=2
	s_and_not1_saveexec_b32 s14, s14
	s_cbranch_execz .LBB6_16450
; %bb.16449:                            ;   in Loop: Header=BB6_16402 Depth=2
	s_waitcnt lgkmcnt(0)
	s_waitcnt_vscnt null, 0x0
	buffer_gl1_inv
	buffer_gl0_inv
	s_barrier
.LBB6_16450:                            ;   in Loop: Header=BB6_16402 Depth=2
	s_or_b32 exec_lo, exec_lo, s14
.LBB6_16451:                            ;   in Loop: Header=BB6_16402 Depth=2
	s_delay_alu instid0(SALU_CYCLE_1)
	s_or_b32 exec_lo, exec_lo, s13
	s_cbranch_execnz .LBB6_16810
; %bb.16452:                            ;   in Loop: Header=BB6_16402 Depth=2
	ds_load_b32 v8, v0
	v_and_b32_e32 v2, 0x4000, v30
	s_xor_b32 s13, s2, -1
	s_delay_alu instid0(VALU_DEP_1) | instskip(SKIP_1) | instid1(SALU_CYCLE_1)
	v_cmp_ne_u32_e32 vcc_lo, 0, v2
	s_and_b32 s14, s13, vcc_lo
	s_and_saveexec_b32 s13, s14
	s_cbranch_execz .LBB6_16474
; %bb.16453:                            ;   in Loop: Header=BB6_16402 Depth=2
	s_and_saveexec_b32 s14, s4
	s_delay_alu instid0(SALU_CYCLE_1)
	s_xor_b32 s14, exec_lo, s14
	s_cbranch_execz .LBB6_16471
; %bb.16454:                            ;   in Loop: Header=BB6_16402 Depth=2
	s_and_saveexec_b32 s38, s1
	s_cbranch_execz .LBB6_16470
; %bb.16455:                            ;   in Loop: Header=BB6_16402 Depth=2
	s_mov_b32 s40, exec_lo
	s_mov_b32 s39, exec_lo
	v_mbcnt_lo_u32_b32 v2, s40, 0
	s_waitcnt lgkmcnt(0)
	s_waitcnt_vscnt null, 0x0
	buffer_gl1_inv
	buffer_gl0_inv
	v_cmpx_eq_u32_e32 0, v2
	s_cbranch_execz .LBB6_16457
; %bb.16456:                            ;   in Loop: Header=BB6_16402 Depth=2
	s_bcnt1_i32_b32 vcc_lo, s40
	s_delay_alu instid0(SALU_CYCLE_1)
	v_mov_b32_e32 v2, vcc_lo
	ds_add_u64 v0, v[2:3]
	s_cbranch_execnz .LBB6_17012
.LBB6_16457:                            ;   in Loop: Header=BB6_16402 Depth=2
	s_or_b32 exec_lo, exec_lo, s39
	s_cbranch_execnz .LBB6_16994
; %bb.16458:                            ;   in Loop: Header=BB6_16402 Depth=2
	ds_load_b64 v[9:10], v0
	v_add_co_u32 v80, vcc_lo, v80, v129
	v_add_co_ci_u32_e32 v81, vcc_lo, 0, v81, vcc_lo
	s_mov_b32 s39, exec_lo
	s_waitcnt lgkmcnt(0)
	s_delay_alu instid0(VALU_DEP_1)
	v_cmpx_lt_u64_e64 v[9:10], v[80:81]
	s_cbranch_execz .LBB6_16469
; %bb.16459:                            ;   in Loop: Header=BB6_16402 Depth=2
	s_mov_b32 s40, 0
	s_mov_b32 s43, 0
                                        ; implicit-def: $sgpr41
                                        ; implicit-def: $sgpr42
	s_branch .LBB6_16461
.LBB6_16460:                            ;   in Loop: Header=BB6_16461 Depth=3
	s_or_b32 exec_lo, exec_lo, s45
	s_delay_alu instid0(SALU_CYCLE_1) | instskip(NEXT) | instid1(SALU_CYCLE_1)
	s_and_b32 vcc_lo, exec_lo, vcc_lo
	s_or_b32 s40, vcc_lo, s40
	s_and_not1_b32 vcc_lo, s41, exec_lo
	s_and_b32 s41, s42, exec_lo
	s_delay_alu instid0(SALU_CYCLE_1)
	s_or_b32 s41, vcc_lo, s41
	s_and_not1_b32 exec_lo, exec_lo, s40
	s_cbranch_execz .LBB6_16467
.LBB6_16461:                            ;   Parent Loop BB6_51 Depth=1
                                        ;     Parent Loop BB6_16402 Depth=2
                                        ; =>    This Inner Loop Header: Depth=3
	s_add_i32 s43, s43, 1
                                        ; implicit-def: $sgpr45
	s_delay_alu instid0(SALU_CYCLE_1) | instskip(SKIP_1) | instid1(SALU_CYCLE_1)
	s_cmpk_lg_i32 s43, 0x2710
	s_cselect_b32 s44, -1, 0
	s_and_b32 vcc_lo, exec_lo, s44
	s_cbranch_vccz .LBB6_16465
.LBB6_16462:                            ;   in Loop: Header=BB6_16461 Depth=3
	s_and_not1_b32 s42, s42, exec_lo
	s_and_b32 s45, s45, exec_lo
	s_mov_b32 vcc_lo, -1
	s_or_b32 s42, s42, s45
	s_and_saveexec_b32 s45, s44
	s_cbranch_execz .LBB6_16460
; %bb.16463:                            ;   in Loop: Header=BB6_16461 Depth=3
	s_sleep 1
	s_cbranch_execnz .LBB6_17078
; %bb.16464:                            ;   in Loop: Header=BB6_16461 Depth=3
	ds_load_b64 v[9:10], v0
	s_and_not1_b32 s42, s42, exec_lo
	s_waitcnt lgkmcnt(0)
	v_cmp_ge_u64_e32 vcc_lo, v[9:10], v[80:81]
	s_or_not1_b32 vcc_lo, vcc_lo, exec_lo
	s_branch .LBB6_16460
.LBB6_16465:                            ;   in Loop: Header=BB6_16461 Depth=3
	s_cbranch_execnz .LBB6_17090
; %bb.16466:                            ;   in Loop: Header=BB6_16461 Depth=3
	ds_load_b64 v[9:10], v0
	s_and_not1_b32 s44, s44, exec_lo
	s_mov_b32 s43, 0
	s_mov_b32 s45, -1
	s_waitcnt lgkmcnt(0)
	flat_load_b32 v2, v[9:10] glc
	s_waitcnt vmcnt(0) lgkmcnt(0)
	buffer_gl1_inv
	buffer_gl0_inv
	v_cmp_eq_u32_e32 vcc_lo, 0, v2
	s_and_b32 vcc_lo, vcc_lo, exec_lo
	s_delay_alu instid0(SALU_CYCLE_1)
	s_or_b32 s44, s44, vcc_lo
	s_branch .LBB6_16462
.LBB6_16467:                            ;   in Loop: Header=BB6_16402 Depth=2
	s_or_b32 exec_lo, exec_lo, s40
	s_and_saveexec_b32 vcc_lo, s41
	s_delay_alu instid0(SALU_CYCLE_1)
	s_xor_b32 vcc_lo, exec_lo, vcc_lo
	s_cbranch_execz .LBB6_16469
; %bb.16468:                            ;   in Loop: Header=BB6_16402 Depth=2
	ds_store_b32 v0, v176
	s_cbranch_execnz .LBB6_17176
.LBB6_16469:                            ;   in Loop: Header=BB6_16402 Depth=2
	s_or_b32 exec_lo, exec_lo, s39
	;;#ASMSTART
	s_wakeup
	;;#ASMEND
.LBB6_16470:                            ;   in Loop: Header=BB6_16402 Depth=2
	s_or_b32 exec_lo, exec_lo, s38
.LBB6_16471:                            ;   in Loop: Header=BB6_16402 Depth=2
	s_and_not1_saveexec_b32 s14, s14
	s_cbranch_execz .LBB6_16473
; %bb.16472:                            ;   in Loop: Header=BB6_16402 Depth=2
	s_waitcnt lgkmcnt(0)
	s_waitcnt_vscnt null, 0x0
	buffer_gl1_inv
	buffer_gl0_inv
	s_barrier
.LBB6_16473:                            ;   in Loop: Header=BB6_16402 Depth=2
	s_or_b32 exec_lo, exec_lo, s14
.LBB6_16474:                            ;   in Loop: Header=BB6_16402 Depth=2
	s_delay_alu instid0(SALU_CYCLE_1)
	s_or_b32 exec_lo, exec_lo, s13
	s_cbranch_execnz .LBB6_16868
; %bb.16475:                            ;   in Loop: Header=BB6_16402 Depth=2
	ds_load_b64 v[9:10], v0
	v_sub_nc_u32_e32 v2, v12, v14
	v_mov_b32_e32 v17, 0
	s_delay_alu instid0(VALU_DEP_2) | instskip(SKIP_3) | instid1(SALU_CYCLE_1)
	v_min_i32_e32 v13, v13, v2
	s_waitcnt lgkmcnt(0)
	v_cmp_eq_u64_e32 vcc_lo, 0, v[9:10]
	s_or_b32 s13, vcc_lo, vcc_lo
	s_and_b32 vcc_lo, exec_lo, s13
	s_cbranch_vccnz .LBB6_16509
; %bb.16476:                            ;   in Loop: Header=BB6_16402 Depth=2
	s_mov_b32 s13, -1
	s_and_saveexec_b32 s14, s6
	s_cbranch_execz .LBB6_16478
; %bb.16477:                            ;   in Loop: Header=BB6_16402 Depth=2
	ds_load_b32 v2, v0 offset:720
	s_waitcnt lgkmcnt(0)
	v_and_b32_e32 v2, 15, v2
	s_delay_alu instid0(VALU_DEP_1)
	v_cmp_eq_u32_e32 vcc_lo, 0, v2
	s_or_not1_b32 s13, vcc_lo, exec_lo
.LBB6_16478:                            ;   in Loop: Header=BB6_16402 Depth=2
	s_or_b32 exec_lo, exec_lo, s14
	s_and_saveexec_b32 s14, s5
	s_cbranch_execz .LBB6_16480
; %bb.16479:                            ;   in Loop: Header=BB6_16402 Depth=2
	ds_load_b32 v2, v0 offset:784
	s_waitcnt lgkmcnt(0)
	v_and_b32_e32 v2, 15, v2
	s_delay_alu instid0(VALU_DEP_1) | instskip(SKIP_3) | instid1(SALU_CYCLE_1)
	v_cmp_eq_u32_e32 vcc_lo, 0, v2
	s_and_b32 vcc_lo, s13, vcc_lo
	s_and_not1_b32 s13, s13, exec_lo
	s_and_b32 vcc_lo, vcc_lo, exec_lo
	s_or_b32 s13, s13, vcc_lo
.LBB6_16480:                            ;   in Loop: Header=BB6_16402 Depth=2
	s_or_b32 exec_lo, exec_lo, s14
	v_cmp_eq_u32_e32 vcc_lo, 0, v8
	s_xor_b32 s13, s13, -1
	v_mov_b32_e32 v22, v130
	v_cndmask_b32_e64 v2, 0, 1, s13
	;;#ASMSTART
	;;#ASMEND
	v_cndmask_b32_e32 v17, 0, v13, vcc_lo
	s_delay_alu instid0(VALU_DEP_2) | instskip(SKIP_2) | instid1(VALU_DEP_3)
	v_cmp_ne_u32_e32 vcc_lo, 0, v2
	v_mov_b32_e32 v2, 0
	s_mov_b32 s13, -1
	v_dual_mov_b32 v19, v0 :: v_dual_mov_b32 v18, v17
	s_cbranch_vccnz .LBB6_16496
; %bb.16481:                            ;   in Loop: Header=BB6_16402 Depth=2
	v_ashrrev_i32_e32 v2, 31, v17
	s_mov_b32 s13, exec_lo
	s_delay_alu instid0(VALU_DEP_1) | instskip(NEXT) | instid1(VALU_DEP_1)
	v_lshrrev_b32_e32 v2, 20, v2
	v_add_nc_u32_e32 v2, v17, v2
	s_delay_alu instid0(VALU_DEP_1) | instskip(NEXT) | instid1(VALU_DEP_1)
	v_ashrrev_i32_e32 v2, 12, v2
	v_sub_nc_u32_e32 v20, v2, v130
	s_delay_alu instid0(VALU_DEP_1)
	v_cmpx_lt_i32_e32 0, v20
	s_cbranch_execz .LBB6_16486
; %bb.16482:                            ;   in Loop: Header=BB6_16402 Depth=2
	s_cbranch_execnz .LBB6_17046
; %bb.16483:                            ;   in Loop: Header=BB6_16402 Depth=2
	ds_load_b64 v[8:9], v0
	s_mov_b32 s14, 0
	s_waitcnt lgkmcnt(0)
	v_dual_mov_b32 v11, v9 :: v_dual_mov_b32 v10, v8
.LBB6_16484:                            ;   Parent Loop BB6_51 Depth=1
                                        ;     Parent Loop BB6_16402 Depth=2
                                        ; =>    This Inner Loop Header: Depth=3
	s_delay_alu instid0(VALU_DEP_1) | instskip(NEXT) | instid1(VALU_DEP_2)
	v_add_co_u32 v18, vcc_lo, v133, v10
	v_add_co_ci_u32_e32 v19, vcc_lo, v135, v11, vcc_lo
	v_sub_nc_u32_e32 v20, v20, v129
	s_clause 0x7
	global_load_b128 v[21:24], v[18:19], off slc dlc
	global_load_b128 v[32:35], v[18:19], off offset:512 slc dlc
	global_load_b128 v[36:39], v[18:19], off offset:1024 slc dlc
	;; [unrolled: 1-line block ×7, first 2 shown]
	v_add_co_u32 v18, vcc_lo, v133, v8
	v_add_co_ci_u32_e32 v19, vcc_lo, v135, v9, vcc_lo
	v_add_co_u32 v10, vcc_lo, v10, v144
	v_add_co_ci_u32_e32 v11, vcc_lo, v11, v145, vcc_lo
	;; [unrolled: 2-line block ×3, first 2 shown]
	v_cmp_gt_i32_e32 vcc_lo, 1, v20
	s_waitcnt vmcnt(7)
	global_store_b128 v[18:19], v[21:24], off glc slc dlc
	s_waitcnt vmcnt(6)
	global_store_b128 v[18:19], v[32:35], off offset:512 glc slc dlc
	s_waitcnt vmcnt(5)
	global_store_b128 v[18:19], v[36:39], off offset:1024 glc slc dlc
	;; [unrolled: 2-line block ×7, first 2 shown]
	s_or_b32 s14, vcc_lo, s14
	s_delay_alu instid0(SALU_CYCLE_1)
	s_and_not1_b32 exec_lo, exec_lo, s14
	s_cbranch_execnz .LBB6_16484
; %bb.16485:                            ;   in Loop: Header=BB6_16402 Depth=2
	s_or_b32 exec_lo, exec_lo, s14
.LBB6_16486:                            ;   in Loop: Header=BB6_16402 Depth=2
	s_delay_alu instid0(SALU_CYCLE_1) | instskip(SKIP_4) | instid1(VALU_DEP_2)
	s_or_b32 exec_lo, exec_lo, s13
	v_lshlrev_b32_e32 v10, 12, v2
	v_mov_b32_e32 v2, 0
	s_mov_b32 s13, 0
	s_mov_b32 s38, exec_lo
                                        ; implicit-def: $vgpr18
                                        ; implicit-def: $vgpr19
                                        ; implicit-def: $vgpr22
	v_cmpx_ne_u32_e64 v17, v10
	s_cbranch_execz .LBB6_16495
; %bb.16487:                            ;   in Loop: Header=BB6_16402 Depth=2
	v_lshlrev_b32_e32 v2, 5, v20
	v_sub_nc_u32_e32 v9, v17, v10
	s_mov_b32 s39, exec_lo
	s_delay_alu instid0(VALU_DEP_2) | instskip(NEXT) | instid1(VALU_DEP_2)
	v_sub_nc_u32_e32 v2, v131, v2
	v_ashrrev_i32_e32 v11, 31, v9
	s_delay_alu instid0(VALU_DEP_2) | instskip(NEXT) | instid1(VALU_DEP_2)
	v_ashrrev_i32_e32 v8, 31, v2
	v_lshrrev_b32_e32 v11, 23, v11
	s_delay_alu instid0(VALU_DEP_2) | instskip(NEXT) | instid1(VALU_DEP_2)
	v_lshrrev_b32_e32 v8, 27, v8
	v_add_nc_u32_e32 v19, v9, v11
	s_delay_alu instid0(VALU_DEP_2) | instskip(NEXT) | instid1(VALU_DEP_2)
	v_add_nc_u32_e32 v8, v2, v8
	v_and_b32_e32 v11, 0xfffffe00, v19
	v_ashrrev_i32_e32 v19, 9, v19
	s_delay_alu instid0(VALU_DEP_3) | instskip(NEXT) | instid1(VALU_DEP_3)
	v_and_b32_e32 v18, 0xffffffe0, v8
	v_sub_nc_u32_e32 v21, v9, v11
	v_ashrrev_i32_e32 v8, 5, v8
	s_delay_alu instid0(VALU_DEP_3) | instskip(NEXT) | instid1(VALU_DEP_3)
	v_sub_nc_u32_e32 v20, v2, v18
	v_cmp_lt_i32_e32 vcc_lo, 15, v21
	s_delay_alu instid0(VALU_DEP_2) | instskip(SKIP_1) | instid1(VALU_DEP_2)
	v_lshlrev_b32_e32 v2, 4, v20
	v_add_co_ci_u32_e64 v19, s13, 0, v19, vcc_lo
	v_lshl_add_u32 v18, v8, 9, v2
	s_delay_alu instid0(VALU_DEP_2) | instskip(NEXT) | instid1(VALU_DEP_2)
	v_sub_nc_u32_e32 v23, v19, v8
	v_sub_nc_u32_e32 v2, v9, v18
	s_delay_alu instid0(VALU_DEP_1)
	v_cmpx_lt_i32_e32 15, v2
	s_cbranch_execz .LBB6_16492
; %bb.16488:                            ;   in Loop: Header=BB6_16402 Depth=2
	s_cbranch_execnz .LBB6_17102
; %bb.16489:                            ;   in Loop: Header=BB6_16402 Depth=2
	ds_load_b64 v[8:9], v0
	v_add_nc_u32_e32 v18, v18, v10
	s_mov_b32 s40, 0
	s_delay_alu instid0(VALU_DEP_1)
	v_ashrrev_i32_e32 v19, 31, v18
.LBB6_16490:                            ;   Parent Loop BB6_51 Depth=1
                                        ;     Parent Loop BB6_16402 Depth=2
                                        ; =>    This Inner Loop Header: Depth=3
	s_waitcnt lgkmcnt(0)
	v_add_co_u32 v32, s13, v8, v18
	s_delay_alu instid0(VALU_DEP_1)
	v_add_co_ci_u32_e64 v33, s13, v9, v19, s13
	v_sub_nc_u32_e32 v2, v2, v132
	v_add_co_u32 v18, s14, v18, v148
	global_load_b128 v[24:27], v[32:33], off slc dlc
	v_sub_nc_u32_e32 v23, v23, v129
	v_cmp_gt_i32_e64 s13, 16, v2
	v_add_co_ci_u32_e64 v19, s14, v19, v149, s14
	s_delay_alu instid0(VALU_DEP_2)
	s_or_b32 s40, s13, s40
	s_waitcnt vmcnt(0)
	global_store_b128 v[32:33], v[24:27], off glc slc dlc
	s_and_not1_b32 exec_lo, exec_lo, s40
	s_cbranch_execnz .LBB6_16490
; %bb.16491:                            ;   in Loop: Header=BB6_16402 Depth=2
	s_or_b32 exec_lo, exec_lo, s40
.LBB6_16492:                            ;   in Loop: Header=BB6_16402 Depth=2
	s_delay_alu instid0(SALU_CYCLE_1) | instskip(SKIP_4) | instid1(VALU_DEP_2)
	s_or_b32 exec_lo, exec_lo, s39
	v_and_b32_e32 v8, 15, v17
	v_mov_b32_e32 v2, 0
	s_mov_b32 s14, 0
	s_mov_b32 s39, exec_lo
                                        ; implicit-def: $vgpr19
                                        ; implicit-def: $vgpr22
	v_cndmask_b32_e32 v18, v21, v8, vcc_lo
	s_delay_alu instid0(VALU_DEP_1)
	v_cmpx_ne_u32_e32 0, v18
; %bb.16493:                            ;   in Loop: Header=BB6_16402 Depth=2
	v_cmp_lt_i32_e64 s13, 0, v23
	v_sub_nc_u32_e32 v8, v21, v8
	s_mov_b32 s14, exec_lo
	s_delay_alu instid0(VALU_DEP_2) | instskip(NEXT) | instid1(VALU_DEP_1)
	v_cndmask_b32_e64 v2, 0, v129, s13
	v_sub_nc_u32_e32 v2, v2, v23
	s_delay_alu instid0(VALU_DEP_1) | instskip(NEXT) | instid1(VALU_DEP_1)
	v_lshl_add_u32 v19, v2, 5, v20
	v_ashrrev_i32_e32 v2, 31, v19
	s_delay_alu instid0(VALU_DEP_1) | instskip(NEXT) | instid1(VALU_DEP_1)
	v_lshrrev_b32_e32 v2, 27, v2
	v_dual_cndmask_b32 v8, 0, v8 :: v_dual_add_nc_u32 v9, v19, v2
	s_delay_alu instid0(VALU_DEP_1) | instskip(NEXT) | instid1(VALU_DEP_2)
	v_add3_u32 v2, v11, v10, v8
	v_ashrrev_i32_e32 v22, 5, v9
; %bb.16494:                            ;   in Loop: Header=BB6_16402 Depth=2
	s_or_b32 exec_lo, exec_lo, s39
	s_delay_alu instid0(SALU_CYCLE_1)
	s_and_b32 s13, s14, exec_lo
.LBB6_16495:                            ;   in Loop: Header=BB6_16402 Depth=2
	s_or_b32 exec_lo, exec_lo, s38
.LBB6_16496:                            ;   in Loop: Header=BB6_16402 Depth=2
	s_and_saveexec_b32 s14, s13
	s_cbranch_execz .LBB6_16508
; %bb.16497:                            ;   in Loop: Header=BB6_16402 Depth=2
	s_delay_alu instid0(VALU_DEP_1) | instskip(SKIP_1) | instid1(VALU_DEP_1)
	v_ashrrev_i32_e32 v8, 31, v18
	s_mov_b32 s13, exec_lo
	v_lshrrev_b32_e32 v8, 22, v8
	s_delay_alu instid0(VALU_DEP_1) | instskip(NEXT) | instid1(VALU_DEP_1)
	v_add_nc_u32_e32 v8, v18, v8
	v_ashrrev_i32_e32 v21, 10, v8
	s_delay_alu instid0(VALU_DEP_1) | instskip(NEXT) | instid1(VALU_DEP_1)
	v_sub_nc_u32_e32 v20, v21, v22
	v_cmpx_lt_i32_e32 0, v20
	s_cbranch_execz .LBB6_16502
; %bb.16498:                            ;   in Loop: Header=BB6_16402 Depth=2
	s_cbranch_execnz .LBB6_17036
; %bb.16499:                            ;   in Loop: Header=BB6_16402 Depth=2
	v_ashrrev_i32_e32 v8, 31, v19
	s_mov_b32 s38, 0
	s_delay_alu instid0(VALU_DEP_1) | instskip(NEXT) | instid1(VALU_DEP_1)
	v_lshrrev_b32_e32 v8, 27, v8
	v_add_nc_u32_e32 v10, v19, v8
	ds_load_b64 v[8:9], v0
	v_lshlrev_b32_e32 v11, 10, v22
	v_and_b32_e32 v10, 0xffffffe0, v10
	s_delay_alu instid0(VALU_DEP_1) | instskip(NEXT) | instid1(VALU_DEP_1)
	v_sub_nc_u32_e32 v10, v19, v10
	v_add3_u32 v22, v2, v10, v11
	s_delay_alu instid0(VALU_DEP_1)
	v_ashrrev_i32_e32 v23, 31, v22
	s_waitcnt lgkmcnt(0)
	v_dual_mov_b32 v11, v9 :: v_dual_mov_b32 v10, v8
.LBB6_16500:                            ;   Parent Loop BB6_51 Depth=1
                                        ;     Parent Loop BB6_16402 Depth=2
                                        ; =>    This Inner Loop Header: Depth=3
	s_delay_alu instid0(VALU_DEP_1) | instskip(NEXT) | instid1(VALU_DEP_2)
	v_add_co_u32 v24, vcc_lo, v22, v10
	v_add_co_ci_u32_e32 v25, vcc_lo, v23, v11, vcc_lo
	v_sub_nc_u32_e32 v20, v20, v129
	s_clause 0x1f
	flat_load_u8 v26, v[24:25] slc dlc
	flat_load_u8 v27, v[24:25] offset:32 slc dlc
	flat_load_u8 v32, v[24:25] offset:64 slc dlc
	;; [unrolled: 1-line block ×31, first 2 shown]
	v_add_co_u32 v24, vcc_lo, v22, v8
	v_add_co_ci_u32_e32 v25, vcc_lo, v23, v9, vcc_lo
	v_add_co_u32 v10, vcc_lo, v10, v151
	v_add_co_ci_u32_e32 v11, vcc_lo, v11, v160, vcc_lo
	;; [unrolled: 2-line block ×3, first 2 shown]
	v_cmp_gt_i32_e32 vcc_lo, 1, v20
	s_waitcnt vmcnt(31) lgkmcnt(31)
	flat_store_b8 v[24:25], v26 glc slc dlc
	s_waitcnt vmcnt(30) lgkmcnt(31)
	flat_store_b8 v[24:25], v27 offset:32 glc slc dlc
	s_waitcnt vmcnt(29) lgkmcnt(31)
	flat_store_b8 v[24:25], v32 offset:64 glc slc dlc
	;; [unrolled: 2-line block ×31, first 2 shown]
	s_or_b32 s38, vcc_lo, s38
	s_delay_alu instid0(SALU_CYCLE_1)
	s_and_not1_b32 exec_lo, exec_lo, s38
	s_cbranch_execnz .LBB6_16500
; %bb.16501:                            ;   in Loop: Header=BB6_16402 Depth=2
	s_or_b32 exec_lo, exec_lo, s38
.LBB6_16502:                            ;   in Loop: Header=BB6_16402 Depth=2
	s_delay_alu instid0(SALU_CYCLE_1) | instskip(SKIP_2) | instid1(VALU_DEP_1)
	s_or_b32 exec_lo, exec_lo, s13
	v_lshlrev_b32_e32 v8, 10, v21
	s_mov_b32 s38, exec_lo
	v_cmpx_ne_u32_e64 v18, v8
	s_cbranch_execz .LBB6_16507
; %bb.16503:                            ;   in Loop: Header=BB6_16402 Depth=2
	v_ashrrev_i32_e32 v9, 31, v19
	v_lshlrev_b32_e32 v10, 5, v20
	s_delay_alu instid0(VALU_DEP_2) | instskip(NEXT) | instid1(VALU_DEP_1)
	v_lshrrev_b32_e32 v9, 27, v9
	v_add_nc_u32_e32 v9, v19, v9
	s_delay_alu instid0(VALU_DEP_1) | instskip(NEXT) | instid1(VALU_DEP_1)
	v_and_b32_e32 v9, 0xffffffe0, v9
	v_sub_nc_u32_e32 v9, v19, v9
	s_delay_alu instid0(VALU_DEP_1) | instskip(NEXT) | instid1(VALU_DEP_1)
	v_sub_nc_u32_e32 v9, v9, v10
	v_add_nc_u32_e32 v11, v8, v9
	s_delay_alu instid0(VALU_DEP_1) | instskip(NEXT) | instid1(VALU_DEP_1)
	v_sub_nc_u32_e32 v10, v18, v11
	v_cmp_lt_i32_e32 vcc_lo, 0, v10
	s_and_b32 exec_lo, exec_lo, vcc_lo
	s_cbranch_execz .LBB6_16507
; %bb.16504:                            ;   in Loop: Header=BB6_16402 Depth=2
	s_cbranch_execnz .LBB6_17096
; %bb.16505:                            ;   in Loop: Header=BB6_16402 Depth=2
	ds_load_b64 v[8:9], v0
	v_add_nc_u32_e32 v2, v11, v2
	s_mov_b32 s39, 0
	s_delay_alu instid0(VALU_DEP_1)
	v_ashrrev_i32_e32 v11, 31, v2
.LBB6_16506:                            ;   Parent Loop BB6_51 Depth=1
                                        ;     Parent Loop BB6_16402 Depth=2
                                        ; =>    This Inner Loop Header: Depth=3
	s_waitcnt lgkmcnt(0)
	v_add_co_u32 v18, vcc_lo, v8, v2
	s_delay_alu instid0(VALU_DEP_2)
	v_add_co_ci_u32_e32 v19, vcc_lo, v9, v11, vcc_lo
	v_sub_nc_u32_e32 v10, v10, v147
	v_add_co_u32 v2, s13, v2, v162
	flat_load_u8 v20, v[18:19] slc dlc
	v_add_co_ci_u32_e64 v11, s13, v11, v163, s13
	v_cmp_gt_i32_e32 vcc_lo, 1, v10
	s_or_b32 s39, vcc_lo, s39
	s_waitcnt vmcnt(0) lgkmcnt(0)
	flat_store_b8 v[18:19], v20 glc slc dlc
	s_and_not1_b32 exec_lo, exec_lo, s39
	s_cbranch_execnz .LBB6_16506
.LBB6_16507:                            ;   in Loop: Header=BB6_16402 Depth=2
	s_or_b32 exec_lo, exec_lo, s38
.LBB6_16508:                            ;   in Loop: Header=BB6_16402 Depth=2
	s_delay_alu instid0(SALU_CYCLE_1)
	s_or_b32 exec_lo, exec_lo, s14
.LBB6_16509:                            ;   in Loop: Header=BB6_16402 Depth=2
	s_and_saveexec_b32 s13, s3
	s_cbranch_execz .LBB6_16531
; %bb.16510:                            ;   in Loop: Header=BB6_16402 Depth=2
	s_and_saveexec_b32 s14, s4
	s_delay_alu instid0(SALU_CYCLE_1)
	s_xor_b32 s14, exec_lo, s14
	s_cbranch_execz .LBB6_16528
; %bb.16511:                            ;   in Loop: Header=BB6_16402 Depth=2
	s_and_saveexec_b32 s38, s1
	s_cbranch_execz .LBB6_16527
; %bb.16512:                            ;   in Loop: Header=BB6_16402 Depth=2
	s_mov_b32 s40, exec_lo
	s_mov_b32 s39, exec_lo
	v_mbcnt_lo_u32_b32 v2, s40, 0
	s_waitcnt lgkmcnt(0)
	s_waitcnt_vscnt null, 0x0
	buffer_gl1_inv
	buffer_gl0_inv
	v_cmpx_eq_u32_e32 0, v2
	s_cbranch_execz .LBB6_16514
; %bb.16513:                            ;   in Loop: Header=BB6_16402 Depth=2
	s_bcnt1_i32_b32 vcc_lo, s40
	s_delay_alu instid0(SALU_CYCLE_1)
	v_mov_b32_e32 v2, vcc_lo
	ds_add_u64 v0, v[2:3]
	s_cbranch_execnz .LBB6_17082
.LBB6_16514:                            ;   in Loop: Header=BB6_16402 Depth=2
	s_or_b32 exec_lo, exec_lo, s39
	s_cbranch_execnz .LBB6_17056
; %bb.16515:                            ;   in Loop: Header=BB6_16402 Depth=2
	ds_load_b64 v[8:9], v0
	v_add_co_u32 v80, vcc_lo, v80, v129
	v_add_co_ci_u32_e32 v81, vcc_lo, 0, v81, vcc_lo
	s_mov_b32 s39, exec_lo
	s_waitcnt lgkmcnt(0)
	s_delay_alu instid0(VALU_DEP_1)
	v_cmpx_lt_u64_e64 v[8:9], v[80:81]
	s_cbranch_execz .LBB6_16526
; %bb.16516:                            ;   in Loop: Header=BB6_16402 Depth=2
	s_mov_b32 s40, 0
	s_mov_b32 s43, 0
                                        ; implicit-def: $sgpr41
                                        ; implicit-def: $sgpr42
	s_branch .LBB6_16518
.LBB6_16517:                            ;   in Loop: Header=BB6_16518 Depth=3
	s_or_b32 exec_lo, exec_lo, s45
	s_delay_alu instid0(SALU_CYCLE_1) | instskip(NEXT) | instid1(SALU_CYCLE_1)
	s_and_b32 vcc_lo, exec_lo, vcc_lo
	s_or_b32 s40, vcc_lo, s40
	s_and_not1_b32 vcc_lo, s41, exec_lo
	s_and_b32 s41, s42, exec_lo
	s_delay_alu instid0(SALU_CYCLE_1)
	s_or_b32 s41, vcc_lo, s41
	s_and_not1_b32 exec_lo, exec_lo, s40
	s_cbranch_execz .LBB6_16524
.LBB6_16518:                            ;   Parent Loop BB6_51 Depth=1
                                        ;     Parent Loop BB6_16402 Depth=2
                                        ; =>    This Inner Loop Header: Depth=3
	s_add_i32 s43, s43, 1
                                        ; implicit-def: $sgpr45
	s_delay_alu instid0(SALU_CYCLE_1) | instskip(SKIP_1) | instid1(SALU_CYCLE_1)
	s_cmpk_lg_i32 s43, 0x2710
	s_cselect_b32 s44, -1, 0
	s_and_b32 vcc_lo, exec_lo, s44
	s_cbranch_vccnz .LBB6_16521
; %bb.16519:                            ;   in Loop: Header=BB6_16518 Depth=3
	s_cbranch_execnz .LBB6_17126
; %bb.16520:                            ;   in Loop: Header=BB6_16518 Depth=3
	ds_load_b64 v[8:9], v0
	s_and_not1_b32 s44, s44, exec_lo
	s_mov_b32 s43, 0
	s_mov_b32 s45, -1
	s_waitcnt lgkmcnt(0)
	flat_load_b32 v2, v[8:9] glc
	s_waitcnt vmcnt(0) lgkmcnt(0)
	buffer_gl1_inv
	buffer_gl0_inv
	v_cmp_eq_u32_e32 vcc_lo, 0, v2
	s_and_b32 vcc_lo, vcc_lo, exec_lo
	s_delay_alu instid0(SALU_CYCLE_1)
	s_or_b32 s44, s44, vcc_lo
.LBB6_16521:                            ;   in Loop: Header=BB6_16518 Depth=3
	s_and_not1_b32 s42, s42, exec_lo
	s_and_b32 s45, s45, exec_lo
	s_mov_b32 vcc_lo, -1
	s_or_b32 s42, s42, s45
	s_and_saveexec_b32 s45, s44
	s_cbranch_execz .LBB6_16517
; %bb.16522:                            ;   in Loop: Header=BB6_16518 Depth=3
	s_sleep 1
	s_cbranch_execnz .LBB6_17114
; %bb.16523:                            ;   in Loop: Header=BB6_16518 Depth=3
	ds_load_b64 v[8:9], v0
	s_and_not1_b32 s42, s42, exec_lo
	s_waitcnt lgkmcnt(0)
	v_cmp_ge_u64_e32 vcc_lo, v[8:9], v[80:81]
	s_or_not1_b32 vcc_lo, vcc_lo, exec_lo
	s_branch .LBB6_16517
.LBB6_16524:                            ;   in Loop: Header=BB6_16402 Depth=2
	s_or_b32 exec_lo, exec_lo, s40
	s_and_saveexec_b32 vcc_lo, s41
	s_delay_alu instid0(SALU_CYCLE_1)
	s_xor_b32 vcc_lo, exec_lo, vcc_lo
	s_cbranch_execz .LBB6_16526
; %bb.16525:                            ;   in Loop: Header=BB6_16402 Depth=2
	ds_store_b32 v0, v176
	s_cbranch_execnz .LBB6_17180
.LBB6_16526:                            ;   in Loop: Header=BB6_16402 Depth=2
	s_or_b32 exec_lo, exec_lo, s39
	;;#ASMSTART
	s_wakeup
	;;#ASMEND
.LBB6_16527:                            ;   in Loop: Header=BB6_16402 Depth=2
	s_or_b32 exec_lo, exec_lo, s38
.LBB6_16528:                            ;   in Loop: Header=BB6_16402 Depth=2
	s_and_not1_saveexec_b32 s14, s14
	s_cbranch_execz .LBB6_16530
; %bb.16529:                            ;   in Loop: Header=BB6_16402 Depth=2
	s_waitcnt lgkmcnt(0)
	s_waitcnt_vscnt null, 0x0
	buffer_gl1_inv
	buffer_gl0_inv
	s_barrier
.LBB6_16530:                            ;   in Loop: Header=BB6_16402 Depth=2
	s_or_b32 exec_lo, exec_lo, s14
.LBB6_16531:                            ;   in Loop: Header=BB6_16402 Depth=2
	s_delay_alu instid0(SALU_CYCLE_1) | instskip(SKIP_1) | instid1(SALU_CYCLE_1)
	s_or_b32 exec_lo, exec_lo, s13
	s_and_saveexec_b32 s13, s7
	s_xor_b32 s14, exec_lo, s13
	s_cbranch_execz .LBB6_16535
; %bb.16532:                            ;   in Loop: Header=BB6_16402 Depth=2
	v_and_b32_e32 v2, 16, v30
	v_cmp_lt_i32_e32 vcc_lo, 0, v17
	s_delay_alu instid0(VALU_DEP_2) | instskip(NEXT) | instid1(VALU_DEP_1)
	v_cmp_ne_u32_e64 s13, 0, v2
	s_and_b32 vcc_lo, s13, vcc_lo
	s_delay_alu instid0(SALU_CYCLE_1)
	s_and_saveexec_b32 s13, vcc_lo
	s_cbranch_execz .LBB6_16534
; %bb.16533:                            ;   in Loop: Header=BB6_16402 Depth=2
	s_waitcnt lgkmcnt(0)
	s_waitcnt_vscnt null, 0x0
	buffer_gl1_inv
	buffer_gl0_inv
.LBB6_16534:                            ;   in Loop: Header=BB6_16402 Depth=2
	s_or_b32 exec_lo, exec_lo, s13
.LBB6_16535:                            ;   in Loop: Header=BB6_16402 Depth=2
	s_and_not1_saveexec_b32 s13, s14
	s_cbranch_execz .LBB6_16557
; %bb.16536:                            ;   in Loop: Header=BB6_16402 Depth=2
	s_and_saveexec_b32 s14, s4
	s_delay_alu instid0(SALU_CYCLE_1)
	s_xor_b32 s14, exec_lo, s14
	s_cbranch_execz .LBB6_16554
; %bb.16537:                            ;   in Loop: Header=BB6_16402 Depth=2
	s_and_saveexec_b32 s38, s1
	s_cbranch_execz .LBB6_16553
; %bb.16538:                            ;   in Loop: Header=BB6_16402 Depth=2
	s_mov_b32 s40, exec_lo
	s_mov_b32 s39, exec_lo
	v_mbcnt_lo_u32_b32 v2, s40, 0
	;;#ASMSTART
	s_waitcnt lgkmcnt(0) vmcnt(0)
	;;#ASMEND
	s_delay_alu instid0(VALU_DEP_1)
	v_cmpx_eq_u32_e32 0, v2
	s_cbranch_execz .LBB6_16540
; %bb.16539:                            ;   in Loop: Header=BB6_16402 Depth=2
	s_bcnt1_i32_b32 vcc_lo, s40
	s_delay_alu instid0(SALU_CYCLE_1)
	v_mov_b32_e32 v2, vcc_lo
	ds_add_u64 v0, v[2:3]
	s_cbranch_execnz .LBB6_17086
.LBB6_16540:                            ;   in Loop: Header=BB6_16402 Depth=2
	s_or_b32 exec_lo, exec_lo, s39
	s_cbranch_execnz .LBB6_17066
; %bb.16541:                            ;   in Loop: Header=BB6_16402 Depth=2
	ds_load_b64 v[8:9], v0
	v_add_co_u32 v80, vcc_lo, v80, v129
	v_add_co_ci_u32_e32 v81, vcc_lo, 0, v81, vcc_lo
	s_mov_b32 s39, exec_lo
	s_waitcnt lgkmcnt(0)
	s_delay_alu instid0(VALU_DEP_1)
	v_cmpx_lt_u64_e64 v[8:9], v[80:81]
	s_cbranch_execz .LBB6_16552
; %bb.16542:                            ;   in Loop: Header=BB6_16402 Depth=2
	s_mov_b32 s40, 0
	s_mov_b32 s43, 0
                                        ; implicit-def: $sgpr41
                                        ; implicit-def: $sgpr42
	s_branch .LBB6_16544
.LBB6_16543:                            ;   in Loop: Header=BB6_16544 Depth=3
	s_or_b32 exec_lo, exec_lo, s45
	s_delay_alu instid0(SALU_CYCLE_1) | instskip(NEXT) | instid1(SALU_CYCLE_1)
	s_and_b32 vcc_lo, exec_lo, vcc_lo
	s_or_b32 s40, vcc_lo, s40
	s_and_not1_b32 vcc_lo, s41, exec_lo
	s_and_b32 s41, s42, exec_lo
	s_delay_alu instid0(SALU_CYCLE_1)
	s_or_b32 s41, vcc_lo, s41
	s_and_not1_b32 exec_lo, exec_lo, s40
	s_cbranch_execz .LBB6_16550
.LBB6_16544:                            ;   Parent Loop BB6_51 Depth=1
                                        ;     Parent Loop BB6_16402 Depth=2
                                        ; =>    This Inner Loop Header: Depth=3
	s_add_i32 s43, s43, 1
                                        ; implicit-def: $sgpr45
	s_delay_alu instid0(SALU_CYCLE_1) | instskip(SKIP_1) | instid1(SALU_CYCLE_1)
	s_cmpk_lg_i32 s43, 0x2710
	s_cselect_b32 s44, -1, 0
	s_and_b32 vcc_lo, exec_lo, s44
	s_cbranch_vccz .LBB6_16548
.LBB6_16545:                            ;   in Loop: Header=BB6_16544 Depth=3
	s_and_not1_b32 s42, s42, exec_lo
	s_and_b32 s45, s45, exec_lo
	s_mov_b32 vcc_lo, -1
	s_or_b32 s42, s42, s45
	s_and_saveexec_b32 s45, s44
	s_cbranch_execz .LBB6_16543
; %bb.16546:                            ;   in Loop: Header=BB6_16544 Depth=3
	s_sleep 1
	s_cbranch_execnz .LBB6_17120
; %bb.16547:                            ;   in Loop: Header=BB6_16544 Depth=3
	ds_load_b64 v[8:9], v0
	s_and_not1_b32 s42, s42, exec_lo
	s_waitcnt lgkmcnt(0)
	v_cmp_ge_u64_e32 vcc_lo, v[8:9], v[80:81]
	s_or_not1_b32 vcc_lo, vcc_lo, exec_lo
	s_branch .LBB6_16543
.LBB6_16548:                            ;   in Loop: Header=BB6_16544 Depth=3
	s_cbranch_execnz .LBB6_17134
; %bb.16549:                            ;   in Loop: Header=BB6_16544 Depth=3
	ds_load_b64 v[8:9], v0
	s_and_not1_b32 s44, s44, exec_lo
	s_mov_b32 s43, 0
	s_mov_b32 s45, -1
	s_waitcnt lgkmcnt(0)
	s_waitcnt_vscnt null, 0x0
	flat_load_b32 v2, v[8:9] glc
	s_waitcnt vmcnt(0) lgkmcnt(0)
	buffer_gl1_inv
	buffer_gl0_inv
	v_cmp_eq_u32_e32 vcc_lo, 0, v2
	s_and_b32 vcc_lo, vcc_lo, exec_lo
	s_delay_alu instid0(SALU_CYCLE_1)
	s_or_b32 s44, s44, vcc_lo
	s_branch .LBB6_16545
.LBB6_16550:                            ;   in Loop: Header=BB6_16402 Depth=2
	s_or_b32 exec_lo, exec_lo, s40
	s_and_saveexec_b32 vcc_lo, s41
	s_delay_alu instid0(SALU_CYCLE_1)
	s_xor_b32 vcc_lo, exec_lo, vcc_lo
	s_cbranch_execz .LBB6_16552
; %bb.16551:                            ;   in Loop: Header=BB6_16402 Depth=2
	ds_store_b32 v0, v176
	s_cbranch_execnz .LBB6_17182
.LBB6_16552:                            ;   in Loop: Header=BB6_16402 Depth=2
	s_or_b32 exec_lo, exec_lo, s39
	;;#ASMSTART
	s_wakeup
	;;#ASMEND
.LBB6_16553:                            ;   in Loop: Header=BB6_16402 Depth=2
	s_or_b32 exec_lo, exec_lo, s38
.LBB6_16554:                            ;   in Loop: Header=BB6_16402 Depth=2
	s_and_not1_saveexec_b32 s14, s14
	s_cbranch_execz .LBB6_16556
; %bb.16555:                            ;   in Loop: Header=BB6_16402 Depth=2
	;;#ASMSTART
	s_waitcnt lgkmcnt(0) vmcnt(0)
	;;#ASMEND
	s_waitcnt lgkmcnt(0)
	s_waitcnt_vscnt null, 0x0
	s_barrier
.LBB6_16556:                            ;   in Loop: Header=BB6_16402 Depth=2
	s_or_b32 exec_lo, exec_lo, s14
.LBB6_16557:                            ;   in Loop: Header=BB6_16402 Depth=2
	s_delay_alu instid0(SALU_CYCLE_1) | instskip(SKIP_2) | instid1(VALU_DEP_1)
	s_or_b32 exec_lo, exec_lo, s13
	v_and_b32_e32 v2, 32, v30
	s_mov_b32 s13, exec_lo
	v_cmpx_ne_u32_e32 0, v2
	s_cbranch_execz .LBB6_16559
; %bb.16558:                            ;   in Loop: Header=BB6_16402 Depth=2
	v_add_co_u32 v66, vcc_lo, v66, 2
	v_add_co_ci_u32_e32 v67, vcc_lo, 0, v67, vcc_lo
	s_waitcnt lgkmcnt(0)
	s_waitcnt_vscnt null, 0x0
	flat_store_b64 v[64:65], v[66:67]
.LBB6_16559:                            ;   in Loop: Header=BB6_16402 Depth=2
	s_or_b32 exec_lo, exec_lo, s13
	v_add_nc_u32_e32 v14, v13, v14
	s_xor_b32 s13, s17, -1
	v_mov_b32_e32 v2, s37
	s_mov_b32 s17, 0
	s_mov_b32 s37, 2
	v_cmp_ge_i32_e32 vcc_lo, v14, v12
	s_or_b32 s13, s13, vcc_lo
	s_delay_alu instid0(SALU_CYCLE_1) | instskip(NEXT) | instid1(SALU_CYCLE_1)
	s_and_b32 s13, exec_lo, s13
	s_or_b32 s16, s13, s16
	s_delay_alu instid0(SALU_CYCLE_1)
	s_and_not1_b32 exec_lo, exec_lo, s16
	s_cbranch_execnz .LBB6_16402
; %bb.16560:                            ;   in Loop: Header=BB6_51 Depth=1
	s_or_b32 exec_lo, exec_lo, s16
.LBB6_16561:                            ;   in Loop: Header=BB6_51 Depth=1
	s_delay_alu instid0(SALU_CYCLE_1) | instskip(NEXT) | instid1(SALU_CYCLE_1)
	s_or_b32 exec_lo, exec_lo, s15
	s_mov_b32 s14, exec_lo
	v_cmpx_gt_i32_e32 2, v2
	s_cbranch_execz .LBB6_16640
; %bb.16562:                            ;   in Loop: Header=BB6_51 Depth=1
	v_cmp_eq_u32_e64 s13, 0, v2
	s_mov_b32 s15, 0
.LBB6_16563:                            ;   Parent Loop BB6_51 Depth=1
                                        ; =>  This Loop Header: Depth=2
                                        ;       Child Loop BB6_16569 Depth 3
                                        ;       Child Loop BB6_16596 Depth 3
	;; [unrolled: 1-line block ×3, first 2 shown]
	v_and_b32_e32 v2, 4, v30
	s_mov_b32 s17, -1
	s_mov_b32 s16, exec_lo
	s_delay_alu instid0(VALU_DEP_1)
	v_cmpx_ne_u32_e32 0, v2
	s_cbranch_execz .LBB6_16577
; %bb.16564:                            ;   in Loop: Header=BB6_16563 Depth=2
	v_add_co_u32 v8, vcc_lo, v66, 2
	v_add_co_ci_u32_e32 v9, vcc_lo, 0, v67, vcc_lo
	v_mov_b32_e32 v2, 1
	s_mov_b32 s17, exec_lo
	s_delay_alu instid0(VALU_DEP_2)
	v_cmpx_lt_u64_e64 v[82:83], v[8:9]
	s_cbranch_execz .LBB6_16576
; %bb.16565:                            ;   in Loop: Header=BB6_16563 Depth=2
	v_mov_b32_e32 v2, 0
	s_mov_b32 s37, 0
                                        ; implicit-def: $sgpr38
	s_branch .LBB6_16569
.LBB6_16566:                            ;   in Loop: Header=BB6_16569 Depth=3
	s_or_b32 exec_lo, exec_lo, s42
	v_mov_b32_e32 v10, 0
	s_or_not1_b32 s41, s41, exec_lo
.LBB6_16567:                            ;   in Loop: Header=BB6_16569 Depth=3
	s_or_b32 exec_lo, exec_lo, s40
	s_delay_alu instid0(VALU_DEP_1) | instskip(SKIP_2) | instid1(SALU_CYCLE_1)
	v_mov_b32_e32 v2, v10
	s_and_not1_b32 vcc_lo, s38, exec_lo
	s_and_b32 s38, s41, exec_lo
	s_or_b32 s38, vcc_lo, s38
.LBB6_16568:                            ;   in Loop: Header=BB6_16569 Depth=3
	s_or_b32 exec_lo, exec_lo, s39
	s_waitcnt vmcnt(0) lgkmcnt(0)
	v_cmp_ge_u64_e32 vcc_lo, v[82:83], v[8:9]
	s_xor_b32 s39, s38, -1
	s_delay_alu instid0(SALU_CYCLE_1) | instskip(NEXT) | instid1(SALU_CYCLE_1)
	s_or_b32 vcc_lo, s39, vcc_lo
	s_and_b32 vcc_lo, exec_lo, vcc_lo
	s_delay_alu instid0(SALU_CYCLE_1) | instskip(NEXT) | instid1(SALU_CYCLE_1)
	s_or_b32 s37, vcc_lo, s37
	s_and_not1_b32 exec_lo, exec_lo, s37
	s_cbranch_execz .LBB6_16575
.LBB6_16569:                            ;   Parent Loop BB6_51 Depth=1
                                        ;     Parent Loop BB6_16563 Depth=2
                                        ; =>    This Inner Loop Header: Depth=3
	s_sleep 1
	flat_load_b64 v[82:83], v[64:65] glc
	v_and_b32_e32 v10, 64, v30
	s_and_not1_b32 s38, s38, exec_lo
	s_mov_b32 s39, exec_lo
	s_delay_alu instid0(VALU_DEP_1)
	v_cmpx_eq_u32_e32 0, v10
	s_cbranch_execz .LBB6_16568
; %bb.16570:                            ;   in Loop: Header=BB6_16569 Depth=3
	v_add_nc_u32_e32 v10, 1, v2
	s_mov_b32 s41, -1
	s_mov_b32 s40, exec_lo
	v_cmpx_lt_i32_e32 0x270e, v2
	s_cbranch_execz .LBB6_16567
; %bb.16571:                            ;   in Loop: Header=BB6_16569 Depth=3
	s_cbranch_execnz .LBB6_16854
; %bb.16572:                            ;   in Loop: Header=BB6_16569 Depth=3
	ds_load_b64 v[10:11], v0
	s_mov_b32 s42, exec_lo
	s_waitcnt vmcnt(0) lgkmcnt(0)
	s_waitcnt_vscnt null, 0x0
	flat_load_b32 v2, v[10:11] glc
	s_waitcnt vmcnt(0) lgkmcnt(0)
	buffer_gl1_inv
	buffer_gl0_inv
	v_cmpx_ne_u32_e32 0, v2
	s_cbranch_execz .LBB6_16566
; %bb.16573:                            ;   in Loop: Header=BB6_16569 Depth=3
	ds_store_b32 v0, v2
	s_cbranch_execnz .LBB6_16928
; %bb.16574:                            ;   in Loop: Header=BB6_16569 Depth=3
	v_or_b32_e32 v30, 64, v30
	s_xor_b32 s41, exec_lo, -1
	s_branch .LBB6_16566
.LBB6_16575:                            ;   in Loop: Header=BB6_16563 Depth=2
	s_or_b32 exec_lo, exec_lo, s37
	v_and_b32_e32 v2, 4, v30
.LBB6_16576:                            ;   in Loop: Header=BB6_16563 Depth=2
	s_or_b32 exec_lo, exec_lo, s17
	s_delay_alu instid0(VALU_DEP_1)
	v_cmp_eq_u32_e32 vcc_lo, 0, v2
	;;#ASMSTART
	s_wakeup
	;;#ASMEND
	s_or_not1_b32 s17, vcc_lo, exec_lo
.LBB6_16577:                            ;   in Loop: Header=BB6_16563 Depth=2
	s_or_b32 exec_lo, exec_lo, s16
	s_xor_b32 s13, s13, -1
	s_delay_alu instid0(SALU_CYCLE_1) | instskip(NEXT) | instid1(SALU_CYCLE_1)
	s_and_b32 s13, exec_lo, s13
	s_or_b32 s15, s13, s15
	s_xor_b32 s13, s17, -1
	s_delay_alu instid0(SALU_CYCLE_1)
	s_and_saveexec_b32 s16, s13
	s_cbranch_execz .LBB6_16587
; %bb.16578:                            ;   in Loop: Header=BB6_16563 Depth=2
	v_and_b32_e32 v2, 0x100, v30
	s_mov_b32 s13, -1
                                        ; implicit-def: $vgpr8_vgpr9
	s_delay_alu instid0(VALU_DEP_1)
	v_cmp_ne_u32_e32 vcc_lo, 0, v2
	v_and_b32_e32 v2, 7, v66
	s_and_saveexec_b32 s17, vcc_lo
	s_cbranch_execz .LBB6_16582
; %bb.16579:                            ;   in Loop: Header=BB6_16563 Depth=2
	s_delay_alu instid0(VALU_DEP_1) | instskip(SKIP_4) | instid1(VALU_DEP_1)
	v_mad_u64_u32 v[10:11], null, v2, 24, v[6:7]
	flat_load_b32 v8, v[10:11]
	s_waitcnt vmcnt(0) lgkmcnt(0)
	v_cmp_ne_u32_e32 vcc_lo, 1, v8
	v_cmp_eq_u32_e64 s13, 1, v8
                                        ; implicit-def: $vgpr8_vgpr9
	s_and_saveexec_b32 s37, s13
	s_cbranch_execz .LBB6_16581
; %bb.16580:                            ;   in Loop: Header=BB6_16563 Depth=2
	flat_load_b32 v8, v[10:11] offset:4 glc
	s_waitcnt vmcnt(0) lgkmcnt(0)
	v_ashrrev_i32_e32 v9, 31, v8
.LBB6_16581:                            ;   in Loop: Header=BB6_16563 Depth=2
	s_or_b32 exec_lo, exec_lo, s37
	s_delay_alu instid0(SALU_CYCLE_1)
	s_or_not1_b32 s13, vcc_lo, exec_lo
.LBB6_16582:                            ;   in Loop: Header=BB6_16563 Depth=2
	s_or_b32 exec_lo, exec_lo, s17
	s_and_saveexec_b32 s17, s13
; %bb.16583:                            ;   in Loop: Header=BB6_16563 Depth=2
	v_mad_i64_i32 v[8:9], null, v2, v118, 0
; %bb.16584:                            ;   in Loop: Header=BB6_16563 Depth=2
	s_or_b32 exec_lo, exec_lo, s17
	s_delay_alu instid0(VALU_DEP_1) | instskip(SKIP_1) | instid1(VALU_DEP_3)
	v_add_co_u32 v8, vcc_lo, v68, v8
	v_and_b32_e32 v2, 0x2000, v30
	v_add_co_ci_u32_e32 v9, vcc_lo, v69, v9, vcc_lo
	s_mov_b32 s13, exec_lo
	ds_store_b64 v0, v[8:9] offset:720
	v_cmpx_ne_u32_e32 0, v2
	s_cbranch_execz .LBB6_16586
; %bb.16585:                            ;   in Loop: Header=BB6_16563 Depth=2
	ds_load_b64 v[8:9], v0 offset:584
	s_waitcnt lgkmcnt(0)
	v_add_co_u32 v8, vcc_lo, v8, 1
	v_add_co_ci_u32_e32 v9, vcc_lo, 0, v9, vcc_lo
	ds_store_b64 v0, v[8:9] offset:584
.LBB6_16586:                            ;   in Loop: Header=BB6_16563 Depth=2
	s_or_b32 exec_lo, exec_lo, s13
	v_add_co_u32 v66, vcc_lo, v66, 2
	v_add_co_ci_u32_e32 v67, vcc_lo, 0, v67, vcc_lo
.LBB6_16587:                            ;   in Loop: Header=BB6_16563 Depth=2
	s_or_b32 exec_lo, exec_lo, s16
	s_and_saveexec_b32 s13, s3
	s_cbranch_execz .LBB6_16609
; %bb.16588:                            ;   in Loop: Header=BB6_16563 Depth=2
	s_and_saveexec_b32 s16, s4
	s_delay_alu instid0(SALU_CYCLE_1)
	s_xor_b32 s16, exec_lo, s16
	s_cbranch_execz .LBB6_16606
; %bb.16589:                            ;   in Loop: Header=BB6_16563 Depth=2
	s_and_saveexec_b32 s17, s1
	s_cbranch_execz .LBB6_16605
; %bb.16590:                            ;   in Loop: Header=BB6_16563 Depth=2
	s_mov_b32 s38, exec_lo
	s_mov_b32 s37, exec_lo
	v_mbcnt_lo_u32_b32 v2, s38, 0
	s_waitcnt vmcnt(0) lgkmcnt(0)
	s_waitcnt_vscnt null, 0x0
	buffer_gl1_inv
	buffer_gl0_inv
	v_cmpx_eq_u32_e32 0, v2
	s_cbranch_execz .LBB6_16592
; %bb.16591:                            ;   in Loop: Header=BB6_16563 Depth=2
	s_bcnt1_i32_b32 vcc_lo, s38
	s_delay_alu instid0(SALU_CYCLE_1)
	v_mov_b32_e32 v2, vcc_lo
	ds_add_u64 v0, v[2:3]
	s_cbranch_execnz .LBB6_16962
.LBB6_16592:                            ;   in Loop: Header=BB6_16563 Depth=2
	s_or_b32 exec_lo, exec_lo, s37
	s_cbranch_execnz .LBB6_16936
; %bb.16593:                            ;   in Loop: Header=BB6_16563 Depth=2
	ds_load_b64 v[8:9], v0
	v_add_co_u32 v80, vcc_lo, v80, v129
	v_add_co_ci_u32_e32 v81, vcc_lo, 0, v81, vcc_lo
	s_mov_b32 s37, exec_lo
	s_waitcnt lgkmcnt(0)
	s_delay_alu instid0(VALU_DEP_1)
	v_cmpx_lt_u64_e64 v[8:9], v[80:81]
	s_cbranch_execz .LBB6_16604
; %bb.16594:                            ;   in Loop: Header=BB6_16563 Depth=2
	s_mov_b32 s38, 0
	s_mov_b32 s41, 0
                                        ; implicit-def: $sgpr39
                                        ; implicit-def: $sgpr40
	s_branch .LBB6_16596
.LBB6_16595:                            ;   in Loop: Header=BB6_16596 Depth=3
	s_or_b32 exec_lo, exec_lo, s43
	s_delay_alu instid0(SALU_CYCLE_1) | instskip(NEXT) | instid1(SALU_CYCLE_1)
	s_and_b32 vcc_lo, exec_lo, vcc_lo
	s_or_b32 s38, vcc_lo, s38
	s_and_not1_b32 vcc_lo, s39, exec_lo
	s_and_b32 s39, s40, exec_lo
	s_delay_alu instid0(SALU_CYCLE_1)
	s_or_b32 s39, vcc_lo, s39
	s_and_not1_b32 exec_lo, exec_lo, s38
	s_cbranch_execz .LBB6_16602
.LBB6_16596:                            ;   Parent Loop BB6_51 Depth=1
                                        ;     Parent Loop BB6_16563 Depth=2
                                        ; =>    This Inner Loop Header: Depth=3
	s_add_i32 s41, s41, 1
                                        ; implicit-def: $sgpr43
	s_delay_alu instid0(SALU_CYCLE_1) | instskip(SKIP_1) | instid1(SALU_CYCLE_1)
	s_cmpk_lg_i32 s41, 0x2710
	s_cselect_b32 s42, -1, 0
	s_and_b32 vcc_lo, exec_lo, s42
	s_cbranch_vccz .LBB6_16600
.LBB6_16597:                            ;   in Loop: Header=BB6_16596 Depth=3
	s_and_not1_b32 s40, s40, exec_lo
	s_and_b32 s43, s43, exec_lo
	s_mov_b32 vcc_lo, -1
	s_or_b32 s40, s40, s43
	s_and_saveexec_b32 s43, s42
	s_cbranch_execz .LBB6_16595
; %bb.16598:                            ;   in Loop: Header=BB6_16596 Depth=3
	s_sleep 1
	s_cbranch_execnz .LBB6_17010
; %bb.16599:                            ;   in Loop: Header=BB6_16596 Depth=3
	ds_load_b64 v[8:9], v0
	s_and_not1_b32 s40, s40, exec_lo
	s_waitcnt lgkmcnt(0)
	v_cmp_ge_u64_e32 vcc_lo, v[8:9], v[80:81]
	s_or_not1_b32 vcc_lo, vcc_lo, exec_lo
	s_branch .LBB6_16595
.LBB6_16600:                            ;   in Loop: Header=BB6_16596 Depth=3
	s_cbranch_execnz .LBB6_17032
; %bb.16601:                            ;   in Loop: Header=BB6_16596 Depth=3
	ds_load_b64 v[8:9], v0
	s_and_not1_b32 s42, s42, exec_lo
	s_mov_b32 s41, 0
	s_mov_b32 s43, -1
	s_waitcnt lgkmcnt(0)
	flat_load_b32 v2, v[8:9] glc
	s_waitcnt vmcnt(0) lgkmcnt(0)
	buffer_gl1_inv
	buffer_gl0_inv
	v_cmp_eq_u32_e32 vcc_lo, 0, v2
	s_and_b32 vcc_lo, vcc_lo, exec_lo
	s_delay_alu instid0(SALU_CYCLE_1)
	s_or_b32 s42, s42, vcc_lo
	s_branch .LBB6_16597
.LBB6_16602:                            ;   in Loop: Header=BB6_16563 Depth=2
	s_or_b32 exec_lo, exec_lo, s38
	s_and_saveexec_b32 vcc_lo, s39
	s_delay_alu instid0(SALU_CYCLE_1)
	s_xor_b32 vcc_lo, exec_lo, vcc_lo
	s_cbranch_execz .LBB6_16604
; %bb.16603:                            ;   in Loop: Header=BB6_16563 Depth=2
	ds_store_b32 v0, v176
	s_cbranch_execnz .LBB6_17156
.LBB6_16604:                            ;   in Loop: Header=BB6_16563 Depth=2
	s_or_b32 exec_lo, exec_lo, s37
	;;#ASMSTART
	s_wakeup
	;;#ASMEND
.LBB6_16605:                            ;   in Loop: Header=BB6_16563 Depth=2
	s_or_b32 exec_lo, exec_lo, s17
.LBB6_16606:                            ;   in Loop: Header=BB6_16563 Depth=2
	s_and_not1_saveexec_b32 s16, s16
	s_cbranch_execz .LBB6_16608
; %bb.16607:                            ;   in Loop: Header=BB6_16563 Depth=2
	s_waitcnt vmcnt(0) lgkmcnt(0)
	s_waitcnt_vscnt null, 0x0
	buffer_gl1_inv
	buffer_gl0_inv
	s_barrier
.LBB6_16608:                            ;   in Loop: Header=BB6_16563 Depth=2
	s_or_b32 exec_lo, exec_lo, s16
.LBB6_16609:                            ;   in Loop: Header=BB6_16563 Depth=2
	s_delay_alu instid0(SALU_CYCLE_1) | instskip(SKIP_1) | instid1(VALU_DEP_1)
	s_or_b32 exec_lo, exec_lo, s13
	v_sub_nc_u32_e32 v2, v12, v14
	v_min_i32_e32 v13, v13, v2
	s_and_saveexec_b32 s13, s7
	s_delay_alu instid0(SALU_CYCLE_1)
	s_xor_b32 s16, exec_lo, s13
	s_cbranch_execz .LBB6_16614
; %bb.16610:                            ;   in Loop: Header=BB6_16563 Depth=2
	s_cbranch_execnz .LBB6_16850
; %bb.16611:                            ;   in Loop: Header=BB6_16563 Depth=2
	ds_load_b32 v2, v0
	v_cmp_lt_i32_e32 vcc_lo, 0, v13
	s_waitcnt lgkmcnt(0)
	v_readfirstlane_b32 s13, v2
	v_and_b32_e32 v2, 16, v30
	s_delay_alu instid0(VALU_DEP_2) | instskip(NEXT) | instid1(VALU_DEP_1)
	s_cmp_eq_u32 s13, 0
	v_cmp_ne_u32_e64 s13, 0, v2
	s_cselect_b32 s17, -1, 0
	s_delay_alu instid0(SALU_CYCLE_1)
	s_and_b32 s17, vcc_lo, s17
	s_delay_alu instid0(VALU_DEP_1) | instid1(SALU_CYCLE_1)
	s_and_b32 s17, s13, s17
	s_delay_alu instid0(SALU_CYCLE_1)
	s_and_saveexec_b32 s13, s17
	s_cbranch_execz .LBB6_16613
; %bb.16612:                            ;   in Loop: Header=BB6_16563 Depth=2
	s_waitcnt vmcnt(0)
	s_waitcnt_vscnt null, 0x0
	buffer_gl1_inv
	buffer_gl0_inv
.LBB6_16613:                            ;   in Loop: Header=BB6_16563 Depth=2
	s_or_b32 exec_lo, exec_lo, s13
.LBB6_16614:                            ;   in Loop: Header=BB6_16563 Depth=2
	s_and_not1_saveexec_b32 s13, s16
	s_cbranch_execz .LBB6_16636
; %bb.16615:                            ;   in Loop: Header=BB6_16563 Depth=2
	s_and_saveexec_b32 s16, s4
	s_delay_alu instid0(SALU_CYCLE_1)
	s_xor_b32 s16, exec_lo, s16
	s_cbranch_execz .LBB6_16633
; %bb.16616:                            ;   in Loop: Header=BB6_16563 Depth=2
	s_and_saveexec_b32 s17, s1
	s_cbranch_execz .LBB6_16632
; %bb.16617:                            ;   in Loop: Header=BB6_16563 Depth=2
	s_mov_b32 s38, exec_lo
	s_mov_b32 s37, exec_lo
	v_mbcnt_lo_u32_b32 v2, s38, 0
	;;#ASMSTART
	s_waitcnt lgkmcnt(0) vmcnt(0)
	;;#ASMEND
	s_delay_alu instid0(VALU_DEP_1)
	v_cmpx_eq_u32_e32 0, v2
	s_cbranch_execz .LBB6_16619
; %bb.16618:                            ;   in Loop: Header=BB6_16563 Depth=2
	s_bcnt1_i32_b32 vcc_lo, s38
	s_delay_alu instid0(SALU_CYCLE_1)
	v_mov_b32_e32 v2, vcc_lo
	ds_add_u64 v0, v[2:3]
	s_cbranch_execnz .LBB6_16990
.LBB6_16619:                            ;   in Loop: Header=BB6_16563 Depth=2
	s_or_b32 exec_lo, exec_lo, s37
	s_cbranch_execnz .LBB6_16960
; %bb.16620:                            ;   in Loop: Header=BB6_16563 Depth=2
	ds_load_b64 v[8:9], v0
	v_add_co_u32 v80, vcc_lo, v80, v129
	v_add_co_ci_u32_e32 v81, vcc_lo, 0, v81, vcc_lo
	s_mov_b32 s37, exec_lo
	s_waitcnt lgkmcnt(0)
	s_delay_alu instid0(VALU_DEP_1)
	v_cmpx_lt_u64_e64 v[8:9], v[80:81]
	s_cbranch_execz .LBB6_16631
; %bb.16621:                            ;   in Loop: Header=BB6_16563 Depth=2
	s_mov_b32 s38, 0
	s_mov_b32 s41, 0
                                        ; implicit-def: $sgpr39
                                        ; implicit-def: $sgpr40
	s_branch .LBB6_16623
.LBB6_16622:                            ;   in Loop: Header=BB6_16623 Depth=3
	s_or_b32 exec_lo, exec_lo, s43
	s_delay_alu instid0(SALU_CYCLE_1) | instskip(NEXT) | instid1(SALU_CYCLE_1)
	s_and_b32 vcc_lo, exec_lo, vcc_lo
	s_or_b32 s38, vcc_lo, s38
	s_and_not1_b32 vcc_lo, s39, exec_lo
	s_and_b32 s39, s40, exec_lo
	s_delay_alu instid0(SALU_CYCLE_1)
	s_or_b32 s39, vcc_lo, s39
	s_and_not1_b32 exec_lo, exec_lo, s38
	s_cbranch_execz .LBB6_16629
.LBB6_16623:                            ;   Parent Loop BB6_51 Depth=1
                                        ;     Parent Loop BB6_16563 Depth=2
                                        ; =>    This Inner Loop Header: Depth=3
	s_add_i32 s41, s41, 1
                                        ; implicit-def: $sgpr43
	s_delay_alu instid0(SALU_CYCLE_1) | instskip(SKIP_1) | instid1(SALU_CYCLE_1)
	s_cmpk_lg_i32 s41, 0x2710
	s_cselect_b32 s42, -1, 0
	s_and_b32 vcc_lo, exec_lo, s42
	s_cbranch_vccz .LBB6_16627
.LBB6_16624:                            ;   in Loop: Header=BB6_16623 Depth=3
	s_and_not1_b32 s40, s40, exec_lo
	s_and_b32 s43, s43, exec_lo
	s_mov_b32 vcc_lo, -1
	s_or_b32 s40, s40, s43
	s_and_saveexec_b32 s43, s42
	s_cbranch_execz .LBB6_16622
; %bb.16625:                            ;   in Loop: Header=BB6_16623 Depth=3
	s_sleep 1
	s_cbranch_execnz .LBB6_17044
; %bb.16626:                            ;   in Loop: Header=BB6_16623 Depth=3
	ds_load_b64 v[8:9], v0
	s_and_not1_b32 s40, s40, exec_lo
	s_waitcnt lgkmcnt(0)
	v_cmp_ge_u64_e32 vcc_lo, v[8:9], v[80:81]
	s_or_not1_b32 vcc_lo, vcc_lo, exec_lo
	s_branch .LBB6_16622
.LBB6_16627:                            ;   in Loop: Header=BB6_16623 Depth=3
	s_cbranch_execnz .LBB6_17064
; %bb.16628:                            ;   in Loop: Header=BB6_16623 Depth=3
	ds_load_b64 v[8:9], v0
	s_and_not1_b32 s42, s42, exec_lo
	s_mov_b32 s41, 0
	s_mov_b32 s43, -1
	s_waitcnt vmcnt(0) lgkmcnt(0)
	s_waitcnt_vscnt null, 0x0
	flat_load_b32 v2, v[8:9] glc
	s_waitcnt vmcnt(0) lgkmcnt(0)
	buffer_gl1_inv
	buffer_gl0_inv
	v_cmp_eq_u32_e32 vcc_lo, 0, v2
	s_and_b32 vcc_lo, vcc_lo, exec_lo
	s_delay_alu instid0(SALU_CYCLE_1)
	s_or_b32 s42, s42, vcc_lo
	s_branch .LBB6_16624
.LBB6_16629:                            ;   in Loop: Header=BB6_16563 Depth=2
	s_or_b32 exec_lo, exec_lo, s38
	s_and_saveexec_b32 vcc_lo, s39
	s_delay_alu instid0(SALU_CYCLE_1)
	s_xor_b32 vcc_lo, exec_lo, vcc_lo
	s_cbranch_execz .LBB6_16631
; %bb.16630:                            ;   in Loop: Header=BB6_16563 Depth=2
	ds_store_b32 v0, v176
	s_cbranch_execnz .LBB6_17170
.LBB6_16631:                            ;   in Loop: Header=BB6_16563 Depth=2
	s_or_b32 exec_lo, exec_lo, s37
	;;#ASMSTART
	s_wakeup
	;;#ASMEND
.LBB6_16632:                            ;   in Loop: Header=BB6_16563 Depth=2
	s_or_b32 exec_lo, exec_lo, s17
.LBB6_16633:                            ;   in Loop: Header=BB6_16563 Depth=2
	s_and_not1_saveexec_b32 s16, s16
	s_cbranch_execz .LBB6_16635
; %bb.16634:                            ;   in Loop: Header=BB6_16563 Depth=2
	;;#ASMSTART
	s_waitcnt lgkmcnt(0) vmcnt(0)
	;;#ASMEND
	s_waitcnt vmcnt(0) lgkmcnt(0)
	s_waitcnt_vscnt null, 0x0
	s_barrier
.LBB6_16635:                            ;   in Loop: Header=BB6_16563 Depth=2
	s_or_b32 exec_lo, exec_lo, s16
.LBB6_16636:                            ;   in Loop: Header=BB6_16563 Depth=2
	s_delay_alu instid0(SALU_CYCLE_1) | instskip(SKIP_2) | instid1(VALU_DEP_1)
	s_or_b32 exec_lo, exec_lo, s13
	v_and_b32_e32 v2, 32, v30
	s_mov_b32 s13, exec_lo
	v_cmpx_ne_u32_e32 0, v2
	s_cbranch_execz .LBB6_16638
; %bb.16637:                            ;   in Loop: Header=BB6_16563 Depth=2
	v_add_co_u32 v66, vcc_lo, v66, 2
	v_add_co_ci_u32_e32 v67, vcc_lo, 0, v67, vcc_lo
	s_waitcnt vmcnt(0) lgkmcnt(0)
	s_waitcnt_vscnt null, 0x0
	flat_store_b64 v[64:65], v[66:67]
.LBB6_16638:                            ;   in Loop: Header=BB6_16563 Depth=2
	s_or_b32 exec_lo, exec_lo, s13
	v_add_nc_u32_e32 v14, v13, v14
	s_mov_b32 s13, 0
	s_and_not1_b32 exec_lo, exec_lo, s15
	s_cbranch_execnz .LBB6_16563
; %bb.16639:                            ;   in Loop: Header=BB6_51 Depth=1
	s_or_b32 exec_lo, exec_lo, s15
.LBB6_16640:                            ;   in Loop: Header=BB6_51 Depth=1
	s_delay_alu instid0(SALU_CYCLE_1) | instskip(SKIP_3) | instid1(VALU_DEP_1)
	s_or_b32 exec_lo, exec_lo, s14
	v_add_co_u32 v86, vcc_lo, v86, v84
	v_add_co_ci_u32_e32 v87, vcc_lo, v87, v85, vcc_lo
	s_mov_b32 s14, s30
	v_cmp_ge_i64_e32 vcc_lo, v[86:87], v[4:5]
	s_or_b32 s24, vcc_lo, s24
	s_delay_alu instid0(SALU_CYCLE_1)
	s_and_not1_b32 exec_lo, exec_lo, s24
	s_cbranch_execz .LBB6_16641
; %bb.17462:                            ;   in Loop: Header=BB6_51 Depth=1
	s_getpc_b64 s[48:49]
.Lpost_getpc402:
	s_add_u32 s48, s48, (.LBB6_51-.Lpost_getpc402)&4294967295
	s_addc_u32 s49, s49, (.LBB6_51-.Lpost_getpc402)>>32
	s_setpc_b64 s[48:49]
.LBB6_16641:
	s_or_b32 exec_lo, exec_lo, s24
.LBB6_16642:
	s_delay_alu instid0(SALU_CYCLE_1)
	s_or_b32 exec_lo, exec_lo, s20
; %bb.16643:
	v_and_b32_e32 v0, 0x800, v30
	s_mov_b32 s0, exec_lo
	s_delay_alu instid0(VALU_DEP_1)
	v_cmpx_eq_u32_e32 0, v0
	s_cbranch_execz .LBB6_16900
; %bb.16644:
	v_and_b32_e32 v0, 48, v30
	s_mov_b32 s1, exec_lo
	s_delay_alu instid0(VALU_DEP_1)
	v_cmpx_ne_u32_e32 0, v0
	s_cbranch_execz .LBB6_16646
; %bb.16645:
	flat_store_b64 v[54:55], v[66:67] offset:104
.LBB6_16646:
	s_or_b32 exec_lo, exec_lo, s1
	v_and_b32_e32 v0, 0x88, v30
	s_mov_b32 s1, exec_lo
	s_delay_alu instid0(VALU_DEP_1)
	v_cmpx_eq_u32_e32 0x88, v0
	s_cbranch_execz .LBB6_16696
; %bb.16647:
	v_add_nc_u32_e32 v0, 6, v66
	s_mov_b32 s2, 0
                                        ; implicit-def: $sgpr3
	s_delay_alu instid0(VALU_DEP_1) | instskip(NEXT) | instid1(VALU_DEP_1)
	v_and_b32_e32 v0, 7, v0
	v_mad_u64_u32 v[2:3], null, v0, 24, v[6:7]
	v_mov_b32_e32 v0, 0
	s_delay_alu instid0(VALU_DEP_2) | instskip(NEXT) | instid1(VALU_DEP_3)
	v_add_co_u32 v2, vcc_lo, v2, 8
	v_add_co_ci_u32_e32 v3, vcc_lo, 0, v3, vcc_lo
	s_branch .LBB6_16682
.LBB6_16648:
	s_trap 2
	s_sendmsg_rtn_b32 s0, sendmsg(MSG_RTN_GET_DOORBELL)
	s_mov_b32 ttmp2, m0
	s_waitcnt lgkmcnt(0)
	s_and_b32 s0, s0, 0x3ff
	s_delay_alu instid0(SALU_CYCLE_1) | instskip(NEXT) | instid1(SALU_CYCLE_1)
	s_bitset1_b32 s0, 10
	s_mov_b32 m0, s0
	s_sendmsg sendmsg(MSG_INTERRUPT)
	s_mov_b32 m0, ttmp2
.LBB6_16649:                            ; =>This Inner Loop Header: Depth=1
	s_sethalt 5
	s_branch .LBB6_16649
.LBB6_16650:
	v_bfe_u32 v9, v7, 8, 8
	v_not_b32_e32 v8, v8
	s_mov_b32 s1, exec_lo
                                        ; implicit-def: $vgpr14_vgpr15
                                        ; implicit-def: $vgpr28_vgpr29
                                        ; implicit-def: $vgpr4_vgpr5
	s_delay_alu instid0(VALU_DEP_2)
	v_cmpx_ne_u32_e64 v9, v6
	s_xor_b32 s1, exec_lo, s1
	s_cbranch_execz .LBB6_16652
; %bb.16651:
	s_clause 0x1
	flat_load_b128 v[9:12], v[2:3] offset:72
	flat_load_b64 v[4:5], v[2:3] offset:96
	v_add_nc_u32_e32 v6, v6, v8
                                        ; implicit-def: $vgpr8
	s_waitcnt vmcnt(0) lgkmcnt(0)
	v_lshrrev_b64 v[14:15], 12, v[4:5]
	v_dual_mov_b32 v4, v11 :: v_dual_mov_b32 v5, v12
	s_delay_alu instid0(VALU_DEP_3) | instskip(SKIP_2) | instid1(VALU_DEP_3)
	v_ashrrev_i32_e32 v7, 31, v6
	v_mad_u64_u32 v[28:29], null, v11, v6, v[9:10]
	v_mul_lo_u32 v6, v12, v6
                                        ; implicit-def: $vgpr9
	v_mul_lo_u32 v7, v11, v7
	s_delay_alu instid0(VALU_DEP_1)
	v_add3_u32 v29, v6, v29, v7
.LBB6_16652:
	s_and_not1_saveexec_b32 s1, s1
	s_cbranch_execz .LBB6_16654
; %bb.16653:
	s_clause 0x1
	flat_load_b128 v[10:13], v[2:3] offset:72
	flat_load_b128 v[4:7], v[2:3] offset:88
	s_waitcnt vmcnt(0) lgkmcnt(0)
	v_add_nc_u32_e32 v6, v9, v8
	s_delay_alu instid0(VALU_DEP_1) | instskip(NEXT) | instid1(VALU_DEP_1)
	v_ashrrev_i32_e32 v8, 31, v6
	v_mul_lo_u32 v8, v12, v8
	v_mad_u64_u32 v[28:29], null, v12, v6, v[10:11]
	v_mul_lo_u32 v6, v13, v6
	v_lshrrev_b32_e32 v14, 1, v7
	s_delay_alu instid0(VALU_DEP_2)
	v_add3_u32 v29, v6, v29, v8
.LBB6_16654:
	s_or_b32 exec_lo, exec_lo, s1
	s_and_not1_saveexec_b32 s0, s0
	s_cbranch_execnz .LBB6_16655
; %bb.17464:
	s_getpc_b64 s[48:49]
.Lpost_getpc403:
	s_add_u32 s48, s48, (.LBB6_3-.Lpost_getpc403)&4294967295
	s_addc_u32 s49, s49, (.LBB6_3-.Lpost_getpc403)>>32
	s_setpc_b64 s[48:49]
.LBB6_16655:
	s_clause 0x1
	flat_load_b64 v[6:7], v[2:3] offset:96
	flat_load_b64 v[4:5], v[2:3] offset:72
	v_mov_b32_e32 v28, 0
	v_mov_b32_e32 v29, 0
	s_waitcnt vmcnt(1) lgkmcnt(1)
	v_lshlrev_b64 v[14:15], 9, v[6:7]
	s_or_b32 exec_lo, exec_lo, s0
	s_cbranch_execnz .LBB6_16656
; %bb.17466:
	s_getpc_b64 s[48:49]
.Lpost_getpc404:
	s_add_u32 s48, s48, (.LBB6_4-.Lpost_getpc404)&4294967295
	s_addc_u32 s49, s49, (.LBB6_4-.Lpost_getpc404)>>32
	s_setpc_b64 s[48:49]
.LBB6_16656:
	s_trap 2
	s_sendmsg_rtn_b32 s0, sendmsg(MSG_RTN_GET_DOORBELL)
	s_mov_b32 ttmp2, m0
	s_waitcnt lgkmcnt(0)
	s_and_b32 s0, s0, 0x3ff
	s_delay_alu instid0(SALU_CYCLE_1) | instskip(NEXT) | instid1(SALU_CYCLE_1)
	s_bitset1_b32 s0, 10
	s_mov_b32 m0, s0
	s_sendmsg sendmsg(MSG_INTERRUPT)
	s_mov_b32 m0, ttmp2
.LBB6_16657:                            ; =>This Inner Loop Header: Depth=1
	s_sethalt 5
	s_branch .LBB6_16657
.LBB6_16658:
	s_trap 2
	s_sendmsg_rtn_b32 s0, sendmsg(MSG_RTN_GET_DOORBELL)
	s_mov_b32 ttmp2, m0
	s_waitcnt lgkmcnt(0)
	s_and_b32 s0, s0, 0x3ff
	s_delay_alu instid0(SALU_CYCLE_1) | instskip(NEXT) | instid1(SALU_CYCLE_1)
	s_bitset1_b32 s0, 10
	s_mov_b32 m0, s0
	s_sendmsg sendmsg(MSG_INTERRUPT)
	s_mov_b32 m0, ttmp2
.LBB6_16659:                            ; =>This Inner Loop Header: Depth=1
	s_sethalt 5
	s_branch .LBB6_16659
.LBB6_16660:
	s_trap 2
	s_sendmsg_rtn_b32 s0, sendmsg(MSG_RTN_GET_DOORBELL)
	s_mov_b32 ttmp2, m0
	s_waitcnt lgkmcnt(0)
	s_and_b32 s0, s0, 0x3ff
	s_delay_alu instid0(SALU_CYCLE_1) | instskip(NEXT) | instid1(SALU_CYCLE_1)
	s_bitset1_b32 s0, 10
	s_mov_b32 m0, s0
	s_sendmsg sendmsg(MSG_INTERRUPT)
	s_mov_b32 m0, ttmp2
.LBB6_16661:                            ; =>This Inner Loop Header: Depth=1
	s_sethalt 5
	s_branch .LBB6_16661
.LBB6_16662:
	s_trap 2
	s_sendmsg_rtn_b32 s0, sendmsg(MSG_RTN_GET_DOORBELL)
	s_mov_b32 ttmp2, m0
	s_waitcnt lgkmcnt(0)
	s_and_b32 s0, s0, 0x3ff
	s_delay_alu instid0(SALU_CYCLE_1) | instskip(NEXT) | instid1(SALU_CYCLE_1)
	s_bitset1_b32 s0, 10
	s_mov_b32 m0, s0
	s_sendmsg sendmsg(MSG_INTERRUPT)
	s_mov_b32 m0, ttmp2
.LBB6_16663:                            ; =>This Inner Loop Header: Depth=1
	s_sethalt 5
	s_branch .LBB6_16663
.LBB6_16664:
	s_trap 2
	s_sendmsg_rtn_b32 s0, sendmsg(MSG_RTN_GET_DOORBELL)
	s_mov_b32 ttmp2, m0
	s_waitcnt lgkmcnt(0)
	s_and_b32 s0, s0, 0x3ff
	s_delay_alu instid0(SALU_CYCLE_1) | instskip(NEXT) | instid1(SALU_CYCLE_1)
	s_bitset1_b32 s0, 10
	s_mov_b32 m0, s0
	s_sendmsg sendmsg(MSG_INTERRUPT)
	s_mov_b32 m0, ttmp2
.LBB6_16665:                            ; =>This Inner Loop Header: Depth=1
	s_sethalt 5
	s_branch .LBB6_16665
.LBB6_16666:
	s_trap 2
	s_sendmsg_rtn_b32 s0, sendmsg(MSG_RTN_GET_DOORBELL)
	s_mov_b32 ttmp2, m0
	s_waitcnt lgkmcnt(0)
	s_and_b32 s0, s0, 0x3ff
	s_delay_alu instid0(SALU_CYCLE_1) | instskip(NEXT) | instid1(SALU_CYCLE_1)
	s_bitset1_b32 s0, 10
	s_mov_b32 m0, s0
	s_sendmsg sendmsg(MSG_INTERRUPT)
	s_mov_b32 m0, ttmp2
.LBB6_16667:                            ; =>This Inner Loop Header: Depth=1
	s_sethalt 5
	s_branch .LBB6_16667
.LBB6_16668:
	s_trap 2
	s_sendmsg_rtn_b32 s0, sendmsg(MSG_RTN_GET_DOORBELL)
	s_mov_b32 ttmp2, m0
	s_waitcnt lgkmcnt(0)
	s_and_b32 s0, s0, 0x3ff
	s_delay_alu instid0(SALU_CYCLE_1) | instskip(NEXT) | instid1(SALU_CYCLE_1)
	s_bitset1_b32 s0, 10
	s_mov_b32 m0, s0
	s_sendmsg sendmsg(MSG_INTERRUPT)
	s_mov_b32 m0, ttmp2
.LBB6_16669:                            ; =>This Inner Loop Header: Depth=1
	s_sethalt 5
	s_branch .LBB6_16669
.LBB6_16670:
	s_trap 2
	s_sendmsg_rtn_b32 s0, sendmsg(MSG_RTN_GET_DOORBELL)
	s_mov_b32 ttmp2, m0
	s_waitcnt lgkmcnt(0)
	s_and_b32 s0, s0, 0x3ff
	s_delay_alu instid0(SALU_CYCLE_1) | instskip(NEXT) | instid1(SALU_CYCLE_1)
	s_bitset1_b32 s0, 10
	s_mov_b32 m0, s0
	s_sendmsg sendmsg(MSG_INTERRUPT)
	s_mov_b32 m0, ttmp2
.LBB6_16671:                            ; =>This Inner Loop Header: Depth=1
	s_sethalt 5
	s_branch .LBB6_16671
.LBB6_16672:
	s_trap 2
	s_sendmsg_rtn_b32 s0, sendmsg(MSG_RTN_GET_DOORBELL)
	s_mov_b32 ttmp2, m0
	s_waitcnt lgkmcnt(0)
	s_and_b32 s0, s0, 0x3ff
	s_delay_alu instid0(SALU_CYCLE_1) | instskip(NEXT) | instid1(SALU_CYCLE_1)
	s_bitset1_b32 s0, 10
	s_mov_b32 m0, s0
	s_sendmsg sendmsg(MSG_INTERRUPT)
	s_mov_b32 m0, ttmp2
.LBB6_16673:                            ; =>This Inner Loop Header: Depth=1
	s_sethalt 5
	s_branch .LBB6_16673
.LBB6_16674:
	s_trap 2
	s_sendmsg_rtn_b32 s0, sendmsg(MSG_RTN_GET_DOORBELL)
	s_mov_b32 ttmp2, m0
	s_waitcnt lgkmcnt(0)
	s_and_b32 s0, s0, 0x3ff
	s_delay_alu instid0(SALU_CYCLE_1) | instskip(NEXT) | instid1(SALU_CYCLE_1)
	s_bitset1_b32 s0, 10
	s_mov_b32 m0, s0
	s_sendmsg sendmsg(MSG_INTERRUPT)
	s_mov_b32 m0, ttmp2
.LBB6_16675:                            ; =>This Inner Loop Header: Depth=1
	s_sethalt 5
	s_branch .LBB6_16675
.LBB6_16676:
	s_trap 2
	s_sendmsg_rtn_b32 s0, sendmsg(MSG_RTN_GET_DOORBELL)
	s_mov_b32 ttmp2, m0
	s_waitcnt lgkmcnt(0)
	s_and_b32 s0, s0, 0x3ff
	s_delay_alu instid0(SALU_CYCLE_1) | instskip(NEXT) | instid1(SALU_CYCLE_1)
	s_bitset1_b32 s0, 10
	s_mov_b32 m0, s0
	s_sendmsg sendmsg(MSG_INTERRUPT)
	s_mov_b32 m0, ttmp2
.LBB6_16677:                            ; =>This Inner Loop Header: Depth=1
	s_sethalt 5
	s_branch .LBB6_16677
.LBB6_16678:                            ;   in Loop: Header=BB6_16682 Depth=1
	s_or_b32 exec_lo, exec_lo, s10
	v_mov_b32_e32 v4, 0
	s_or_not1_b32 s7, s7, exec_lo
.LBB6_16679:                            ;   in Loop: Header=BB6_16682 Depth=1
	s_or_b32 exec_lo, exec_lo, s6
	s_delay_alu instid0(VALU_DEP_1)
	v_mov_b32_e32 v0, v4
	s_and_b32 s6, s7, exec_lo
.LBB6_16680:                            ;   in Loop: Header=BB6_16682 Depth=1
	s_or_b32 exec_lo, exec_lo, s5
	s_xor_b32 s5, s6, -1
	s_and_not1_b32 s3, s3, exec_lo
	s_and_b32 s5, s5, exec_lo
	s_delay_alu instid0(SALU_CYCLE_1)
	s_or_b32 s3, s3, s5
.LBB6_16681:                            ;   in Loop: Header=BB6_16682 Depth=1
	s_or_b32 exec_lo, exec_lo, s4
	s_delay_alu instid0(SALU_CYCLE_1) | instskip(NEXT) | instid1(SALU_CYCLE_1)
	s_and_b32 s4, exec_lo, s3
	s_or_b32 s2, s4, s2
	s_delay_alu instid0(SALU_CYCLE_1)
	s_and_not1_b32 exec_lo, exec_lo, s2
	s_cbranch_execz .LBB6_16695
.LBB6_16682:                            ; =>This Inner Loop Header: Depth=1
	flat_load_b64 v[4:5], v[2:3] glc dlc
	s_waitcnt vmcnt(0)
	s_or_b32 s3, s3, exec_lo
	s_mov_b32 s4, exec_lo
	s_waitcnt lgkmcnt(0)
	v_cmpx_ne_u64_e32 -1, v[4:5]
	s_cbranch_execz .LBB6_16681
; %bb.16683:                            ;   in Loop: Header=BB6_16682 Depth=1
	v_and_b32_e32 v4, 64, v30
	s_mov_b32 s6, 0
	s_mov_b32 s5, exec_lo
	s_delay_alu instid0(VALU_DEP_1)
	v_cmpx_eq_u32_e32 0, v4
	s_cbranch_execz .LBB6_16680
; %bb.16684:                            ;   in Loop: Header=BB6_16682 Depth=1
	v_add_nc_u32_e32 v4, 1, v0
	s_mov_b32 s7, -1
	s_mov_b32 s6, exec_lo
	v_cmpx_lt_i32_e32 0x270e, v0
	s_cbranch_execz .LBB6_16679
; %bb.16685:                            ;   in Loop: Header=BB6_16682 Depth=1
	s_cbranch_execnz .LBB6_16689
; %bb.16686:                            ;   in Loop: Header=BB6_16682 Depth=1
	ds_load_b64 v[4:5], v0
	s_mov_b32 s10, exec_lo
	s_waitcnt lgkmcnt(0)
	s_waitcnt_vscnt null, 0x0
	flat_load_b32 v0, v[4:5] glc
	s_waitcnt vmcnt(0) lgkmcnt(0)
	buffer_gl1_inv
	buffer_gl0_inv
	v_cmpx_ne_u32_e32 0, v0
	s_cbranch_execz .LBB6_16678
; %bb.16687:                            ;   in Loop: Header=BB6_16682 Depth=1
	ds_store_b32 v0, v0
	s_cbranch_execnz .LBB6_16713
; %bb.16688:                            ;   in Loop: Header=BB6_16682 Depth=1
	v_or_b32_e32 v30, 64, v30
	s_xor_b32 s7, exec_lo, -1
	s_branch .LBB6_16678
.LBB6_16689:
	s_trap 2
	s_sendmsg_rtn_b32 s0, sendmsg(MSG_RTN_GET_DOORBELL)
	s_mov_b32 ttmp2, m0
	s_waitcnt lgkmcnt(0)
	s_and_b32 s0, s0, 0x3ff
	s_delay_alu instid0(SALU_CYCLE_1) | instskip(NEXT) | instid1(SALU_CYCLE_1)
	s_bitset1_b32 s0, 10
	s_mov_b32 m0, s0
	s_sendmsg sendmsg(MSG_INTERRUPT)
	s_mov_b32 m0, ttmp2
.LBB6_16690:                            ; =>This Inner Loop Header: Depth=1
	s_sethalt 5
	s_branch .LBB6_16690
.LBB6_16691:
	s_trap 2
	s_sendmsg_rtn_b32 s0, sendmsg(MSG_RTN_GET_DOORBELL)
	s_mov_b32 ttmp2, m0
	s_waitcnt lgkmcnt(0)
	s_and_b32 s0, s0, 0x3ff
	s_delay_alu instid0(SALU_CYCLE_1) | instskip(NEXT) | instid1(SALU_CYCLE_1)
	s_bitset1_b32 s0, 10
	s_mov_b32 m0, s0
	s_sendmsg sendmsg(MSG_INTERRUPT)
	s_mov_b32 m0, ttmp2
.LBB6_16692:                            ; =>This Inner Loop Header: Depth=1
	s_sethalt 5
	s_branch .LBB6_16692
.LBB6_16693:
	s_trap 2
	s_sendmsg_rtn_b32 s0, sendmsg(MSG_RTN_GET_DOORBELL)
	s_mov_b32 ttmp2, m0
	s_waitcnt lgkmcnt(0)
	s_and_b32 s0, s0, 0x3ff
	s_delay_alu instid0(SALU_CYCLE_1) | instskip(NEXT) | instid1(SALU_CYCLE_1)
	s_bitset1_b32 s0, 10
	s_mov_b32 m0, s0
	s_sendmsg sendmsg(MSG_INTERRUPT)
	s_mov_b32 m0, ttmp2
.LBB6_16694:                            ; =>This Inner Loop Header: Depth=1
	s_sethalt 5
	s_branch .LBB6_16694
.LBB6_16695:
	s_or_b32 exec_lo, exec_lo, s2
.LBB6_16696:
	s_delay_alu instid0(SALU_CYCLE_1) | instskip(SKIP_2) | instid1(VALU_DEP_1)
	s_or_b32 exec_lo, exec_lo, s1
	v_and_b32_e32 v0, 0x2000, v30
	s_mov_b32 s1, exec_lo
	v_cmpx_ne_u32_e32 0, v0
	s_cbranch_execz .LBB6_16699
; %bb.16697:
	s_cbranch_execnz .LBB6_16707
; %bb.16698:
	ds_load_b64 v[2:3], v0
	s_waitcnt lgkmcnt(0)
	flat_store_b64 v[52:53], v[2:3] offset:16
.LBB6_16699:
	s_or_b32 exec_lo, exec_lo, s1
	v_cmp_ne_u32_e32 vcc_lo, 32, v1
	s_and_b32 exec_lo, exec_lo, vcc_lo
	s_cbranch_execz .LBB6_16900
; %bb.16700:
	s_mov_b32 s1, exec_lo
	v_cmpx_ne_u32_e64 v119, v1
	s_xor_b32 s1, exec_lo, s1
	s_cbranch_execz .LBB6_16898
; %bb.16701:
	v_and_b32_e32 v0, 31, v31
	s_mov_b32 s2, exec_lo
	s_delay_alu instid0(VALU_DEP_1)
	v_cmpx_eq_u32_e32 0, v0
	s_cbranch_execz .LBB6_16897
; %bb.16702:
	s_mov_b32 s4, exec_lo
	s_mov_b32 s3, exec_lo
	v_mbcnt_lo_u32_b32 v0, s4, 0
	s_waitcnt vmcnt(0) lgkmcnt(0)
	s_waitcnt_vscnt null, 0x0
	buffer_gl1_inv
	buffer_gl0_inv
	v_cmpx_eq_u32_e32 0, v0
	s_cbranch_execz .LBB6_16704
; %bb.16703:
	s_bcnt1_i32_b32 s4, s4
	s_delay_alu instid0(SALU_CYCLE_1)
	v_dual_mov_b32 v3, 0 :: v_dual_mov_b32 v2, s4
	ds_add_u64 v0, v[2:3]
	s_cbranch_execnz .LBB6_16742
.LBB6_16704:
	s_or_b32 exec_lo, exec_lo, s3
	s_cbranch_execnz .LBB6_16721
; %bb.16705:
	v_ashrrev_i32_e32 v0, 31, v1
	s_mov_b32 s3, exec_lo
	s_delay_alu instid0(VALU_DEP_1) | instskip(NEXT) | instid1(VALU_DEP_1)
	v_lshrrev_b32_e32 v0, 27, v0
	v_add_nc_u32_e32 v0, v1, v0
	ds_load_b64 v[2:3], v0
	v_ashrrev_i32_e32 v0, 5, v0
	s_delay_alu instid0(VALU_DEP_1) | instskip(SKIP_1) | instid1(VALU_DEP_2)
	v_ashrrev_i32_e32 v1, 31, v0
	v_add_co_u32 v0, vcc_lo, v80, v0
	v_add_co_ci_u32_e32 v1, vcc_lo, v81, v1, vcc_lo
	s_waitcnt lgkmcnt(0)
	s_delay_alu instid0(VALU_DEP_1)
	v_cmpx_lt_u64_e64 v[2:3], v[0:1]
	s_cbranch_execz .LBB6_16896
; %bb.16706:
	s_mov_b32 s4, 0
	s_mov_b32 s7, 0
                                        ; implicit-def: $sgpr5
                                        ; implicit-def: $sgpr6
	s_branch .LBB6_16728
.LBB6_16707:
	s_trap 2
	s_sendmsg_rtn_b32 s0, sendmsg(MSG_RTN_GET_DOORBELL)
	s_mov_b32 ttmp2, m0
	s_waitcnt lgkmcnt(0)
	s_and_b32 s0, s0, 0x3ff
	s_delay_alu instid0(SALU_CYCLE_1) | instskip(NEXT) | instid1(SALU_CYCLE_1)
	s_bitset1_b32 s0, 10
	s_mov_b32 m0, s0
	s_sendmsg sendmsg(MSG_INTERRUPT)
	s_mov_b32 m0, ttmp2
.LBB6_16708:                            ; =>This Inner Loop Header: Depth=1
	s_sethalt 5
	s_branch .LBB6_16708
.LBB6_16709:
	s_trap 2
	s_sendmsg_rtn_b32 s0, sendmsg(MSG_RTN_GET_DOORBELL)
	s_mov_b32 ttmp2, m0
	s_waitcnt lgkmcnt(0)
	s_and_b32 s0, s0, 0x3ff
	s_delay_alu instid0(SALU_CYCLE_1) | instskip(NEXT) | instid1(SALU_CYCLE_1)
	s_bitset1_b32 s0, 10
	s_mov_b32 m0, s0
	s_sendmsg sendmsg(MSG_INTERRUPT)
	s_mov_b32 m0, ttmp2
.LBB6_16710:                            ; =>This Inner Loop Header: Depth=1
	s_sethalt 5
	s_branch .LBB6_16710
.LBB6_16711:
	s_trap 2
	s_sendmsg_rtn_b32 s0, sendmsg(MSG_RTN_GET_DOORBELL)
	s_mov_b32 ttmp2, m0
	s_waitcnt lgkmcnt(0)
	s_and_b32 s0, s0, 0x3ff
	s_delay_alu instid0(SALU_CYCLE_1) | instskip(NEXT) | instid1(SALU_CYCLE_1)
	s_bitset1_b32 s0, 10
	s_mov_b32 m0, s0
	s_sendmsg sendmsg(MSG_INTERRUPT)
	s_mov_b32 m0, ttmp2
.LBB6_16712:                            ; =>This Inner Loop Header: Depth=1
	s_sethalt 5
	s_branch .LBB6_16712
.LBB6_16713:
	s_trap 2
	s_sendmsg_rtn_b32 s0, sendmsg(MSG_RTN_GET_DOORBELL)
	s_mov_b32 ttmp2, m0
	s_waitcnt lgkmcnt(0)
	s_and_b32 s0, s0, 0x3ff
	s_delay_alu instid0(SALU_CYCLE_1) | instskip(NEXT) | instid1(SALU_CYCLE_1)
	s_bitset1_b32 s0, 10
	s_mov_b32 m0, s0
	s_sendmsg sendmsg(MSG_INTERRUPT)
	s_mov_b32 m0, ttmp2
.LBB6_16714:                            ; =>This Inner Loop Header: Depth=1
	s_sethalt 5
	s_branch .LBB6_16714
.LBB6_16715:
	s_trap 2
	s_sendmsg_rtn_b32 s0, sendmsg(MSG_RTN_GET_DOORBELL)
	s_mov_b32 ttmp2, m0
	s_waitcnt lgkmcnt(0)
	s_and_b32 s0, s0, 0x3ff
	s_delay_alu instid0(SALU_CYCLE_1) | instskip(NEXT) | instid1(SALU_CYCLE_1)
	s_bitset1_b32 s0, 10
	s_mov_b32 m0, s0
	s_sendmsg sendmsg(MSG_INTERRUPT)
	s_mov_b32 m0, ttmp2
.LBB6_16716:                            ; =>This Inner Loop Header: Depth=1
	s_sethalt 5
	s_branch .LBB6_16716
.LBB6_16717:
	s_trap 2
	s_sendmsg_rtn_b32 s0, sendmsg(MSG_RTN_GET_DOORBELL)
	s_mov_b32 ttmp2, m0
	s_waitcnt lgkmcnt(0)
	s_and_b32 s0, s0, 0x3ff
	s_delay_alu instid0(SALU_CYCLE_1) | instskip(NEXT) | instid1(SALU_CYCLE_1)
	s_bitset1_b32 s0, 10
	s_mov_b32 m0, s0
	s_sendmsg sendmsg(MSG_INTERRUPT)
	s_mov_b32 m0, ttmp2
.LBB6_16718:                            ; =>This Inner Loop Header: Depth=1
	s_sethalt 5
	s_branch .LBB6_16718
.LBB6_16719:
	s_trap 2
	s_sendmsg_rtn_b32 s0, sendmsg(MSG_RTN_GET_DOORBELL)
	s_mov_b32 ttmp2, m0
	s_waitcnt lgkmcnt(0)
	s_and_b32 s0, s0, 0x3ff
	s_delay_alu instid0(SALU_CYCLE_1) | instskip(NEXT) | instid1(SALU_CYCLE_1)
	s_bitset1_b32 s0, 10
	s_mov_b32 m0, s0
	s_sendmsg sendmsg(MSG_INTERRUPT)
	s_mov_b32 m0, ttmp2
.LBB6_16720:                            ; =>This Inner Loop Header: Depth=1
	s_sethalt 5
	s_branch .LBB6_16720
.LBB6_16721:
	s_trap 2
	s_sendmsg_rtn_b32 s0, sendmsg(MSG_RTN_GET_DOORBELL)
	s_mov_b32 ttmp2, m0
	s_waitcnt lgkmcnt(0)
	s_and_b32 s0, s0, 0x3ff
	s_delay_alu instid0(SALU_CYCLE_1) | instskip(NEXT) | instid1(SALU_CYCLE_1)
	s_bitset1_b32 s0, 10
	s_mov_b32 m0, s0
	s_sendmsg sendmsg(MSG_INTERRUPT)
	s_mov_b32 m0, ttmp2
.LBB6_16722:                            ; =>This Inner Loop Header: Depth=1
	s_sethalt 5
	s_branch .LBB6_16722
.LBB6_16723:
	s_trap 2
	s_sendmsg_rtn_b32 s0, sendmsg(MSG_RTN_GET_DOORBELL)
	s_mov_b32 ttmp2, m0
	s_waitcnt lgkmcnt(0)
	s_and_b32 s0, s0, 0x3ff
	s_delay_alu instid0(SALU_CYCLE_1) | instskip(NEXT) | instid1(SALU_CYCLE_1)
	s_bitset1_b32 s0, 10
	s_mov_b32 m0, s0
	s_sendmsg sendmsg(MSG_INTERRUPT)
	s_mov_b32 m0, ttmp2
.LBB6_16724:                            ; =>This Inner Loop Header: Depth=1
	s_sethalt 5
	s_branch .LBB6_16724
.LBB6_16725:
	s_trap 2
	s_sendmsg_rtn_b32 s0, sendmsg(MSG_RTN_GET_DOORBELL)
	s_mov_b32 ttmp2, m0
	s_waitcnt lgkmcnt(0)
	s_and_b32 s0, s0, 0x3ff
	s_delay_alu instid0(SALU_CYCLE_1) | instskip(NEXT) | instid1(SALU_CYCLE_1)
	s_bitset1_b32 s0, 10
	s_mov_b32 m0, s0
	s_sendmsg sendmsg(MSG_INTERRUPT)
	s_mov_b32 m0, ttmp2
.LBB6_16726:                            ; =>This Inner Loop Header: Depth=1
	s_sethalt 5
	s_branch .LBB6_16726
.LBB6_16727:                            ;   in Loop: Header=BB6_16728 Depth=1
	s_or_b32 exec_lo, exec_lo, s12
	s_delay_alu instid0(SALU_CYCLE_1) | instskip(NEXT) | instid1(SALU_CYCLE_1)
	s_and_b32 s10, exec_lo, s11
	s_or_b32 s4, s10, s4
	s_and_not1_b32 s5, s5, exec_lo
	s_and_b32 s10, s6, exec_lo
	s_delay_alu instid0(SALU_CYCLE_1)
	s_or_b32 s5, s5, s10
	s_and_not1_b32 exec_lo, exec_lo, s4
	s_cbranch_execz .LBB6_16894
.LBB6_16728:                            ; =>This Inner Loop Header: Depth=1
	s_add_i32 s7, s7, 1
                                        ; implicit-def: $sgpr11
	s_delay_alu instid0(SALU_CYCLE_1) | instskip(SKIP_1) | instid1(SALU_CYCLE_1)
	s_cmpk_lg_i32 s7, 0x2710
	s_cselect_b32 s10, -1, 0
	s_and_b32 vcc_lo, exec_lo, s10
	s_cbranch_vccz .LBB6_16732
.LBB6_16729:                            ;   in Loop: Header=BB6_16728 Depth=1
	s_and_not1_b32 s6, s6, exec_lo
	s_and_b32 s12, s11, exec_lo
	s_mov_b32 s11, -1
	s_or_b32 s6, s6, s12
	s_and_saveexec_b32 s12, s10
	s_cbranch_execz .LBB6_16727
; %bb.16730:                            ;   in Loop: Header=BB6_16728 Depth=1
	s_sleep 1
	s_cbranch_execnz .LBB6_16780
; %bb.16731:                            ;   in Loop: Header=BB6_16728 Depth=1
	ds_load_b64 v[2:3], v0
	s_and_not1_b32 s6, s6, exec_lo
	s_waitcnt lgkmcnt(0)
	v_cmp_ge_u64_e32 vcc_lo, v[2:3], v[0:1]
	s_or_not1_b32 s11, vcc_lo, exec_lo
	s_branch .LBB6_16727
.LBB6_16732:                            ;   in Loop: Header=BB6_16728 Depth=1
	s_cbranch_execnz .LBB6_16782
; %bb.16733:                            ;   in Loop: Header=BB6_16728 Depth=1
	ds_load_b64 v[2:3], v0
	s_and_not1_b32 s10, s10, exec_lo
	s_mov_b32 s7, 0
	s_mov_b32 s11, -1
	s_waitcnt lgkmcnt(0)
	flat_load_b32 v2, v[2:3] glc
	s_waitcnt vmcnt(0) lgkmcnt(0)
	buffer_gl1_inv
	buffer_gl0_inv
	v_cmp_eq_u32_e32 vcc_lo, 0, v2
	s_and_b32 s12, vcc_lo, exec_lo
	s_delay_alu instid0(SALU_CYCLE_1)
	s_or_b32 s10, s10, s12
	s_branch .LBB6_16729
.LBB6_16734:
	s_trap 2
	s_sendmsg_rtn_b32 s0, sendmsg(MSG_RTN_GET_DOORBELL)
	s_mov_b32 ttmp2, m0
	s_waitcnt lgkmcnt(0)
	s_and_b32 s0, s0, 0x3ff
	s_delay_alu instid0(SALU_CYCLE_1) | instskip(NEXT) | instid1(SALU_CYCLE_1)
	s_bitset1_b32 s0, 10
	s_mov_b32 m0, s0
	s_sendmsg sendmsg(MSG_INTERRUPT)
	s_mov_b32 m0, ttmp2
.LBB6_16735:                            ; =>This Inner Loop Header: Depth=1
	s_sethalt 5
	s_branch .LBB6_16735
.LBB6_16736:
	s_trap 2
	s_sendmsg_rtn_b32 s0, sendmsg(MSG_RTN_GET_DOORBELL)
	s_mov_b32 ttmp2, m0
	s_waitcnt lgkmcnt(0)
	s_and_b32 s0, s0, 0x3ff
	s_delay_alu instid0(SALU_CYCLE_1) | instskip(NEXT) | instid1(SALU_CYCLE_1)
	s_bitset1_b32 s0, 10
	s_mov_b32 m0, s0
	s_sendmsg sendmsg(MSG_INTERRUPT)
	s_mov_b32 m0, ttmp2
.LBB6_16737:                            ; =>This Inner Loop Header: Depth=1
	s_sethalt 5
	s_branch .LBB6_16737
.LBB6_16738:
	s_trap 2
	s_sendmsg_rtn_b32 s0, sendmsg(MSG_RTN_GET_DOORBELL)
	s_mov_b32 ttmp2, m0
	s_waitcnt lgkmcnt(0)
	s_and_b32 s0, s0, 0x3ff
	s_delay_alu instid0(SALU_CYCLE_1) | instskip(NEXT) | instid1(SALU_CYCLE_1)
	s_bitset1_b32 s0, 10
	s_mov_b32 m0, s0
	s_sendmsg sendmsg(MSG_INTERRUPT)
	s_mov_b32 m0, ttmp2
.LBB6_16739:                            ; =>This Inner Loop Header: Depth=1
	s_sethalt 5
	s_branch .LBB6_16739
.LBB6_16740:
	s_trap 2
	s_sendmsg_rtn_b32 s0, sendmsg(MSG_RTN_GET_DOORBELL)
	s_mov_b32 ttmp2, m0
	s_waitcnt lgkmcnt(0)
	s_and_b32 s0, s0, 0x3ff
	s_delay_alu instid0(SALU_CYCLE_1) | instskip(NEXT) | instid1(SALU_CYCLE_1)
	s_bitset1_b32 s0, 10
	s_mov_b32 m0, s0
	s_sendmsg sendmsg(MSG_INTERRUPT)
	s_mov_b32 m0, ttmp2
.LBB6_16741:                            ; =>This Inner Loop Header: Depth=1
	s_sethalt 5
	s_branch .LBB6_16741
.LBB6_16742:
	s_trap 2
	s_sendmsg_rtn_b32 s0, sendmsg(MSG_RTN_GET_DOORBELL)
	s_mov_b32 ttmp2, m0
	s_waitcnt lgkmcnt(0)
	s_and_b32 s0, s0, 0x3ff
	s_delay_alu instid0(SALU_CYCLE_1) | instskip(NEXT) | instid1(SALU_CYCLE_1)
	s_bitset1_b32 s0, 10
	s_mov_b32 m0, s0
	s_sendmsg sendmsg(MSG_INTERRUPT)
	s_mov_b32 m0, ttmp2
.LBB6_16743:                            ; =>This Inner Loop Header: Depth=1
	s_sethalt 5
	s_branch .LBB6_16743
.LBB6_16744:
	s_trap 2
	s_sendmsg_rtn_b32 s0, sendmsg(MSG_RTN_GET_DOORBELL)
	s_mov_b32 ttmp2, m0
	s_waitcnt lgkmcnt(0)
	s_and_b32 s0, s0, 0x3ff
	s_delay_alu instid0(SALU_CYCLE_1) | instskip(NEXT) | instid1(SALU_CYCLE_1)
	s_bitset1_b32 s0, 10
	s_mov_b32 m0, s0
	s_sendmsg sendmsg(MSG_INTERRUPT)
	s_mov_b32 m0, ttmp2
.LBB6_16745:                            ; =>This Inner Loop Header: Depth=1
	s_sethalt 5
	s_branch .LBB6_16745
.LBB6_16746:
	s_trap 2
	s_sendmsg_rtn_b32 s0, sendmsg(MSG_RTN_GET_DOORBELL)
	s_mov_b32 ttmp2, m0
	s_waitcnt lgkmcnt(0)
	s_and_b32 s0, s0, 0x3ff
	s_delay_alu instid0(SALU_CYCLE_1) | instskip(NEXT) | instid1(SALU_CYCLE_1)
	s_bitset1_b32 s0, 10
	s_mov_b32 m0, s0
	s_sendmsg sendmsg(MSG_INTERRUPT)
	s_mov_b32 m0, ttmp2
.LBB6_16747:                            ; =>This Inner Loop Header: Depth=1
	s_sethalt 5
	s_branch .LBB6_16747
.LBB6_16748:
	s_trap 2
	s_sendmsg_rtn_b32 s0, sendmsg(MSG_RTN_GET_DOORBELL)
	s_mov_b32 ttmp2, m0
	s_waitcnt lgkmcnt(0)
	s_and_b32 s0, s0, 0x3ff
	s_delay_alu instid0(SALU_CYCLE_1) | instskip(NEXT) | instid1(SALU_CYCLE_1)
	s_bitset1_b32 s0, 10
	s_mov_b32 m0, s0
	s_sendmsg sendmsg(MSG_INTERRUPT)
	s_mov_b32 m0, ttmp2
.LBB6_16749:                            ; =>This Inner Loop Header: Depth=1
	s_sethalt 5
	s_branch .LBB6_16749
.LBB6_16750:
	s_trap 2
	s_sendmsg_rtn_b32 s0, sendmsg(MSG_RTN_GET_DOORBELL)
	s_mov_b32 ttmp2, m0
	s_waitcnt lgkmcnt(0)
	s_and_b32 s0, s0, 0x3ff
	s_delay_alu instid0(SALU_CYCLE_1) | instskip(NEXT) | instid1(SALU_CYCLE_1)
	s_bitset1_b32 s0, 10
	s_mov_b32 m0, s0
	s_sendmsg sendmsg(MSG_INTERRUPT)
	s_mov_b32 m0, ttmp2
.LBB6_16751:                            ; =>This Inner Loop Header: Depth=1
	s_sethalt 5
	s_branch .LBB6_16751
.LBB6_16752:
	s_trap 2
	s_sendmsg_rtn_b32 s0, sendmsg(MSG_RTN_GET_DOORBELL)
	s_mov_b32 ttmp2, m0
	s_waitcnt lgkmcnt(0)
	s_and_b32 s0, s0, 0x3ff
	s_delay_alu instid0(SALU_CYCLE_1) | instskip(NEXT) | instid1(SALU_CYCLE_1)
	s_bitset1_b32 s0, 10
	s_mov_b32 m0, s0
	s_sendmsg sendmsg(MSG_INTERRUPT)
	s_mov_b32 m0, ttmp2
.LBB6_16753:                            ; =>This Inner Loop Header: Depth=1
	s_sethalt 5
	s_branch .LBB6_16753
.LBB6_16754:
	s_trap 2
	s_sendmsg_rtn_b32 s0, sendmsg(MSG_RTN_GET_DOORBELL)
	s_mov_b32 ttmp2, m0
	s_waitcnt lgkmcnt(0)
	s_and_b32 s0, s0, 0x3ff
	s_delay_alu instid0(SALU_CYCLE_1) | instskip(NEXT) | instid1(SALU_CYCLE_1)
	s_bitset1_b32 s0, 10
	s_mov_b32 m0, s0
	s_sendmsg sendmsg(MSG_INTERRUPT)
	s_mov_b32 m0, ttmp2
.LBB6_16755:                            ; =>This Inner Loop Header: Depth=1
	s_sethalt 5
	s_branch .LBB6_16755
.LBB6_16756:
	s_trap 2
	s_sendmsg_rtn_b32 s0, sendmsg(MSG_RTN_GET_DOORBELL)
	s_mov_b32 ttmp2, m0
	s_waitcnt lgkmcnt(0)
	s_and_b32 s0, s0, 0x3ff
	s_delay_alu instid0(SALU_CYCLE_1) | instskip(NEXT) | instid1(SALU_CYCLE_1)
	s_bitset1_b32 s0, 10
	s_mov_b32 m0, s0
	s_sendmsg sendmsg(MSG_INTERRUPT)
	s_mov_b32 m0, ttmp2
.LBB6_16757:                            ; =>This Inner Loop Header: Depth=1
	s_sethalt 5
	s_branch .LBB6_16757
.LBB6_16758:
	s_trap 2
	s_sendmsg_rtn_b32 s0, sendmsg(MSG_RTN_GET_DOORBELL)
	s_mov_b32 ttmp2, m0
	s_waitcnt lgkmcnt(0)
	s_and_b32 s0, s0, 0x3ff
	s_delay_alu instid0(SALU_CYCLE_1) | instskip(NEXT) | instid1(SALU_CYCLE_1)
	s_bitset1_b32 s0, 10
	s_mov_b32 m0, s0
	s_sendmsg sendmsg(MSG_INTERRUPT)
	s_mov_b32 m0, ttmp2
.LBB6_16759:                            ; =>This Inner Loop Header: Depth=1
	s_sethalt 5
	s_branch .LBB6_16759
.LBB6_16760:
	s_trap 2
	s_sendmsg_rtn_b32 s0, sendmsg(MSG_RTN_GET_DOORBELL)
	s_mov_b32 ttmp2, m0
	s_waitcnt lgkmcnt(0)
	s_and_b32 s0, s0, 0x3ff
	s_delay_alu instid0(SALU_CYCLE_1) | instskip(NEXT) | instid1(SALU_CYCLE_1)
	s_bitset1_b32 s0, 10
	s_mov_b32 m0, s0
	s_sendmsg sendmsg(MSG_INTERRUPT)
	s_mov_b32 m0, ttmp2
.LBB6_16761:                            ; =>This Inner Loop Header: Depth=1
	s_sethalt 5
	s_branch .LBB6_16761
.LBB6_16762:
	s_trap 2
	s_sendmsg_rtn_b32 s0, sendmsg(MSG_RTN_GET_DOORBELL)
	s_mov_b32 ttmp2, m0
	s_waitcnt lgkmcnt(0)
	s_and_b32 s0, s0, 0x3ff
	s_delay_alu instid0(SALU_CYCLE_1) | instskip(NEXT) | instid1(SALU_CYCLE_1)
	s_bitset1_b32 s0, 10
	s_mov_b32 m0, s0
	s_sendmsg sendmsg(MSG_INTERRUPT)
	s_mov_b32 m0, ttmp2
.LBB6_16763:                            ; =>This Inner Loop Header: Depth=1
	s_sethalt 5
	s_branch .LBB6_16763
.LBB6_16764:
	s_trap 2
	s_sendmsg_rtn_b32 s0, sendmsg(MSG_RTN_GET_DOORBELL)
	s_mov_b32 ttmp2, m0
	s_waitcnt lgkmcnt(0)
	s_and_b32 s0, s0, 0x3ff
	s_delay_alu instid0(SALU_CYCLE_1) | instskip(NEXT) | instid1(SALU_CYCLE_1)
	s_bitset1_b32 s0, 10
	s_mov_b32 m0, s0
	s_sendmsg sendmsg(MSG_INTERRUPT)
	s_mov_b32 m0, ttmp2
.LBB6_16765:                            ; =>This Inner Loop Header: Depth=1
	s_sethalt 5
	s_branch .LBB6_16765
.LBB6_16766:
	s_trap 2
	s_sendmsg_rtn_b32 s0, sendmsg(MSG_RTN_GET_DOORBELL)
	s_mov_b32 ttmp2, m0
	s_waitcnt lgkmcnt(0)
	s_and_b32 s0, s0, 0x3ff
	s_delay_alu instid0(SALU_CYCLE_1) | instskip(NEXT) | instid1(SALU_CYCLE_1)
	s_bitset1_b32 s0, 10
	s_mov_b32 m0, s0
	s_sendmsg sendmsg(MSG_INTERRUPT)
	s_mov_b32 m0, ttmp2
.LBB6_16767:                            ; =>This Inner Loop Header: Depth=1
	s_sethalt 5
	s_branch .LBB6_16767
.LBB6_16768:
	s_trap 2
	s_sendmsg_rtn_b32 s0, sendmsg(MSG_RTN_GET_DOORBELL)
	s_mov_b32 ttmp2, m0
	s_waitcnt lgkmcnt(0)
	s_and_b32 s0, s0, 0x3ff
	s_delay_alu instid0(SALU_CYCLE_1) | instskip(NEXT) | instid1(SALU_CYCLE_1)
	s_bitset1_b32 s0, 10
	s_mov_b32 m0, s0
	s_sendmsg sendmsg(MSG_INTERRUPT)
	s_mov_b32 m0, ttmp2
.LBB6_16769:                            ; =>This Inner Loop Header: Depth=1
	s_sethalt 5
	s_branch .LBB6_16769
.LBB6_16770:
	s_trap 2
	s_sendmsg_rtn_b32 s0, sendmsg(MSG_RTN_GET_DOORBELL)
	s_mov_b32 ttmp2, m0
	s_waitcnt lgkmcnt(0)
	s_and_b32 s0, s0, 0x3ff
	s_delay_alu instid0(SALU_CYCLE_1) | instskip(NEXT) | instid1(SALU_CYCLE_1)
	s_bitset1_b32 s0, 10
	s_mov_b32 m0, s0
	s_sendmsg sendmsg(MSG_INTERRUPT)
	s_mov_b32 m0, ttmp2
.LBB6_16771:                            ; =>This Inner Loop Header: Depth=1
	s_sethalt 5
	s_branch .LBB6_16771
.LBB6_16772:
	s_trap 2
	s_sendmsg_rtn_b32 s0, sendmsg(MSG_RTN_GET_DOORBELL)
	s_mov_b32 ttmp2, m0
	s_waitcnt lgkmcnt(0)
	s_and_b32 s0, s0, 0x3ff
	s_delay_alu instid0(SALU_CYCLE_1) | instskip(NEXT) | instid1(SALU_CYCLE_1)
	s_bitset1_b32 s0, 10
	s_mov_b32 m0, s0
	s_sendmsg sendmsg(MSG_INTERRUPT)
	s_mov_b32 m0, ttmp2
.LBB6_16773:                            ; =>This Inner Loop Header: Depth=1
	s_sethalt 5
	s_branch .LBB6_16773
.LBB6_16774:
	s_trap 2
	s_sendmsg_rtn_b32 s0, sendmsg(MSG_RTN_GET_DOORBELL)
	s_mov_b32 ttmp2, m0
	s_waitcnt lgkmcnt(0)
	s_and_b32 s0, s0, 0x3ff
	s_delay_alu instid0(SALU_CYCLE_1) | instskip(NEXT) | instid1(SALU_CYCLE_1)
	s_bitset1_b32 s0, 10
	s_mov_b32 m0, s0
	s_sendmsg sendmsg(MSG_INTERRUPT)
	s_mov_b32 m0, ttmp2
.LBB6_16775:                            ; =>This Inner Loop Header: Depth=1
	s_sethalt 5
	s_branch .LBB6_16775
.LBB6_16776:
	s_trap 2
	s_sendmsg_rtn_b32 s0, sendmsg(MSG_RTN_GET_DOORBELL)
	s_mov_b32 ttmp2, m0
	s_waitcnt lgkmcnt(0)
	s_and_b32 s0, s0, 0x3ff
	s_delay_alu instid0(SALU_CYCLE_1) | instskip(NEXT) | instid1(SALU_CYCLE_1)
	s_bitset1_b32 s0, 10
	s_mov_b32 m0, s0
	s_sendmsg sendmsg(MSG_INTERRUPT)
	s_mov_b32 m0, ttmp2
.LBB6_16777:                            ; =>This Inner Loop Header: Depth=1
	s_sethalt 5
	s_branch .LBB6_16777
.LBB6_16778:
	s_trap 2
	s_sendmsg_rtn_b32 s0, sendmsg(MSG_RTN_GET_DOORBELL)
	s_mov_b32 ttmp2, m0
	s_waitcnt lgkmcnt(0)
	s_and_b32 s0, s0, 0x3ff
	s_delay_alu instid0(SALU_CYCLE_1) | instskip(NEXT) | instid1(SALU_CYCLE_1)
	s_bitset1_b32 s0, 10
	s_mov_b32 m0, s0
	s_sendmsg sendmsg(MSG_INTERRUPT)
	s_mov_b32 m0, ttmp2
.LBB6_16779:                            ; =>This Inner Loop Header: Depth=1
	s_sethalt 5
	s_branch .LBB6_16779
.LBB6_16780:
	s_trap 2
	s_sendmsg_rtn_b32 s0, sendmsg(MSG_RTN_GET_DOORBELL)
	s_mov_b32 ttmp2, m0
	s_waitcnt lgkmcnt(0)
	s_and_b32 s0, s0, 0x3ff
	s_delay_alu instid0(SALU_CYCLE_1) | instskip(NEXT) | instid1(SALU_CYCLE_1)
	s_bitset1_b32 s0, 10
	s_mov_b32 m0, s0
	s_sendmsg sendmsg(MSG_INTERRUPT)
	s_mov_b32 m0, ttmp2
.LBB6_16781:                            ; =>This Inner Loop Header: Depth=1
	s_sethalt 5
	s_branch .LBB6_16781
.LBB6_16782:
	s_trap 2
	s_sendmsg_rtn_b32 s0, sendmsg(MSG_RTN_GET_DOORBELL)
	s_mov_b32 ttmp2, m0
	s_waitcnt lgkmcnt(0)
	s_and_b32 s0, s0, 0x3ff
	s_delay_alu instid0(SALU_CYCLE_1) | instskip(NEXT) | instid1(SALU_CYCLE_1)
	s_bitset1_b32 s0, 10
	s_mov_b32 m0, s0
	s_sendmsg sendmsg(MSG_INTERRUPT)
	s_mov_b32 m0, ttmp2
.LBB6_16783:                            ; =>This Inner Loop Header: Depth=1
	s_sethalt 5
	s_branch .LBB6_16783
.LBB6_16784:
	s_trap 2
	s_sendmsg_rtn_b32 s0, sendmsg(MSG_RTN_GET_DOORBELL)
	s_mov_b32 ttmp2, m0
	s_waitcnt lgkmcnt(0)
	s_and_b32 s0, s0, 0x3ff
	s_delay_alu instid0(SALU_CYCLE_1) | instskip(NEXT) | instid1(SALU_CYCLE_1)
	s_bitset1_b32 s0, 10
	s_mov_b32 m0, s0
	s_sendmsg sendmsg(MSG_INTERRUPT)
	s_mov_b32 m0, ttmp2
.LBB6_16785:                            ; =>This Inner Loop Header: Depth=1
	s_sethalt 5
	s_branch .LBB6_16785
.LBB6_16786:
	s_trap 2
	s_sendmsg_rtn_b32 s0, sendmsg(MSG_RTN_GET_DOORBELL)
	s_mov_b32 ttmp2, m0
	s_waitcnt lgkmcnt(0)
	s_and_b32 s0, s0, 0x3ff
	s_delay_alu instid0(SALU_CYCLE_1) | instskip(NEXT) | instid1(SALU_CYCLE_1)
	s_bitset1_b32 s0, 10
	s_mov_b32 m0, s0
	s_sendmsg sendmsg(MSG_INTERRUPT)
	s_mov_b32 m0, ttmp2
.LBB6_16787:                            ; =>This Inner Loop Header: Depth=1
	s_sethalt 5
	s_branch .LBB6_16787
.LBB6_16788:
	s_trap 2
	s_sendmsg_rtn_b32 s0, sendmsg(MSG_RTN_GET_DOORBELL)
	s_mov_b32 ttmp2, m0
	s_waitcnt lgkmcnt(0)
	s_and_b32 s0, s0, 0x3ff
	s_delay_alu instid0(SALU_CYCLE_1) | instskip(NEXT) | instid1(SALU_CYCLE_1)
	s_bitset1_b32 s0, 10
	s_mov_b32 m0, s0
	s_sendmsg sendmsg(MSG_INTERRUPT)
	s_mov_b32 m0, ttmp2
.LBB6_16789:                            ; =>This Inner Loop Header: Depth=1
	s_sethalt 5
	s_branch .LBB6_16789
.LBB6_16790:
	s_trap 2
	s_sendmsg_rtn_b32 s0, sendmsg(MSG_RTN_GET_DOORBELL)
	s_mov_b32 ttmp2, m0
	s_waitcnt lgkmcnt(0)
	s_and_b32 s0, s0, 0x3ff
	s_delay_alu instid0(SALU_CYCLE_1) | instskip(NEXT) | instid1(SALU_CYCLE_1)
	s_bitset1_b32 s0, 10
	s_mov_b32 m0, s0
	s_sendmsg sendmsg(MSG_INTERRUPT)
	s_mov_b32 m0, ttmp2
.LBB6_16791:                            ; =>This Inner Loop Header: Depth=1
	s_sethalt 5
	s_branch .LBB6_16791
.LBB6_16792:
	s_trap 2
	s_sendmsg_rtn_b32 s0, sendmsg(MSG_RTN_GET_DOORBELL)
	s_mov_b32 ttmp2, m0
	s_waitcnt lgkmcnt(0)
	s_and_b32 s0, s0, 0x3ff
	s_delay_alu instid0(SALU_CYCLE_1) | instskip(NEXT) | instid1(SALU_CYCLE_1)
	s_bitset1_b32 s0, 10
	s_mov_b32 m0, s0
	s_sendmsg sendmsg(MSG_INTERRUPT)
	s_mov_b32 m0, ttmp2
.LBB6_16793:                            ; =>This Inner Loop Header: Depth=1
	s_sethalt 5
	s_branch .LBB6_16793
.LBB6_16794:
	s_trap 2
	s_sendmsg_rtn_b32 s0, sendmsg(MSG_RTN_GET_DOORBELL)
	s_mov_b32 ttmp2, m0
	s_waitcnt lgkmcnt(0)
	s_and_b32 s0, s0, 0x3ff
	s_delay_alu instid0(SALU_CYCLE_1) | instskip(NEXT) | instid1(SALU_CYCLE_1)
	s_bitset1_b32 s0, 10
	s_mov_b32 m0, s0
	s_sendmsg sendmsg(MSG_INTERRUPT)
	s_mov_b32 m0, ttmp2
.LBB6_16795:                            ; =>This Inner Loop Header: Depth=1
	s_sethalt 5
	s_branch .LBB6_16795
.LBB6_16796:
	s_trap 2
	s_sendmsg_rtn_b32 s0, sendmsg(MSG_RTN_GET_DOORBELL)
	s_mov_b32 ttmp2, m0
	s_waitcnt lgkmcnt(0)
	s_and_b32 s0, s0, 0x3ff
	s_delay_alu instid0(SALU_CYCLE_1) | instskip(NEXT) | instid1(SALU_CYCLE_1)
	s_bitset1_b32 s0, 10
	s_mov_b32 m0, s0
	s_sendmsg sendmsg(MSG_INTERRUPT)
	s_mov_b32 m0, ttmp2
.LBB6_16797:                            ; =>This Inner Loop Header: Depth=1
	s_sethalt 5
	s_branch .LBB6_16797
.LBB6_16798:
	s_trap 2
	s_sendmsg_rtn_b32 s0, sendmsg(MSG_RTN_GET_DOORBELL)
	s_mov_b32 ttmp2, m0
	s_waitcnt lgkmcnt(0)
	s_and_b32 s0, s0, 0x3ff
	s_delay_alu instid0(SALU_CYCLE_1) | instskip(NEXT) | instid1(SALU_CYCLE_1)
	s_bitset1_b32 s0, 10
	s_mov_b32 m0, s0
	s_sendmsg sendmsg(MSG_INTERRUPT)
	s_mov_b32 m0, ttmp2
.LBB6_16799:                            ; =>This Inner Loop Header: Depth=1
	s_sethalt 5
	s_branch .LBB6_16799
.LBB6_16800:
	s_trap 2
	s_sendmsg_rtn_b32 s0, sendmsg(MSG_RTN_GET_DOORBELL)
	s_mov_b32 ttmp2, m0
	s_waitcnt lgkmcnt(0)
	s_and_b32 s0, s0, 0x3ff
	s_delay_alu instid0(SALU_CYCLE_1) | instskip(NEXT) | instid1(SALU_CYCLE_1)
	s_bitset1_b32 s0, 10
	s_mov_b32 m0, s0
	s_sendmsg sendmsg(MSG_INTERRUPT)
	s_mov_b32 m0, ttmp2
.LBB6_16801:                            ; =>This Inner Loop Header: Depth=1
	s_sethalt 5
	s_branch .LBB6_16801
.LBB6_16802:
	s_trap 2
	s_sendmsg_rtn_b32 s0, sendmsg(MSG_RTN_GET_DOORBELL)
	s_mov_b32 ttmp2, m0
	s_waitcnt lgkmcnt(0)
	s_and_b32 s0, s0, 0x3ff
	s_delay_alu instid0(SALU_CYCLE_1) | instskip(NEXT) | instid1(SALU_CYCLE_1)
	s_bitset1_b32 s0, 10
	s_mov_b32 m0, s0
	s_sendmsg sendmsg(MSG_INTERRUPT)
	s_mov_b32 m0, ttmp2
.LBB6_16803:                            ; =>This Inner Loop Header: Depth=1
	s_sethalt 5
	s_branch .LBB6_16803
.LBB6_16804:
	s_trap 2
	s_sendmsg_rtn_b32 s0, sendmsg(MSG_RTN_GET_DOORBELL)
	s_mov_b32 ttmp2, m0
	s_waitcnt lgkmcnt(0)
	s_and_b32 s0, s0, 0x3ff
	s_delay_alu instid0(SALU_CYCLE_1) | instskip(NEXT) | instid1(SALU_CYCLE_1)
	s_bitset1_b32 s0, 10
	s_mov_b32 m0, s0
	s_sendmsg sendmsg(MSG_INTERRUPT)
	s_mov_b32 m0, ttmp2
.LBB6_16805:                            ; =>This Inner Loop Header: Depth=1
	s_sethalt 5
	s_branch .LBB6_16805
.LBB6_16806:
	s_trap 2
	s_sendmsg_rtn_b32 s0, sendmsg(MSG_RTN_GET_DOORBELL)
	s_mov_b32 ttmp2, m0
	s_waitcnt lgkmcnt(0)
	s_and_b32 s0, s0, 0x3ff
	s_delay_alu instid0(SALU_CYCLE_1) | instskip(NEXT) | instid1(SALU_CYCLE_1)
	s_bitset1_b32 s0, 10
	s_mov_b32 m0, s0
	s_sendmsg sendmsg(MSG_INTERRUPT)
	s_mov_b32 m0, ttmp2
.LBB6_16807:                            ; =>This Inner Loop Header: Depth=1
	s_sethalt 5
	s_branch .LBB6_16807
.LBB6_16808:
	s_trap 2
	s_sendmsg_rtn_b32 s0, sendmsg(MSG_RTN_GET_DOORBELL)
	s_mov_b32 ttmp2, m0
	s_waitcnt lgkmcnt(0)
	s_and_b32 s0, s0, 0x3ff
	s_delay_alu instid0(SALU_CYCLE_1) | instskip(NEXT) | instid1(SALU_CYCLE_1)
	s_bitset1_b32 s0, 10
	s_mov_b32 m0, s0
	s_sendmsg sendmsg(MSG_INTERRUPT)
	s_mov_b32 m0, ttmp2
.LBB6_16809:                            ; =>This Inner Loop Header: Depth=1
	s_sethalt 5
	s_branch .LBB6_16809
.LBB6_16810:
	s_trap 2
	s_sendmsg_rtn_b32 s0, sendmsg(MSG_RTN_GET_DOORBELL)
	s_mov_b32 ttmp2, m0
	s_waitcnt lgkmcnt(0)
	s_and_b32 s0, s0, 0x3ff
	s_delay_alu instid0(SALU_CYCLE_1) | instskip(NEXT) | instid1(SALU_CYCLE_1)
	s_bitset1_b32 s0, 10
	s_mov_b32 m0, s0
	s_sendmsg sendmsg(MSG_INTERRUPT)
	s_mov_b32 m0, ttmp2
.LBB6_16811:                            ; =>This Inner Loop Header: Depth=1
	s_sethalt 5
	s_branch .LBB6_16811
.LBB6_16812:
	s_trap 2
	s_sendmsg_rtn_b32 s0, sendmsg(MSG_RTN_GET_DOORBELL)
	s_mov_b32 ttmp2, m0
	s_waitcnt lgkmcnt(0)
	s_and_b32 s0, s0, 0x3ff
	s_delay_alu instid0(SALU_CYCLE_1) | instskip(NEXT) | instid1(SALU_CYCLE_1)
	s_bitset1_b32 s0, 10
	s_mov_b32 m0, s0
	s_sendmsg sendmsg(MSG_INTERRUPT)
	s_mov_b32 m0, ttmp2
.LBB6_16813:                            ; =>This Inner Loop Header: Depth=1
	s_sethalt 5
	s_branch .LBB6_16813
.LBB6_16814:
	s_trap 2
	s_sendmsg_rtn_b32 s0, sendmsg(MSG_RTN_GET_DOORBELL)
	s_mov_b32 ttmp2, m0
	s_waitcnt lgkmcnt(0)
	s_and_b32 s0, s0, 0x3ff
	s_delay_alu instid0(SALU_CYCLE_1) | instskip(NEXT) | instid1(SALU_CYCLE_1)
	s_bitset1_b32 s0, 10
	s_mov_b32 m0, s0
	s_sendmsg sendmsg(MSG_INTERRUPT)
	s_mov_b32 m0, ttmp2
.LBB6_16815:                            ; =>This Inner Loop Header: Depth=1
	s_sethalt 5
	s_branch .LBB6_16815
.LBB6_16816:
	s_trap 2
	s_sendmsg_rtn_b32 s0, sendmsg(MSG_RTN_GET_DOORBELL)
	s_mov_b32 ttmp2, m0
	s_waitcnt lgkmcnt(0)
	s_and_b32 s0, s0, 0x3ff
	s_delay_alu instid0(SALU_CYCLE_1) | instskip(NEXT) | instid1(SALU_CYCLE_1)
	s_bitset1_b32 s0, 10
	s_mov_b32 m0, s0
	s_sendmsg sendmsg(MSG_INTERRUPT)
	s_mov_b32 m0, ttmp2
.LBB6_16817:                            ; =>This Inner Loop Header: Depth=1
	s_sethalt 5
	s_branch .LBB6_16817
.LBB6_16818:
	s_trap 2
	s_sendmsg_rtn_b32 s0, sendmsg(MSG_RTN_GET_DOORBELL)
	s_mov_b32 ttmp2, m0
	s_waitcnt lgkmcnt(0)
	s_and_b32 s0, s0, 0x3ff
	s_delay_alu instid0(SALU_CYCLE_1) | instskip(NEXT) | instid1(SALU_CYCLE_1)
	s_bitset1_b32 s0, 10
	s_mov_b32 m0, s0
	s_sendmsg sendmsg(MSG_INTERRUPT)
	s_mov_b32 m0, ttmp2
.LBB6_16819:                            ; =>This Inner Loop Header: Depth=1
	s_sethalt 5
	s_branch .LBB6_16819
.LBB6_16820:
	s_trap 2
	s_sendmsg_rtn_b32 s0, sendmsg(MSG_RTN_GET_DOORBELL)
	s_mov_b32 ttmp2, m0
	s_waitcnt lgkmcnt(0)
	s_and_b32 s0, s0, 0x3ff
	s_delay_alu instid0(SALU_CYCLE_1) | instskip(NEXT) | instid1(SALU_CYCLE_1)
	s_bitset1_b32 s0, 10
	s_mov_b32 m0, s0
	s_sendmsg sendmsg(MSG_INTERRUPT)
	s_mov_b32 m0, ttmp2
.LBB6_16821:                            ; =>This Inner Loop Header: Depth=1
	s_sethalt 5
	s_branch .LBB6_16821
.LBB6_16822:
	s_trap 2
	s_sendmsg_rtn_b32 s0, sendmsg(MSG_RTN_GET_DOORBELL)
	s_mov_b32 ttmp2, m0
	s_waitcnt lgkmcnt(0)
	s_and_b32 s0, s0, 0x3ff
	s_delay_alu instid0(SALU_CYCLE_1) | instskip(NEXT) | instid1(SALU_CYCLE_1)
	s_bitset1_b32 s0, 10
	s_mov_b32 m0, s0
	s_sendmsg sendmsg(MSG_INTERRUPT)
	s_mov_b32 m0, ttmp2
.LBB6_16823:                            ; =>This Inner Loop Header: Depth=1
	s_sethalt 5
	s_branch .LBB6_16823
.LBB6_16824:
	s_trap 2
	s_sendmsg_rtn_b32 s0, sendmsg(MSG_RTN_GET_DOORBELL)
	s_mov_b32 ttmp2, m0
	s_waitcnt lgkmcnt(0)
	s_and_b32 s0, s0, 0x3ff
	s_delay_alu instid0(SALU_CYCLE_1) | instskip(NEXT) | instid1(SALU_CYCLE_1)
	s_bitset1_b32 s0, 10
	s_mov_b32 m0, s0
	s_sendmsg sendmsg(MSG_INTERRUPT)
	s_mov_b32 m0, ttmp2
.LBB6_16825:                            ; =>This Inner Loop Header: Depth=1
	s_sethalt 5
	s_branch .LBB6_16825
.LBB6_16826:
	s_trap 2
	s_sendmsg_rtn_b32 s0, sendmsg(MSG_RTN_GET_DOORBELL)
	s_mov_b32 ttmp2, m0
	s_waitcnt lgkmcnt(0)
	s_and_b32 s0, s0, 0x3ff
	s_delay_alu instid0(SALU_CYCLE_1) | instskip(NEXT) | instid1(SALU_CYCLE_1)
	s_bitset1_b32 s0, 10
	s_mov_b32 m0, s0
	s_sendmsg sendmsg(MSG_INTERRUPT)
	s_mov_b32 m0, ttmp2
.LBB6_16827:                            ; =>This Inner Loop Header: Depth=1
	s_sethalt 5
	s_branch .LBB6_16827
.LBB6_16828:
	s_trap 2
	s_sendmsg_rtn_b32 s0, sendmsg(MSG_RTN_GET_DOORBELL)
	s_mov_b32 ttmp2, m0
	s_waitcnt lgkmcnt(0)
	s_and_b32 s0, s0, 0x3ff
	s_delay_alu instid0(SALU_CYCLE_1) | instskip(NEXT) | instid1(SALU_CYCLE_1)
	s_bitset1_b32 s0, 10
	s_mov_b32 m0, s0
	s_sendmsg sendmsg(MSG_INTERRUPT)
	s_mov_b32 m0, ttmp2
.LBB6_16829:                            ; =>This Inner Loop Header: Depth=1
	s_sethalt 5
	s_branch .LBB6_16829
.LBB6_16830:
	s_trap 2
	s_sendmsg_rtn_b32 s0, sendmsg(MSG_RTN_GET_DOORBELL)
	s_mov_b32 ttmp2, m0
	s_waitcnt lgkmcnt(0)
	s_and_b32 s0, s0, 0x3ff
	s_delay_alu instid0(SALU_CYCLE_1) | instskip(NEXT) | instid1(SALU_CYCLE_1)
	s_bitset1_b32 s0, 10
	s_mov_b32 m0, s0
	s_sendmsg sendmsg(MSG_INTERRUPT)
	s_mov_b32 m0, ttmp2
.LBB6_16831:                            ; =>This Inner Loop Header: Depth=1
	s_sethalt 5
	s_branch .LBB6_16831
.LBB6_16832:
	s_trap 2
	s_sendmsg_rtn_b32 s0, sendmsg(MSG_RTN_GET_DOORBELL)
	s_mov_b32 ttmp2, m0
	s_waitcnt lgkmcnt(0)
	s_and_b32 s0, s0, 0x3ff
	s_delay_alu instid0(SALU_CYCLE_1) | instskip(NEXT) | instid1(SALU_CYCLE_1)
	s_bitset1_b32 s0, 10
	s_mov_b32 m0, s0
	s_sendmsg sendmsg(MSG_INTERRUPT)
	s_mov_b32 m0, ttmp2
.LBB6_16833:                            ; =>This Inner Loop Header: Depth=1
	s_sethalt 5
	s_branch .LBB6_16833
.LBB6_16834:
	s_trap 2
	s_sendmsg_rtn_b32 s0, sendmsg(MSG_RTN_GET_DOORBELL)
	s_mov_b32 ttmp2, m0
	s_waitcnt lgkmcnt(0)
	s_and_b32 s0, s0, 0x3ff
	s_delay_alu instid0(SALU_CYCLE_1) | instskip(NEXT) | instid1(SALU_CYCLE_1)
	s_bitset1_b32 s0, 10
	s_mov_b32 m0, s0
	s_sendmsg sendmsg(MSG_INTERRUPT)
	s_mov_b32 m0, ttmp2
.LBB6_16835:                            ; =>This Inner Loop Header: Depth=1
	s_sethalt 5
	s_branch .LBB6_16835
.LBB6_16836:
	s_trap 2
	s_sendmsg_rtn_b32 s0, sendmsg(MSG_RTN_GET_DOORBELL)
	s_mov_b32 ttmp2, m0
	s_waitcnt lgkmcnt(0)
	s_and_b32 s0, s0, 0x3ff
	s_delay_alu instid0(SALU_CYCLE_1) | instskip(NEXT) | instid1(SALU_CYCLE_1)
	s_bitset1_b32 s0, 10
	s_mov_b32 m0, s0
	s_sendmsg sendmsg(MSG_INTERRUPT)
	s_mov_b32 m0, ttmp2
.LBB6_16837:                            ; =>This Inner Loop Header: Depth=1
	s_sethalt 5
	s_branch .LBB6_16837
.LBB6_16838:
	s_trap 2
	s_sendmsg_rtn_b32 s0, sendmsg(MSG_RTN_GET_DOORBELL)
	s_mov_b32 ttmp2, m0
	s_waitcnt lgkmcnt(0)
	s_and_b32 s0, s0, 0x3ff
	s_delay_alu instid0(SALU_CYCLE_1) | instskip(NEXT) | instid1(SALU_CYCLE_1)
	s_bitset1_b32 s0, 10
	s_mov_b32 m0, s0
	s_sendmsg sendmsg(MSG_INTERRUPT)
	s_mov_b32 m0, ttmp2
.LBB6_16839:                            ; =>This Inner Loop Header: Depth=1
	s_sethalt 5
	s_branch .LBB6_16839
.LBB6_16840:
	s_trap 2
	s_sendmsg_rtn_b32 s0, sendmsg(MSG_RTN_GET_DOORBELL)
	s_mov_b32 ttmp2, m0
	s_waitcnt lgkmcnt(0)
	s_and_b32 s0, s0, 0x3ff
	s_delay_alu instid0(SALU_CYCLE_1) | instskip(NEXT) | instid1(SALU_CYCLE_1)
	s_bitset1_b32 s0, 10
	s_mov_b32 m0, s0
	s_sendmsg sendmsg(MSG_INTERRUPT)
	s_mov_b32 m0, ttmp2
.LBB6_16841:                            ; =>This Inner Loop Header: Depth=1
	s_sethalt 5
	s_branch .LBB6_16841
.LBB6_16842:
	s_trap 2
	s_sendmsg_rtn_b32 s0, sendmsg(MSG_RTN_GET_DOORBELL)
	s_mov_b32 ttmp2, m0
	s_waitcnt lgkmcnt(0)
	s_and_b32 s0, s0, 0x3ff
	s_delay_alu instid0(SALU_CYCLE_1) | instskip(NEXT) | instid1(SALU_CYCLE_1)
	s_bitset1_b32 s0, 10
	s_mov_b32 m0, s0
	s_sendmsg sendmsg(MSG_INTERRUPT)
	s_mov_b32 m0, ttmp2
.LBB6_16843:                            ; =>This Inner Loop Header: Depth=1
	s_sethalt 5
	s_branch .LBB6_16843
.LBB6_16844:
	s_trap 2
	s_sendmsg_rtn_b32 s0, sendmsg(MSG_RTN_GET_DOORBELL)
	s_mov_b32 ttmp2, m0
	s_waitcnt lgkmcnt(0)
	s_and_b32 s0, s0, 0x3ff
	s_delay_alu instid0(SALU_CYCLE_1) | instskip(NEXT) | instid1(SALU_CYCLE_1)
	s_bitset1_b32 s0, 10
	s_mov_b32 m0, s0
	s_sendmsg sendmsg(MSG_INTERRUPT)
	s_mov_b32 m0, ttmp2
.LBB6_16845:                            ; =>This Inner Loop Header: Depth=1
	s_sethalt 5
	s_branch .LBB6_16845
.LBB6_16846:
	s_trap 2
	s_sendmsg_rtn_b32 s0, sendmsg(MSG_RTN_GET_DOORBELL)
	s_mov_b32 ttmp2, m0
	s_waitcnt lgkmcnt(0)
	s_and_b32 s0, s0, 0x3ff
	s_delay_alu instid0(SALU_CYCLE_1) | instskip(NEXT) | instid1(SALU_CYCLE_1)
	s_bitset1_b32 s0, 10
	s_mov_b32 m0, s0
	s_sendmsg sendmsg(MSG_INTERRUPT)
	s_mov_b32 m0, ttmp2
.LBB6_16847:                            ; =>This Inner Loop Header: Depth=1
	s_sethalt 5
	s_branch .LBB6_16847
.LBB6_16848:
	s_trap 2
	s_sendmsg_rtn_b32 s0, sendmsg(MSG_RTN_GET_DOORBELL)
	s_mov_b32 ttmp2, m0
	s_waitcnt lgkmcnt(0)
	s_and_b32 s0, s0, 0x3ff
	s_delay_alu instid0(SALU_CYCLE_1) | instskip(NEXT) | instid1(SALU_CYCLE_1)
	s_bitset1_b32 s0, 10
	s_mov_b32 m0, s0
	s_sendmsg sendmsg(MSG_INTERRUPT)
	s_mov_b32 m0, ttmp2
.LBB6_16849:                            ; =>This Inner Loop Header: Depth=1
	s_sethalt 5
	s_branch .LBB6_16849
.LBB6_16850:
	s_trap 2
	s_sendmsg_rtn_b32 s0, sendmsg(MSG_RTN_GET_DOORBELL)
	s_mov_b32 ttmp2, m0
	s_waitcnt lgkmcnt(0)
	s_and_b32 s0, s0, 0x3ff
	s_delay_alu instid0(SALU_CYCLE_1) | instskip(NEXT) | instid1(SALU_CYCLE_1)
	s_bitset1_b32 s0, 10
	s_mov_b32 m0, s0
	s_sendmsg sendmsg(MSG_INTERRUPT)
	s_mov_b32 m0, ttmp2
.LBB6_16851:                            ; =>This Inner Loop Header: Depth=1
	s_sethalt 5
	s_branch .LBB6_16851
.LBB6_16852:
	s_trap 2
	s_sendmsg_rtn_b32 s0, sendmsg(MSG_RTN_GET_DOORBELL)
	s_mov_b32 ttmp2, m0
	s_waitcnt lgkmcnt(0)
	s_and_b32 s0, s0, 0x3ff
	s_delay_alu instid0(SALU_CYCLE_1) | instskip(NEXT) | instid1(SALU_CYCLE_1)
	s_bitset1_b32 s0, 10
	s_mov_b32 m0, s0
	s_sendmsg sendmsg(MSG_INTERRUPT)
	s_mov_b32 m0, ttmp2
.LBB6_16853:                            ; =>This Inner Loop Header: Depth=1
	s_sethalt 5
	s_branch .LBB6_16853
.LBB6_16854:
	s_trap 2
	s_sendmsg_rtn_b32 s0, sendmsg(MSG_RTN_GET_DOORBELL)
	s_mov_b32 ttmp2, m0
	s_waitcnt lgkmcnt(0)
	s_and_b32 s0, s0, 0x3ff
	s_delay_alu instid0(SALU_CYCLE_1) | instskip(NEXT) | instid1(SALU_CYCLE_1)
	s_bitset1_b32 s0, 10
	s_mov_b32 m0, s0
	s_sendmsg sendmsg(MSG_INTERRUPT)
	s_mov_b32 m0, ttmp2
.LBB6_16855:                            ; =>This Inner Loop Header: Depth=1
	s_sethalt 5
	s_branch .LBB6_16855
.LBB6_16856:
	s_trap 2
	s_sendmsg_rtn_b32 s0, sendmsg(MSG_RTN_GET_DOORBELL)
	s_mov_b32 ttmp2, m0
	s_waitcnt lgkmcnt(0)
	s_and_b32 s0, s0, 0x3ff
	s_delay_alu instid0(SALU_CYCLE_1) | instskip(NEXT) | instid1(SALU_CYCLE_1)
	s_bitset1_b32 s0, 10
	s_mov_b32 m0, s0
	s_sendmsg sendmsg(MSG_INTERRUPT)
	s_mov_b32 m0, ttmp2
.LBB6_16857:                            ; =>This Inner Loop Header: Depth=1
	s_sethalt 5
	s_branch .LBB6_16857
.LBB6_16858:
	s_trap 2
	s_sendmsg_rtn_b32 s0, sendmsg(MSG_RTN_GET_DOORBELL)
	s_mov_b32 ttmp2, m0
	s_waitcnt lgkmcnt(0)
	s_and_b32 s0, s0, 0x3ff
	s_delay_alu instid0(SALU_CYCLE_1) | instskip(NEXT) | instid1(SALU_CYCLE_1)
	s_bitset1_b32 s0, 10
	s_mov_b32 m0, s0
	s_sendmsg sendmsg(MSG_INTERRUPT)
	s_mov_b32 m0, ttmp2
.LBB6_16859:                            ; =>This Inner Loop Header: Depth=1
	s_sethalt 5
	s_branch .LBB6_16859
.LBB6_16860:
	s_trap 2
	s_sendmsg_rtn_b32 s0, sendmsg(MSG_RTN_GET_DOORBELL)
	s_mov_b32 ttmp2, m0
	s_waitcnt lgkmcnt(0)
	s_and_b32 s0, s0, 0x3ff
	s_delay_alu instid0(SALU_CYCLE_1) | instskip(NEXT) | instid1(SALU_CYCLE_1)
	s_bitset1_b32 s0, 10
	s_mov_b32 m0, s0
	s_sendmsg sendmsg(MSG_INTERRUPT)
	s_mov_b32 m0, ttmp2
.LBB6_16861:                            ; =>This Inner Loop Header: Depth=1
	s_sethalt 5
	s_branch .LBB6_16861
.LBB6_16862:
	s_trap 2
	s_sendmsg_rtn_b32 s0, sendmsg(MSG_RTN_GET_DOORBELL)
	s_mov_b32 ttmp2, m0
	s_waitcnt lgkmcnt(0)
	s_and_b32 s0, s0, 0x3ff
	s_delay_alu instid0(SALU_CYCLE_1) | instskip(NEXT) | instid1(SALU_CYCLE_1)
	s_bitset1_b32 s0, 10
	s_mov_b32 m0, s0
	s_sendmsg sendmsg(MSG_INTERRUPT)
	s_mov_b32 m0, ttmp2
.LBB6_16863:                            ; =>This Inner Loop Header: Depth=1
	s_sethalt 5
	s_branch .LBB6_16863
.LBB6_16864:
	s_trap 2
	s_sendmsg_rtn_b32 s0, sendmsg(MSG_RTN_GET_DOORBELL)
	s_mov_b32 ttmp2, m0
	s_waitcnt lgkmcnt(0)
	s_and_b32 s0, s0, 0x3ff
	s_delay_alu instid0(SALU_CYCLE_1) | instskip(NEXT) | instid1(SALU_CYCLE_1)
	s_bitset1_b32 s0, 10
	s_mov_b32 m0, s0
	s_sendmsg sendmsg(MSG_INTERRUPT)
	s_mov_b32 m0, ttmp2
.LBB6_16865:                            ; =>This Inner Loop Header: Depth=1
	s_sethalt 5
	s_branch .LBB6_16865
.LBB6_16866:
	s_trap 2
	s_sendmsg_rtn_b32 s0, sendmsg(MSG_RTN_GET_DOORBELL)
	s_mov_b32 ttmp2, m0
	s_waitcnt lgkmcnt(0)
	s_and_b32 s0, s0, 0x3ff
	s_delay_alu instid0(SALU_CYCLE_1) | instskip(NEXT) | instid1(SALU_CYCLE_1)
	s_bitset1_b32 s0, 10
	s_mov_b32 m0, s0
	s_sendmsg sendmsg(MSG_INTERRUPT)
	s_mov_b32 m0, ttmp2
.LBB6_16867:                            ; =>This Inner Loop Header: Depth=1
	s_sethalt 5
	s_branch .LBB6_16867
.LBB6_16868:
	s_trap 2
	s_sendmsg_rtn_b32 s0, sendmsg(MSG_RTN_GET_DOORBELL)
	s_mov_b32 ttmp2, m0
	s_waitcnt lgkmcnt(0)
	s_and_b32 s0, s0, 0x3ff
	s_delay_alu instid0(SALU_CYCLE_1) | instskip(NEXT) | instid1(SALU_CYCLE_1)
	s_bitset1_b32 s0, 10
	s_mov_b32 m0, s0
	s_sendmsg sendmsg(MSG_INTERRUPT)
	s_mov_b32 m0, ttmp2
.LBB6_16869:                            ; =>This Inner Loop Header: Depth=1
	s_sethalt 5
	s_branch .LBB6_16869
.LBB6_16870:
	s_trap 2
	s_sendmsg_rtn_b32 s0, sendmsg(MSG_RTN_GET_DOORBELL)
	s_mov_b32 ttmp2, m0
	s_waitcnt lgkmcnt(0)
	s_and_b32 s0, s0, 0x3ff
	s_delay_alu instid0(SALU_CYCLE_1) | instskip(NEXT) | instid1(SALU_CYCLE_1)
	s_bitset1_b32 s0, 10
	s_mov_b32 m0, s0
	s_sendmsg sendmsg(MSG_INTERRUPT)
	s_mov_b32 m0, ttmp2
.LBB6_16871:                            ; =>This Inner Loop Header: Depth=1
	s_sethalt 5
	s_branch .LBB6_16871
.LBB6_16872:
	s_trap 2
	s_sendmsg_rtn_b32 s0, sendmsg(MSG_RTN_GET_DOORBELL)
	s_mov_b32 ttmp2, m0
	s_waitcnt lgkmcnt(0)
	s_and_b32 s0, s0, 0x3ff
	s_delay_alu instid0(SALU_CYCLE_1) | instskip(NEXT) | instid1(SALU_CYCLE_1)
	s_bitset1_b32 s0, 10
	s_mov_b32 m0, s0
	s_sendmsg sendmsg(MSG_INTERRUPT)
	s_mov_b32 m0, ttmp2
.LBB6_16873:                            ; =>This Inner Loop Header: Depth=1
	s_sethalt 5
	s_branch .LBB6_16873
.LBB6_16874:
	s_trap 2
	s_sendmsg_rtn_b32 s0, sendmsg(MSG_RTN_GET_DOORBELL)
	s_mov_b32 ttmp2, m0
	s_waitcnt lgkmcnt(0)
	s_and_b32 s0, s0, 0x3ff
	s_delay_alu instid0(SALU_CYCLE_1) | instskip(NEXT) | instid1(SALU_CYCLE_1)
	s_bitset1_b32 s0, 10
	s_mov_b32 m0, s0
	s_sendmsg sendmsg(MSG_INTERRUPT)
	s_mov_b32 m0, ttmp2
.LBB6_16875:                            ; =>This Inner Loop Header: Depth=1
	s_sethalt 5
	s_branch .LBB6_16875
.LBB6_16876:
	s_trap 2
	s_sendmsg_rtn_b32 s0, sendmsg(MSG_RTN_GET_DOORBELL)
	s_mov_b32 ttmp2, m0
	s_waitcnt lgkmcnt(0)
	s_and_b32 s0, s0, 0x3ff
	s_delay_alu instid0(SALU_CYCLE_1) | instskip(NEXT) | instid1(SALU_CYCLE_1)
	s_bitset1_b32 s0, 10
	s_mov_b32 m0, s0
	s_sendmsg sendmsg(MSG_INTERRUPT)
	s_mov_b32 m0, ttmp2
.LBB6_16877:                            ; =>This Inner Loop Header: Depth=1
	s_sethalt 5
	s_branch .LBB6_16877
.LBB6_16878:
	s_trap 2
	s_sendmsg_rtn_b32 s0, sendmsg(MSG_RTN_GET_DOORBELL)
	s_mov_b32 ttmp2, m0
	s_waitcnt lgkmcnt(0)
	s_and_b32 s0, s0, 0x3ff
	s_delay_alu instid0(SALU_CYCLE_1) | instskip(NEXT) | instid1(SALU_CYCLE_1)
	s_bitset1_b32 s0, 10
	s_mov_b32 m0, s0
	s_sendmsg sendmsg(MSG_INTERRUPT)
	s_mov_b32 m0, ttmp2
.LBB6_16879:                            ; =>This Inner Loop Header: Depth=1
	s_sethalt 5
	s_branch .LBB6_16879
.LBB6_16880:
	s_trap 2
	s_sendmsg_rtn_b32 s0, sendmsg(MSG_RTN_GET_DOORBELL)
	s_mov_b32 ttmp2, m0
	s_waitcnt lgkmcnt(0)
	s_and_b32 s0, s0, 0x3ff
	s_delay_alu instid0(SALU_CYCLE_1) | instskip(NEXT) | instid1(SALU_CYCLE_1)
	s_bitset1_b32 s0, 10
	s_mov_b32 m0, s0
	s_sendmsg sendmsg(MSG_INTERRUPT)
	s_mov_b32 m0, ttmp2
.LBB6_16881:                            ; =>This Inner Loop Header: Depth=1
	s_sethalt 5
	s_branch .LBB6_16881
.LBB6_16882:
	s_trap 2
	s_sendmsg_rtn_b32 s0, sendmsg(MSG_RTN_GET_DOORBELL)
	s_mov_b32 ttmp2, m0
	s_waitcnt lgkmcnt(0)
	s_and_b32 s0, s0, 0x3ff
	s_delay_alu instid0(SALU_CYCLE_1) | instskip(NEXT) | instid1(SALU_CYCLE_1)
	s_bitset1_b32 s0, 10
	s_mov_b32 m0, s0
	s_sendmsg sendmsg(MSG_INTERRUPT)
	s_mov_b32 m0, ttmp2
.LBB6_16883:                            ; =>This Inner Loop Header: Depth=1
	s_sethalt 5
	s_branch .LBB6_16883
.LBB6_16884:
	s_trap 2
	s_sendmsg_rtn_b32 s0, sendmsg(MSG_RTN_GET_DOORBELL)
	s_mov_b32 ttmp2, m0
	s_waitcnt lgkmcnt(0)
	s_and_b32 s0, s0, 0x3ff
	s_delay_alu instid0(SALU_CYCLE_1) | instskip(NEXT) | instid1(SALU_CYCLE_1)
	s_bitset1_b32 s0, 10
	s_mov_b32 m0, s0
	s_sendmsg sendmsg(MSG_INTERRUPT)
	s_mov_b32 m0, ttmp2
.LBB6_16885:                            ; =>This Inner Loop Header: Depth=1
	s_sethalt 5
	s_branch .LBB6_16885
.LBB6_16886:
	s_trap 2
	s_sendmsg_rtn_b32 s0, sendmsg(MSG_RTN_GET_DOORBELL)
	s_mov_b32 ttmp2, m0
	s_waitcnt lgkmcnt(0)
	s_and_b32 s0, s0, 0x3ff
	s_delay_alu instid0(SALU_CYCLE_1) | instskip(NEXT) | instid1(SALU_CYCLE_1)
	s_bitset1_b32 s0, 10
	s_mov_b32 m0, s0
	s_sendmsg sendmsg(MSG_INTERRUPT)
	s_mov_b32 m0, ttmp2
.LBB6_16887:                            ; =>This Inner Loop Header: Depth=1
	s_sethalt 5
	s_branch .LBB6_16887
.LBB6_16888:
	s_trap 2
	s_sendmsg_rtn_b32 s0, sendmsg(MSG_RTN_GET_DOORBELL)
	s_mov_b32 ttmp2, m0
	s_waitcnt lgkmcnt(0)
	s_and_b32 s0, s0, 0x3ff
	s_delay_alu instid0(SALU_CYCLE_1) | instskip(NEXT) | instid1(SALU_CYCLE_1)
	s_bitset1_b32 s0, 10
	s_mov_b32 m0, s0
	s_sendmsg sendmsg(MSG_INTERRUPT)
	s_mov_b32 m0, ttmp2
.LBB6_16889:                            ; =>This Inner Loop Header: Depth=1
	s_sethalt 5
	s_branch .LBB6_16889
.LBB6_16890:
	s_trap 2
	s_sendmsg_rtn_b32 s0, sendmsg(MSG_RTN_GET_DOORBELL)
	s_mov_b32 ttmp2, m0
	s_waitcnt lgkmcnt(0)
	s_and_b32 s0, s0, 0x3ff
	s_delay_alu instid0(SALU_CYCLE_1) | instskip(NEXT) | instid1(SALU_CYCLE_1)
	s_bitset1_b32 s0, 10
	s_mov_b32 m0, s0
	s_sendmsg sendmsg(MSG_INTERRUPT)
	s_mov_b32 m0, ttmp2
.LBB6_16891:                            ; =>This Inner Loop Header: Depth=1
	s_sethalt 5
	s_branch .LBB6_16891
.LBB6_16892:
	s_trap 2
	s_sendmsg_rtn_b32 s0, sendmsg(MSG_RTN_GET_DOORBELL)
	s_mov_b32 ttmp2, m0
	s_waitcnt lgkmcnt(0)
	s_and_b32 s0, s0, 0x3ff
	s_delay_alu instid0(SALU_CYCLE_1) | instskip(NEXT) | instid1(SALU_CYCLE_1)
	s_bitset1_b32 s0, 10
	s_mov_b32 m0, s0
	s_sendmsg sendmsg(MSG_INTERRUPT)
	s_mov_b32 m0, ttmp2
.LBB6_16893:                            ; =>This Inner Loop Header: Depth=1
	s_sethalt 5
	s_branch .LBB6_16893
.LBB6_16894:
	s_or_b32 exec_lo, exec_lo, s4
	s_and_saveexec_b32 s4, s5
	s_delay_alu instid0(SALU_CYCLE_1)
	s_xor_b32 s4, exec_lo, s4
	s_cbranch_execz .LBB6_16896
; %bb.16895:
	v_mov_b32_e32 v0, 1
	ds_store_b32 v0, v0
	s_cbranch_execnz .LBB6_16984
.LBB6_16896:
	s_or_b32 exec_lo, exec_lo, s3
	;;#ASMSTART
	s_wakeup
	;;#ASMEND
.LBB6_16897:
	s_or_b32 exec_lo, exec_lo, s2
.LBB6_16898:
	s_and_not1_saveexec_b32 s1, s1
	s_cbranch_execz .LBB6_16900
; %bb.16899:
	s_waitcnt vmcnt(0) lgkmcnt(0)
	s_waitcnt_vscnt null, 0x0
	buffer_gl1_inv
	buffer_gl0_inv
	s_barrier
.LBB6_16900:
	s_or_b32 exec_lo, exec_lo, s0
.LBB6_16901:
	s_and_not1_saveexec_b32 s21, s18
	s_cbranch_execz .LBB6_16903
; %bb.16902:
	s_getpc_b64 s[0:1]
	s_add_u32 s0, s0, __PRETTY_FUNCTION__._ZN10PrimitivesI11rccl_float810FuncMinMaxIS0_E12FanSymmetricILi1EELi0E11ProtoSimpleILi2ELi2ELi0ELi4ELi0ELi0EELi0ELb0ELi0ELi0ELi0EEC2EiiPKiS9_PKvPvmhhhP15ncclDevWorkCollP14ncclDevWorkP2pii@rel32@lo+4
	s_addc_u32 s1, s1, __PRETTY_FUNCTION__._ZN10PrimitivesI11rccl_float810FuncMinMaxIS0_E12FanSymmetricILi1EELi0E11ProtoSimpleILi2ELi2ELi0ELi4ELi0ELi0EELi0ELb0ELi0ELi0ELi0EEC2EiiPKiS9_PKvPvmhhhP15ncclDevWorkCollP14ncclDevWorkP2pii@rel32@hi+12
	s_delay_alu instid0(SALU_CYCLE_1) | instskip(SKIP_3) | instid1(SALU_CYCLE_1)
	v_dual_mov_b32 v0, s0 :: v_dual_mov_b32 v1, s1
	s_getpc_b64 s[2:3]
	s_add_u32 s2, s2, __assert_fail@rel32@lo+4
	s_addc_u32 s3, s3, __assert_fail@rel32@hi+12
	s_swappc_b64 s[30:31], s[2:3]
	; divergent unreachable
.LBB6_16903:
	s_or_b32 exec_lo, exec_lo, s21
	s_clause 0x1f
	scratch_load_b32 v120, off, s33
	scratch_load_b32 v111, off, s33 offset:4
	scratch_load_b32 v110, off, s33 offset:8
	;; [unrolled: 1-line block ×31, first 2 shown]
	s_clause 0x8
	scratch_load_b32 v56, off, s33 offset:128
	scratch_load_b32 v47, off, s33 offset:132
	;; [unrolled: 1-line block ×9, first 2 shown]
	v_readlane_b32 s30, v121, 13
	v_readlane_b32 s31, v121, 14
	;; [unrolled: 1-line block ×16, first 2 shown]
	s_or_saveexec_b32 s1, -1
	s_clause 0x1
	scratch_load_b32 v121, off, s33 offset:164
	scratch_load_b32 v122, off, s33 offset:168
	s_mov_b32 exec_lo, s1
	s_addk_i32 s32, 0xff50
	s_mov_b32 s33, s0
	s_waitcnt vmcnt(0) lgkmcnt(0)
	s_setpc_b64 s[30:31]
.LBB6_16904:
	s_trap 2
	s_sendmsg_rtn_b32 s0, sendmsg(MSG_RTN_GET_DOORBELL)
	s_mov_b32 ttmp2, m0
	s_waitcnt lgkmcnt(0)
	s_and_b32 s0, s0, 0x3ff
	s_delay_alu instid0(SALU_CYCLE_1) | instskip(NEXT) | instid1(SALU_CYCLE_1)
	s_bitset1_b32 s0, 10
	s_mov_b32 m0, s0
	s_sendmsg sendmsg(MSG_INTERRUPT)
	s_mov_b32 m0, ttmp2
.LBB6_16905:                            ; =>This Inner Loop Header: Depth=1
	s_sethalt 5
	s_branch .LBB6_16905
.LBB6_16906:
	s_trap 2
	s_sendmsg_rtn_b32 s0, sendmsg(MSG_RTN_GET_DOORBELL)
	s_mov_b32 ttmp2, m0
	s_waitcnt lgkmcnt(0)
	s_and_b32 s0, s0, 0x3ff
	s_delay_alu instid0(SALU_CYCLE_1) | instskip(NEXT) | instid1(SALU_CYCLE_1)
	s_bitset1_b32 s0, 10
	s_mov_b32 m0, s0
	s_sendmsg sendmsg(MSG_INTERRUPT)
	s_mov_b32 m0, ttmp2
.LBB6_16907:                            ; =>This Inner Loop Header: Depth=1
	s_sethalt 5
	s_branch .LBB6_16907
.LBB6_16908:
	s_trap 2
	s_sendmsg_rtn_b32 s0, sendmsg(MSG_RTN_GET_DOORBELL)
	s_mov_b32 ttmp2, m0
	s_waitcnt lgkmcnt(0)
	s_and_b32 s0, s0, 0x3ff
	s_delay_alu instid0(SALU_CYCLE_1) | instskip(NEXT) | instid1(SALU_CYCLE_1)
	s_bitset1_b32 s0, 10
	s_mov_b32 m0, s0
	s_sendmsg sendmsg(MSG_INTERRUPT)
	s_mov_b32 m0, ttmp2
.LBB6_16909:                            ; =>This Inner Loop Header: Depth=1
	s_sethalt 5
	s_branch .LBB6_16909
.LBB6_16910:
	s_trap 2
	s_sendmsg_rtn_b32 s0, sendmsg(MSG_RTN_GET_DOORBELL)
	s_mov_b32 ttmp2, m0
	s_waitcnt lgkmcnt(0)
	s_and_b32 s0, s0, 0x3ff
	s_delay_alu instid0(SALU_CYCLE_1) | instskip(NEXT) | instid1(SALU_CYCLE_1)
	s_bitset1_b32 s0, 10
	s_mov_b32 m0, s0
	s_sendmsg sendmsg(MSG_INTERRUPT)
	s_mov_b32 m0, ttmp2
.LBB6_16911:                            ; =>This Inner Loop Header: Depth=1
	s_sethalt 5
	s_branch .LBB6_16911
.LBB6_16912:
	s_trap 2
	s_sendmsg_rtn_b32 s0, sendmsg(MSG_RTN_GET_DOORBELL)
	s_mov_b32 ttmp2, m0
	s_waitcnt lgkmcnt(0)
	s_and_b32 s0, s0, 0x3ff
	s_delay_alu instid0(SALU_CYCLE_1) | instskip(NEXT) | instid1(SALU_CYCLE_1)
	s_bitset1_b32 s0, 10
	s_mov_b32 m0, s0
	s_sendmsg sendmsg(MSG_INTERRUPT)
	s_mov_b32 m0, ttmp2
.LBB6_16913:                            ; =>This Inner Loop Header: Depth=1
	s_sethalt 5
	s_branch .LBB6_16913
.LBB6_16914:
	s_trap 2
	s_sendmsg_rtn_b32 s0, sendmsg(MSG_RTN_GET_DOORBELL)
	s_mov_b32 ttmp2, m0
	s_waitcnt lgkmcnt(0)
	s_and_b32 s0, s0, 0x3ff
	s_delay_alu instid0(SALU_CYCLE_1) | instskip(NEXT) | instid1(SALU_CYCLE_1)
	s_bitset1_b32 s0, 10
	s_mov_b32 m0, s0
	s_sendmsg sendmsg(MSG_INTERRUPT)
	s_mov_b32 m0, ttmp2
.LBB6_16915:                            ; =>This Inner Loop Header: Depth=1
	s_sethalt 5
	s_branch .LBB6_16915
.LBB6_16916:
	s_trap 2
	s_sendmsg_rtn_b32 s0, sendmsg(MSG_RTN_GET_DOORBELL)
	s_mov_b32 ttmp2, m0
	s_waitcnt lgkmcnt(0)
	s_and_b32 s0, s0, 0x3ff
	s_delay_alu instid0(SALU_CYCLE_1) | instskip(NEXT) | instid1(SALU_CYCLE_1)
	s_bitset1_b32 s0, 10
	s_mov_b32 m0, s0
	s_sendmsg sendmsg(MSG_INTERRUPT)
	s_mov_b32 m0, ttmp2
.LBB6_16917:                            ; =>This Inner Loop Header: Depth=1
	s_sethalt 5
	s_branch .LBB6_16917
.LBB6_16918:
	s_trap 2
	s_sendmsg_rtn_b32 s0, sendmsg(MSG_RTN_GET_DOORBELL)
	s_mov_b32 ttmp2, m0
	s_waitcnt lgkmcnt(0)
	s_and_b32 s0, s0, 0x3ff
	s_delay_alu instid0(SALU_CYCLE_1) | instskip(NEXT) | instid1(SALU_CYCLE_1)
	s_bitset1_b32 s0, 10
	s_mov_b32 m0, s0
	s_sendmsg sendmsg(MSG_INTERRUPT)
	s_mov_b32 m0, ttmp2
.LBB6_16919:                            ; =>This Inner Loop Header: Depth=1
	s_sethalt 5
	s_branch .LBB6_16919
.LBB6_16920:
	s_trap 2
	s_sendmsg_rtn_b32 s0, sendmsg(MSG_RTN_GET_DOORBELL)
	s_mov_b32 ttmp2, m0
	s_waitcnt lgkmcnt(0)
	s_and_b32 s0, s0, 0x3ff
	s_delay_alu instid0(SALU_CYCLE_1) | instskip(NEXT) | instid1(SALU_CYCLE_1)
	s_bitset1_b32 s0, 10
	s_mov_b32 m0, s0
	s_sendmsg sendmsg(MSG_INTERRUPT)
	s_mov_b32 m0, ttmp2
.LBB6_16921:                            ; =>This Inner Loop Header: Depth=1
	s_sethalt 5
	s_branch .LBB6_16921
.LBB6_16922:
	s_trap 2
	s_sendmsg_rtn_b32 s0, sendmsg(MSG_RTN_GET_DOORBELL)
	s_mov_b32 ttmp2, m0
	s_waitcnt lgkmcnt(0)
	s_and_b32 s0, s0, 0x3ff
	s_delay_alu instid0(SALU_CYCLE_1) | instskip(NEXT) | instid1(SALU_CYCLE_1)
	s_bitset1_b32 s0, 10
	s_mov_b32 m0, s0
	s_sendmsg sendmsg(MSG_INTERRUPT)
	s_mov_b32 m0, ttmp2
.LBB6_16923:                            ; =>This Inner Loop Header: Depth=1
	s_sethalt 5
	s_branch .LBB6_16923
.LBB6_16924:
	s_trap 2
	s_sendmsg_rtn_b32 s0, sendmsg(MSG_RTN_GET_DOORBELL)
	s_mov_b32 ttmp2, m0
	s_waitcnt lgkmcnt(0)
	s_and_b32 s0, s0, 0x3ff
	s_delay_alu instid0(SALU_CYCLE_1) | instskip(NEXT) | instid1(SALU_CYCLE_1)
	s_bitset1_b32 s0, 10
	s_mov_b32 m0, s0
	s_sendmsg sendmsg(MSG_INTERRUPT)
	s_mov_b32 m0, ttmp2
.LBB6_16925:                            ; =>This Inner Loop Header: Depth=1
	s_sethalt 5
	s_branch .LBB6_16925
.LBB6_16926:
	s_trap 2
	s_sendmsg_rtn_b32 s0, sendmsg(MSG_RTN_GET_DOORBELL)
	s_mov_b32 ttmp2, m0
	s_waitcnt lgkmcnt(0)
	s_and_b32 s0, s0, 0x3ff
	s_delay_alu instid0(SALU_CYCLE_1) | instskip(NEXT) | instid1(SALU_CYCLE_1)
	s_bitset1_b32 s0, 10
	s_mov_b32 m0, s0
	s_sendmsg sendmsg(MSG_INTERRUPT)
	s_mov_b32 m0, ttmp2
.LBB6_16927:                            ; =>This Inner Loop Header: Depth=1
	s_sethalt 5
	s_branch .LBB6_16927
.LBB6_16928:
	s_trap 2
	s_sendmsg_rtn_b32 s0, sendmsg(MSG_RTN_GET_DOORBELL)
	s_mov_b32 ttmp2, m0
	s_waitcnt lgkmcnt(0)
	s_and_b32 s0, s0, 0x3ff
	s_delay_alu instid0(SALU_CYCLE_1) | instskip(NEXT) | instid1(SALU_CYCLE_1)
	s_bitset1_b32 s0, 10
	s_mov_b32 m0, s0
	s_sendmsg sendmsg(MSG_INTERRUPT)
	s_mov_b32 m0, ttmp2
.LBB6_16929:                            ; =>This Inner Loop Header: Depth=1
	s_sethalt 5
	s_branch .LBB6_16929
.LBB6_16930:
	s_trap 2
	s_sendmsg_rtn_b32 s0, sendmsg(MSG_RTN_GET_DOORBELL)
	s_mov_b32 ttmp2, m0
	s_waitcnt lgkmcnt(0)
	s_and_b32 s0, s0, 0x3ff
	s_delay_alu instid0(SALU_CYCLE_1) | instskip(NEXT) | instid1(SALU_CYCLE_1)
	s_bitset1_b32 s0, 10
	s_mov_b32 m0, s0
	s_sendmsg sendmsg(MSG_INTERRUPT)
	s_mov_b32 m0, ttmp2
.LBB6_16931:                            ; =>This Inner Loop Header: Depth=1
	s_sethalt 5
	s_branch .LBB6_16931
.LBB6_16932:
	s_trap 2
	s_sendmsg_rtn_b32 s0, sendmsg(MSG_RTN_GET_DOORBELL)
	s_mov_b32 ttmp2, m0
	s_waitcnt lgkmcnt(0)
	s_and_b32 s0, s0, 0x3ff
	s_delay_alu instid0(SALU_CYCLE_1) | instskip(NEXT) | instid1(SALU_CYCLE_1)
	s_bitset1_b32 s0, 10
	s_mov_b32 m0, s0
	s_sendmsg sendmsg(MSG_INTERRUPT)
	s_mov_b32 m0, ttmp2
.LBB6_16933:                            ; =>This Inner Loop Header: Depth=1
	s_sethalt 5
	s_branch .LBB6_16933
.LBB6_16934:
	s_trap 2
	s_sendmsg_rtn_b32 s0, sendmsg(MSG_RTN_GET_DOORBELL)
	s_mov_b32 ttmp2, m0
	s_waitcnt lgkmcnt(0)
	s_and_b32 s0, s0, 0x3ff
	s_delay_alu instid0(SALU_CYCLE_1) | instskip(NEXT) | instid1(SALU_CYCLE_1)
	s_bitset1_b32 s0, 10
	s_mov_b32 m0, s0
	s_sendmsg sendmsg(MSG_INTERRUPT)
	s_mov_b32 m0, ttmp2
.LBB6_16935:                            ; =>This Inner Loop Header: Depth=1
	s_sethalt 5
	s_branch .LBB6_16935
.LBB6_16936:
	s_trap 2
	s_sendmsg_rtn_b32 s0, sendmsg(MSG_RTN_GET_DOORBELL)
	s_mov_b32 ttmp2, m0
	s_waitcnt lgkmcnt(0)
	s_and_b32 s0, s0, 0x3ff
	s_delay_alu instid0(SALU_CYCLE_1) | instskip(NEXT) | instid1(SALU_CYCLE_1)
	s_bitset1_b32 s0, 10
	s_mov_b32 m0, s0
	s_sendmsg sendmsg(MSG_INTERRUPT)
	s_mov_b32 m0, ttmp2
.LBB6_16937:                            ; =>This Inner Loop Header: Depth=1
	s_sethalt 5
	s_branch .LBB6_16937
.LBB6_16938:
	s_trap 2
	s_sendmsg_rtn_b32 s0, sendmsg(MSG_RTN_GET_DOORBELL)
	s_mov_b32 ttmp2, m0
	s_waitcnt lgkmcnt(0)
	s_and_b32 s0, s0, 0x3ff
	s_delay_alu instid0(SALU_CYCLE_1) | instskip(NEXT) | instid1(SALU_CYCLE_1)
	s_bitset1_b32 s0, 10
	s_mov_b32 m0, s0
	s_sendmsg sendmsg(MSG_INTERRUPT)
	s_mov_b32 m0, ttmp2
.LBB6_16939:                            ; =>This Inner Loop Header: Depth=1
	s_sethalt 5
	s_branch .LBB6_16939
.LBB6_16940:
	s_trap 2
	s_sendmsg_rtn_b32 s0, sendmsg(MSG_RTN_GET_DOORBELL)
	s_mov_b32 ttmp2, m0
	s_waitcnt lgkmcnt(0)
	s_and_b32 s0, s0, 0x3ff
	s_delay_alu instid0(SALU_CYCLE_1) | instskip(NEXT) | instid1(SALU_CYCLE_1)
	s_bitset1_b32 s0, 10
	s_mov_b32 m0, s0
	s_sendmsg sendmsg(MSG_INTERRUPT)
	s_mov_b32 m0, ttmp2
.LBB6_16941:                            ; =>This Inner Loop Header: Depth=1
	s_sethalt 5
	s_branch .LBB6_16941
.LBB6_16942:
	s_trap 2
	s_sendmsg_rtn_b32 s0, sendmsg(MSG_RTN_GET_DOORBELL)
	s_mov_b32 ttmp2, m0
	s_waitcnt lgkmcnt(0)
	s_and_b32 s0, s0, 0x3ff
	s_delay_alu instid0(SALU_CYCLE_1) | instskip(NEXT) | instid1(SALU_CYCLE_1)
	s_bitset1_b32 s0, 10
	s_mov_b32 m0, s0
	s_sendmsg sendmsg(MSG_INTERRUPT)
	s_mov_b32 m0, ttmp2
.LBB6_16943:                            ; =>This Inner Loop Header: Depth=1
	s_sethalt 5
	s_branch .LBB6_16943
.LBB6_16944:
	s_trap 2
	s_sendmsg_rtn_b32 s0, sendmsg(MSG_RTN_GET_DOORBELL)
	s_mov_b32 ttmp2, m0
	s_waitcnt lgkmcnt(0)
	s_and_b32 s0, s0, 0x3ff
	s_delay_alu instid0(SALU_CYCLE_1) | instskip(NEXT) | instid1(SALU_CYCLE_1)
	s_bitset1_b32 s0, 10
	s_mov_b32 m0, s0
	s_sendmsg sendmsg(MSG_INTERRUPT)
	s_mov_b32 m0, ttmp2
.LBB6_16945:                            ; =>This Inner Loop Header: Depth=1
	s_sethalt 5
	s_branch .LBB6_16945
.LBB6_16946:
	s_trap 2
	s_sendmsg_rtn_b32 s0, sendmsg(MSG_RTN_GET_DOORBELL)
	s_mov_b32 ttmp2, m0
	s_waitcnt lgkmcnt(0)
	s_and_b32 s0, s0, 0x3ff
	s_delay_alu instid0(SALU_CYCLE_1) | instskip(NEXT) | instid1(SALU_CYCLE_1)
	s_bitset1_b32 s0, 10
	s_mov_b32 m0, s0
	s_sendmsg sendmsg(MSG_INTERRUPT)
	s_mov_b32 m0, ttmp2
.LBB6_16947:                            ; =>This Inner Loop Header: Depth=1
	s_sethalt 5
	s_branch .LBB6_16947
.LBB6_16948:
	s_trap 2
	s_sendmsg_rtn_b32 s0, sendmsg(MSG_RTN_GET_DOORBELL)
	s_mov_b32 ttmp2, m0
	s_waitcnt lgkmcnt(0)
	s_and_b32 s0, s0, 0x3ff
	s_delay_alu instid0(SALU_CYCLE_1) | instskip(NEXT) | instid1(SALU_CYCLE_1)
	s_bitset1_b32 s0, 10
	s_mov_b32 m0, s0
	s_sendmsg sendmsg(MSG_INTERRUPT)
	s_mov_b32 m0, ttmp2
.LBB6_16949:                            ; =>This Inner Loop Header: Depth=1
	s_sethalt 5
	s_branch .LBB6_16949
.LBB6_16950:
	s_trap 2
	s_sendmsg_rtn_b32 s0, sendmsg(MSG_RTN_GET_DOORBELL)
	s_mov_b32 ttmp2, m0
	s_waitcnt lgkmcnt(0)
	s_and_b32 s0, s0, 0x3ff
	s_delay_alu instid0(SALU_CYCLE_1) | instskip(NEXT) | instid1(SALU_CYCLE_1)
	s_bitset1_b32 s0, 10
	s_mov_b32 m0, s0
	s_sendmsg sendmsg(MSG_INTERRUPT)
	s_mov_b32 m0, ttmp2
.LBB6_16951:                            ; =>This Inner Loop Header: Depth=1
	s_sethalt 5
	s_branch .LBB6_16951
.LBB6_16952:
	s_trap 2
	s_sendmsg_rtn_b32 s0, sendmsg(MSG_RTN_GET_DOORBELL)
	s_mov_b32 ttmp2, m0
	s_waitcnt lgkmcnt(0)
	s_and_b32 s0, s0, 0x3ff
	s_delay_alu instid0(SALU_CYCLE_1) | instskip(NEXT) | instid1(SALU_CYCLE_1)
	s_bitset1_b32 s0, 10
	s_mov_b32 m0, s0
	s_sendmsg sendmsg(MSG_INTERRUPT)
	s_mov_b32 m0, ttmp2
.LBB6_16953:                            ; =>This Inner Loop Header: Depth=1
	s_sethalt 5
	s_branch .LBB6_16953
.LBB6_16954:
	s_trap 2
	s_sendmsg_rtn_b32 s0, sendmsg(MSG_RTN_GET_DOORBELL)
	s_mov_b32 ttmp2, m0
	s_waitcnt lgkmcnt(0)
	s_and_b32 s0, s0, 0x3ff
	s_delay_alu instid0(SALU_CYCLE_1) | instskip(NEXT) | instid1(SALU_CYCLE_1)
	s_bitset1_b32 s0, 10
	s_mov_b32 m0, s0
	s_sendmsg sendmsg(MSG_INTERRUPT)
	s_mov_b32 m0, ttmp2
.LBB6_16955:                            ; =>This Inner Loop Header: Depth=1
	s_sethalt 5
	s_branch .LBB6_16955
.LBB6_16956:
	s_trap 2
	s_sendmsg_rtn_b32 s0, sendmsg(MSG_RTN_GET_DOORBELL)
	s_mov_b32 ttmp2, m0
	s_waitcnt lgkmcnt(0)
	s_and_b32 s0, s0, 0x3ff
	s_delay_alu instid0(SALU_CYCLE_1) | instskip(NEXT) | instid1(SALU_CYCLE_1)
	s_bitset1_b32 s0, 10
	s_mov_b32 m0, s0
	s_sendmsg sendmsg(MSG_INTERRUPT)
	s_mov_b32 m0, ttmp2
.LBB6_16957:                            ; =>This Inner Loop Header: Depth=1
	s_sethalt 5
	s_branch .LBB6_16957
.LBB6_16958:
	s_trap 2
	s_sendmsg_rtn_b32 s0, sendmsg(MSG_RTN_GET_DOORBELL)
	s_mov_b32 ttmp2, m0
	s_waitcnt lgkmcnt(0)
	s_and_b32 s0, s0, 0x3ff
	s_delay_alu instid0(SALU_CYCLE_1) | instskip(NEXT) | instid1(SALU_CYCLE_1)
	s_bitset1_b32 s0, 10
	s_mov_b32 m0, s0
	s_sendmsg sendmsg(MSG_INTERRUPT)
	s_mov_b32 m0, ttmp2
.LBB6_16959:                            ; =>This Inner Loop Header: Depth=1
	s_sethalt 5
	s_branch .LBB6_16959
.LBB6_16960:
	s_trap 2
	s_sendmsg_rtn_b32 s0, sendmsg(MSG_RTN_GET_DOORBELL)
	s_mov_b32 ttmp2, m0
	s_waitcnt lgkmcnt(0)
	s_and_b32 s0, s0, 0x3ff
	s_delay_alu instid0(SALU_CYCLE_1) | instskip(NEXT) | instid1(SALU_CYCLE_1)
	s_bitset1_b32 s0, 10
	s_mov_b32 m0, s0
	s_sendmsg sendmsg(MSG_INTERRUPT)
	s_mov_b32 m0, ttmp2
.LBB6_16961:                            ; =>This Inner Loop Header: Depth=1
	s_sethalt 5
	s_branch .LBB6_16961
.LBB6_16962:
	s_trap 2
	s_sendmsg_rtn_b32 s0, sendmsg(MSG_RTN_GET_DOORBELL)
	s_mov_b32 ttmp2, m0
	s_waitcnt lgkmcnt(0)
	s_and_b32 s0, s0, 0x3ff
	s_delay_alu instid0(SALU_CYCLE_1) | instskip(NEXT) | instid1(SALU_CYCLE_1)
	s_bitset1_b32 s0, 10
	s_mov_b32 m0, s0
	s_sendmsg sendmsg(MSG_INTERRUPT)
	s_mov_b32 m0, ttmp2
.LBB6_16963:                            ; =>This Inner Loop Header: Depth=1
	s_sethalt 5
	s_branch .LBB6_16963
.LBB6_16964:
	s_trap 2
	s_sendmsg_rtn_b32 s0, sendmsg(MSG_RTN_GET_DOORBELL)
	s_mov_b32 ttmp2, m0
	s_waitcnt lgkmcnt(0)
	s_and_b32 s0, s0, 0x3ff
	s_delay_alu instid0(SALU_CYCLE_1) | instskip(NEXT) | instid1(SALU_CYCLE_1)
	s_bitset1_b32 s0, 10
	s_mov_b32 m0, s0
	s_sendmsg sendmsg(MSG_INTERRUPT)
	s_mov_b32 m0, ttmp2
.LBB6_16965:                            ; =>This Inner Loop Header: Depth=1
	s_sethalt 5
	s_branch .LBB6_16965
.LBB6_16966:
	s_trap 2
	s_sendmsg_rtn_b32 s0, sendmsg(MSG_RTN_GET_DOORBELL)
	s_mov_b32 ttmp2, m0
	s_waitcnt lgkmcnt(0)
	s_and_b32 s0, s0, 0x3ff
	s_delay_alu instid0(SALU_CYCLE_1) | instskip(NEXT) | instid1(SALU_CYCLE_1)
	s_bitset1_b32 s0, 10
	s_mov_b32 m0, s0
	s_sendmsg sendmsg(MSG_INTERRUPT)
	s_mov_b32 m0, ttmp2
.LBB6_16967:                            ; =>This Inner Loop Header: Depth=1
	s_sethalt 5
	s_branch .LBB6_16967
.LBB6_16968:
	s_trap 2
	s_sendmsg_rtn_b32 s0, sendmsg(MSG_RTN_GET_DOORBELL)
	s_mov_b32 ttmp2, m0
	s_waitcnt lgkmcnt(0)
	s_and_b32 s0, s0, 0x3ff
	s_delay_alu instid0(SALU_CYCLE_1) | instskip(NEXT) | instid1(SALU_CYCLE_1)
	s_bitset1_b32 s0, 10
	s_mov_b32 m0, s0
	s_sendmsg sendmsg(MSG_INTERRUPT)
	s_mov_b32 m0, ttmp2
.LBB6_16969:                            ; =>This Inner Loop Header: Depth=1
	s_sethalt 5
	s_branch .LBB6_16969
.LBB6_16970:
	s_trap 2
	s_sendmsg_rtn_b32 s0, sendmsg(MSG_RTN_GET_DOORBELL)
	s_mov_b32 ttmp2, m0
	s_waitcnt lgkmcnt(0)
	s_and_b32 s0, s0, 0x3ff
	s_delay_alu instid0(SALU_CYCLE_1) | instskip(NEXT) | instid1(SALU_CYCLE_1)
	s_bitset1_b32 s0, 10
	s_mov_b32 m0, s0
	s_sendmsg sendmsg(MSG_INTERRUPT)
	s_mov_b32 m0, ttmp2
.LBB6_16971:                            ; =>This Inner Loop Header: Depth=1
	s_sethalt 5
	s_branch .LBB6_16971
.LBB6_16972:
	s_trap 2
	s_sendmsg_rtn_b32 s0, sendmsg(MSG_RTN_GET_DOORBELL)
	s_mov_b32 ttmp2, m0
	s_waitcnt lgkmcnt(0)
	s_and_b32 s0, s0, 0x3ff
	s_delay_alu instid0(SALU_CYCLE_1) | instskip(NEXT) | instid1(SALU_CYCLE_1)
	s_bitset1_b32 s0, 10
	s_mov_b32 m0, s0
	s_sendmsg sendmsg(MSG_INTERRUPT)
	s_mov_b32 m0, ttmp2
.LBB6_16973:                            ; =>This Inner Loop Header: Depth=1
	s_sethalt 5
	s_branch .LBB6_16973
.LBB6_16974:
	s_trap 2
	s_sendmsg_rtn_b32 s0, sendmsg(MSG_RTN_GET_DOORBELL)
	s_mov_b32 ttmp2, m0
	s_waitcnt lgkmcnt(0)
	s_and_b32 s0, s0, 0x3ff
	s_delay_alu instid0(SALU_CYCLE_1) | instskip(NEXT) | instid1(SALU_CYCLE_1)
	s_bitset1_b32 s0, 10
	s_mov_b32 m0, s0
	s_sendmsg sendmsg(MSG_INTERRUPT)
	s_mov_b32 m0, ttmp2
.LBB6_16975:                            ; =>This Inner Loop Header: Depth=1
	s_sethalt 5
	s_branch .LBB6_16975
.LBB6_16976:
	s_trap 2
	s_sendmsg_rtn_b32 s0, sendmsg(MSG_RTN_GET_DOORBELL)
	s_mov_b32 ttmp2, m0
	s_waitcnt lgkmcnt(0)
	s_and_b32 s0, s0, 0x3ff
	s_delay_alu instid0(SALU_CYCLE_1) | instskip(NEXT) | instid1(SALU_CYCLE_1)
	s_bitset1_b32 s0, 10
	s_mov_b32 m0, s0
	s_sendmsg sendmsg(MSG_INTERRUPT)
	s_mov_b32 m0, ttmp2
.LBB6_16977:                            ; =>This Inner Loop Header: Depth=1
	s_sethalt 5
	s_branch .LBB6_16977
.LBB6_16978:
	s_trap 2
	s_sendmsg_rtn_b32 s0, sendmsg(MSG_RTN_GET_DOORBELL)
	s_mov_b32 ttmp2, m0
	s_waitcnt lgkmcnt(0)
	s_and_b32 s0, s0, 0x3ff
	s_delay_alu instid0(SALU_CYCLE_1) | instskip(NEXT) | instid1(SALU_CYCLE_1)
	s_bitset1_b32 s0, 10
	s_mov_b32 m0, s0
	s_sendmsg sendmsg(MSG_INTERRUPT)
	s_mov_b32 m0, ttmp2
.LBB6_16979:                            ; =>This Inner Loop Header: Depth=1
	s_sethalt 5
	s_branch .LBB6_16979
.LBB6_16980:
	s_trap 2
	s_sendmsg_rtn_b32 s0, sendmsg(MSG_RTN_GET_DOORBELL)
	s_mov_b32 ttmp2, m0
	s_waitcnt lgkmcnt(0)
	s_and_b32 s0, s0, 0x3ff
	s_delay_alu instid0(SALU_CYCLE_1) | instskip(NEXT) | instid1(SALU_CYCLE_1)
	s_bitset1_b32 s0, 10
	s_mov_b32 m0, s0
	s_sendmsg sendmsg(MSG_INTERRUPT)
	s_mov_b32 m0, ttmp2
.LBB6_16981:                            ; =>This Inner Loop Header: Depth=1
	s_sethalt 5
	s_branch .LBB6_16981
.LBB6_16982:
	s_trap 2
	s_sendmsg_rtn_b32 s0, sendmsg(MSG_RTN_GET_DOORBELL)
	s_mov_b32 ttmp2, m0
	s_waitcnt lgkmcnt(0)
	s_and_b32 s0, s0, 0x3ff
	s_delay_alu instid0(SALU_CYCLE_1) | instskip(NEXT) | instid1(SALU_CYCLE_1)
	s_bitset1_b32 s0, 10
	s_mov_b32 m0, s0
	s_sendmsg sendmsg(MSG_INTERRUPT)
	s_mov_b32 m0, ttmp2
.LBB6_16983:                            ; =>This Inner Loop Header: Depth=1
	s_sethalt 5
	s_branch .LBB6_16983
.LBB6_16984:
	s_trap 2
	s_sendmsg_rtn_b32 s0, sendmsg(MSG_RTN_GET_DOORBELL)
	s_mov_b32 ttmp2, m0
	s_waitcnt lgkmcnt(0)
	s_and_b32 s0, s0, 0x3ff
	s_delay_alu instid0(SALU_CYCLE_1) | instskip(NEXT) | instid1(SALU_CYCLE_1)
	s_bitset1_b32 s0, 10
	s_mov_b32 m0, s0
	s_sendmsg sendmsg(MSG_INTERRUPT)
	s_mov_b32 m0, ttmp2
.LBB6_16985:                            ; =>This Inner Loop Header: Depth=1
	s_sethalt 5
	s_branch .LBB6_16985
.LBB6_16986:
	s_trap 2
	s_sendmsg_rtn_b32 s0, sendmsg(MSG_RTN_GET_DOORBELL)
	s_mov_b32 ttmp2, m0
	s_waitcnt lgkmcnt(0)
	s_and_b32 s0, s0, 0x3ff
	s_delay_alu instid0(SALU_CYCLE_1) | instskip(NEXT) | instid1(SALU_CYCLE_1)
	s_bitset1_b32 s0, 10
	s_mov_b32 m0, s0
	s_sendmsg sendmsg(MSG_INTERRUPT)
	s_mov_b32 m0, ttmp2
.LBB6_16987:                            ; =>This Inner Loop Header: Depth=1
	s_sethalt 5
	s_branch .LBB6_16987
.LBB6_16988:
	s_trap 2
	s_sendmsg_rtn_b32 s0, sendmsg(MSG_RTN_GET_DOORBELL)
	s_mov_b32 ttmp2, m0
	s_waitcnt lgkmcnt(0)
	s_and_b32 s0, s0, 0x3ff
	s_delay_alu instid0(SALU_CYCLE_1) | instskip(NEXT) | instid1(SALU_CYCLE_1)
	s_bitset1_b32 s0, 10
	s_mov_b32 m0, s0
	s_sendmsg sendmsg(MSG_INTERRUPT)
	s_mov_b32 m0, ttmp2
.LBB6_16989:                            ; =>This Inner Loop Header: Depth=1
	s_sethalt 5
	s_branch .LBB6_16989
.LBB6_16990:
	s_trap 2
	s_sendmsg_rtn_b32 s0, sendmsg(MSG_RTN_GET_DOORBELL)
	s_mov_b32 ttmp2, m0
	s_waitcnt lgkmcnt(0)
	s_and_b32 s0, s0, 0x3ff
	s_delay_alu instid0(SALU_CYCLE_1) | instskip(NEXT) | instid1(SALU_CYCLE_1)
	s_bitset1_b32 s0, 10
	s_mov_b32 m0, s0
	s_sendmsg sendmsg(MSG_INTERRUPT)
	s_mov_b32 m0, ttmp2
.LBB6_16991:                            ; =>This Inner Loop Header: Depth=1
	s_sethalt 5
	s_branch .LBB6_16991
.LBB6_16992:
	s_trap 2
	s_sendmsg_rtn_b32 s0, sendmsg(MSG_RTN_GET_DOORBELL)
	s_mov_b32 ttmp2, m0
	s_waitcnt lgkmcnt(0)
	s_and_b32 s0, s0, 0x3ff
	s_delay_alu instid0(SALU_CYCLE_1) | instskip(NEXT) | instid1(SALU_CYCLE_1)
	s_bitset1_b32 s0, 10
	s_mov_b32 m0, s0
	s_sendmsg sendmsg(MSG_INTERRUPT)
	s_mov_b32 m0, ttmp2
.LBB6_16993:                            ; =>This Inner Loop Header: Depth=1
	s_sethalt 5
	s_branch .LBB6_16993
.LBB6_16994:
	s_trap 2
	s_sendmsg_rtn_b32 s0, sendmsg(MSG_RTN_GET_DOORBELL)
	s_mov_b32 ttmp2, m0
	s_waitcnt lgkmcnt(0)
	s_and_b32 s0, s0, 0x3ff
	s_delay_alu instid0(SALU_CYCLE_1) | instskip(NEXT) | instid1(SALU_CYCLE_1)
	s_bitset1_b32 s0, 10
	s_mov_b32 m0, s0
	s_sendmsg sendmsg(MSG_INTERRUPT)
	s_mov_b32 m0, ttmp2
.LBB6_16995:                            ; =>This Inner Loop Header: Depth=1
	s_sethalt 5
	s_branch .LBB6_16995
.LBB6_16996:
	s_trap 2
	s_sendmsg_rtn_b32 s0, sendmsg(MSG_RTN_GET_DOORBELL)
	s_mov_b32 ttmp2, m0
	s_waitcnt lgkmcnt(0)
	s_and_b32 s0, s0, 0x3ff
	s_delay_alu instid0(SALU_CYCLE_1) | instskip(NEXT) | instid1(SALU_CYCLE_1)
	s_bitset1_b32 s0, 10
	s_mov_b32 m0, s0
	s_sendmsg sendmsg(MSG_INTERRUPT)
	s_mov_b32 m0, ttmp2
.LBB6_16997:                            ; =>This Inner Loop Header: Depth=1
	s_sethalt 5
	s_branch .LBB6_16997
.LBB6_16998:
	s_trap 2
	s_sendmsg_rtn_b32 s0, sendmsg(MSG_RTN_GET_DOORBELL)
	s_mov_b32 ttmp2, m0
	s_waitcnt lgkmcnt(0)
	s_and_b32 s0, s0, 0x3ff
	s_delay_alu instid0(SALU_CYCLE_1) | instskip(NEXT) | instid1(SALU_CYCLE_1)
	s_bitset1_b32 s0, 10
	s_mov_b32 m0, s0
	s_sendmsg sendmsg(MSG_INTERRUPT)
	s_mov_b32 m0, ttmp2
.LBB6_16999:                            ; =>This Inner Loop Header: Depth=1
	s_sethalt 5
	s_branch .LBB6_16999
.LBB6_17000:
	s_trap 2
	s_sendmsg_rtn_b32 s0, sendmsg(MSG_RTN_GET_DOORBELL)
	s_mov_b32 ttmp2, m0
	s_waitcnt lgkmcnt(0)
	s_and_b32 s0, s0, 0x3ff
	s_delay_alu instid0(SALU_CYCLE_1) | instskip(NEXT) | instid1(SALU_CYCLE_1)
	s_bitset1_b32 s0, 10
	s_mov_b32 m0, s0
	s_sendmsg sendmsg(MSG_INTERRUPT)
	s_mov_b32 m0, ttmp2
.LBB6_17001:                            ; =>This Inner Loop Header: Depth=1
	s_sethalt 5
	s_branch .LBB6_17001
.LBB6_17002:
	s_trap 2
	s_sendmsg_rtn_b32 s0, sendmsg(MSG_RTN_GET_DOORBELL)
	s_mov_b32 ttmp2, m0
	s_waitcnt lgkmcnt(0)
	s_and_b32 s0, s0, 0x3ff
	s_delay_alu instid0(SALU_CYCLE_1) | instskip(NEXT) | instid1(SALU_CYCLE_1)
	s_bitset1_b32 s0, 10
	s_mov_b32 m0, s0
	s_sendmsg sendmsg(MSG_INTERRUPT)
	s_mov_b32 m0, ttmp2
.LBB6_17003:                            ; =>This Inner Loop Header: Depth=1
	s_sethalt 5
	s_branch .LBB6_17003
.LBB6_17004:
	s_trap 2
	s_sendmsg_rtn_b32 s0, sendmsg(MSG_RTN_GET_DOORBELL)
	s_mov_b32 ttmp2, m0
	s_waitcnt lgkmcnt(0)
	s_and_b32 s0, s0, 0x3ff
	s_delay_alu instid0(SALU_CYCLE_1) | instskip(NEXT) | instid1(SALU_CYCLE_1)
	s_bitset1_b32 s0, 10
	s_mov_b32 m0, s0
	s_sendmsg sendmsg(MSG_INTERRUPT)
	s_mov_b32 m0, ttmp2
.LBB6_17005:                            ; =>This Inner Loop Header: Depth=1
	s_sethalt 5
	s_branch .LBB6_17005
.LBB6_17006:
	s_trap 2
	s_sendmsg_rtn_b32 s0, sendmsg(MSG_RTN_GET_DOORBELL)
	s_mov_b32 ttmp2, m0
	s_waitcnt lgkmcnt(0)
	s_and_b32 s0, s0, 0x3ff
	s_delay_alu instid0(SALU_CYCLE_1) | instskip(NEXT) | instid1(SALU_CYCLE_1)
	s_bitset1_b32 s0, 10
	s_mov_b32 m0, s0
	s_sendmsg sendmsg(MSG_INTERRUPT)
	s_mov_b32 m0, ttmp2
.LBB6_17007:                            ; =>This Inner Loop Header: Depth=1
	s_sethalt 5
	s_branch .LBB6_17007
.LBB6_17008:
	s_trap 2
	s_sendmsg_rtn_b32 s0, sendmsg(MSG_RTN_GET_DOORBELL)
	s_mov_b32 ttmp2, m0
	s_waitcnt lgkmcnt(0)
	s_and_b32 s0, s0, 0x3ff
	s_delay_alu instid0(SALU_CYCLE_1) | instskip(NEXT) | instid1(SALU_CYCLE_1)
	s_bitset1_b32 s0, 10
	s_mov_b32 m0, s0
	s_sendmsg sendmsg(MSG_INTERRUPT)
	s_mov_b32 m0, ttmp2
.LBB6_17009:                            ; =>This Inner Loop Header: Depth=1
	s_sethalt 5
	s_branch .LBB6_17009
.LBB6_17010:
	s_trap 2
	s_sendmsg_rtn_b32 s0, sendmsg(MSG_RTN_GET_DOORBELL)
	s_mov_b32 ttmp2, m0
	s_waitcnt lgkmcnt(0)
	s_and_b32 s0, s0, 0x3ff
	s_delay_alu instid0(SALU_CYCLE_1) | instskip(NEXT) | instid1(SALU_CYCLE_1)
	s_bitset1_b32 s0, 10
	s_mov_b32 m0, s0
	s_sendmsg sendmsg(MSG_INTERRUPT)
	s_mov_b32 m0, ttmp2
.LBB6_17011:                            ; =>This Inner Loop Header: Depth=1
	s_sethalt 5
	s_branch .LBB6_17011
.LBB6_17012:
	s_trap 2
	s_sendmsg_rtn_b32 s0, sendmsg(MSG_RTN_GET_DOORBELL)
	s_mov_b32 ttmp2, m0
	s_waitcnt lgkmcnt(0)
	s_and_b32 s0, s0, 0x3ff
	s_delay_alu instid0(SALU_CYCLE_1) | instskip(NEXT) | instid1(SALU_CYCLE_1)
	s_bitset1_b32 s0, 10
	s_mov_b32 m0, s0
	s_sendmsg sendmsg(MSG_INTERRUPT)
	s_mov_b32 m0, ttmp2
.LBB6_17013:                            ; =>This Inner Loop Header: Depth=1
	s_sethalt 5
	s_branch .LBB6_17013
.LBB6_17014:
	s_trap 2
	s_sendmsg_rtn_b32 s0, sendmsg(MSG_RTN_GET_DOORBELL)
	s_mov_b32 ttmp2, m0
	s_waitcnt lgkmcnt(0)
	s_and_b32 s0, s0, 0x3ff
	s_delay_alu instid0(SALU_CYCLE_1) | instskip(NEXT) | instid1(SALU_CYCLE_1)
	s_bitset1_b32 s0, 10
	s_mov_b32 m0, s0
	s_sendmsg sendmsg(MSG_INTERRUPT)
	s_mov_b32 m0, ttmp2
.LBB6_17015:                            ; =>This Inner Loop Header: Depth=1
	s_sethalt 5
	s_branch .LBB6_17015
.LBB6_17016:
	s_trap 2
	s_sendmsg_rtn_b32 s0, sendmsg(MSG_RTN_GET_DOORBELL)
	s_mov_b32 ttmp2, m0
	s_waitcnt lgkmcnt(0)
	s_and_b32 s0, s0, 0x3ff
	s_delay_alu instid0(SALU_CYCLE_1) | instskip(NEXT) | instid1(SALU_CYCLE_1)
	s_bitset1_b32 s0, 10
	s_mov_b32 m0, s0
	s_sendmsg sendmsg(MSG_INTERRUPT)
	s_mov_b32 m0, ttmp2
.LBB6_17017:                            ; =>This Inner Loop Header: Depth=1
	s_sethalt 5
	s_branch .LBB6_17017
.LBB6_17018:
	s_trap 2
	s_sendmsg_rtn_b32 s0, sendmsg(MSG_RTN_GET_DOORBELL)
	s_mov_b32 ttmp2, m0
	s_waitcnt lgkmcnt(0)
	s_and_b32 s0, s0, 0x3ff
	s_delay_alu instid0(SALU_CYCLE_1) | instskip(NEXT) | instid1(SALU_CYCLE_1)
	s_bitset1_b32 s0, 10
	s_mov_b32 m0, s0
	s_sendmsg sendmsg(MSG_INTERRUPT)
	s_mov_b32 m0, ttmp2
.LBB6_17019:                            ; =>This Inner Loop Header: Depth=1
	s_sethalt 5
	s_branch .LBB6_17019
.LBB6_17020:
	s_trap 2
	s_sendmsg_rtn_b32 s0, sendmsg(MSG_RTN_GET_DOORBELL)
	s_mov_b32 ttmp2, m0
	s_waitcnt lgkmcnt(0)
	s_and_b32 s0, s0, 0x3ff
	s_delay_alu instid0(SALU_CYCLE_1) | instskip(NEXT) | instid1(SALU_CYCLE_1)
	s_bitset1_b32 s0, 10
	s_mov_b32 m0, s0
	s_sendmsg sendmsg(MSG_INTERRUPT)
	s_mov_b32 m0, ttmp2
.LBB6_17021:                            ; =>This Inner Loop Header: Depth=1
	s_sethalt 5
	s_branch .LBB6_17021
.LBB6_17022:
	s_trap 2
	s_sendmsg_rtn_b32 s0, sendmsg(MSG_RTN_GET_DOORBELL)
	s_mov_b32 ttmp2, m0
	s_waitcnt lgkmcnt(0)
	s_and_b32 s0, s0, 0x3ff
	s_delay_alu instid0(SALU_CYCLE_1) | instskip(NEXT) | instid1(SALU_CYCLE_1)
	s_bitset1_b32 s0, 10
	s_mov_b32 m0, s0
	s_sendmsg sendmsg(MSG_INTERRUPT)
	s_mov_b32 m0, ttmp2
.LBB6_17023:                            ; =>This Inner Loop Header: Depth=1
	s_sethalt 5
	s_branch .LBB6_17023
.LBB6_17024:
	s_trap 2
	s_sendmsg_rtn_b32 s0, sendmsg(MSG_RTN_GET_DOORBELL)
	s_mov_b32 ttmp2, m0
	s_waitcnt lgkmcnt(0)
	s_and_b32 s0, s0, 0x3ff
	s_delay_alu instid0(SALU_CYCLE_1) | instskip(NEXT) | instid1(SALU_CYCLE_1)
	s_bitset1_b32 s0, 10
	s_mov_b32 m0, s0
	s_sendmsg sendmsg(MSG_INTERRUPT)
	s_mov_b32 m0, ttmp2
.LBB6_17025:                            ; =>This Inner Loop Header: Depth=1
	s_sethalt 5
	s_branch .LBB6_17025
.LBB6_17026:
	s_trap 2
	s_sendmsg_rtn_b32 s0, sendmsg(MSG_RTN_GET_DOORBELL)
	s_mov_b32 ttmp2, m0
	s_waitcnt lgkmcnt(0)
	s_and_b32 s0, s0, 0x3ff
	s_delay_alu instid0(SALU_CYCLE_1) | instskip(NEXT) | instid1(SALU_CYCLE_1)
	s_bitset1_b32 s0, 10
	s_mov_b32 m0, s0
	s_sendmsg sendmsg(MSG_INTERRUPT)
	s_mov_b32 m0, ttmp2
.LBB6_17027:                            ; =>This Inner Loop Header: Depth=1
	s_sethalt 5
	s_branch .LBB6_17027
.LBB6_17028:
	s_trap 2
	s_sendmsg_rtn_b32 s0, sendmsg(MSG_RTN_GET_DOORBELL)
	s_mov_b32 ttmp2, m0
	s_waitcnt lgkmcnt(0)
	s_and_b32 s0, s0, 0x3ff
	s_delay_alu instid0(SALU_CYCLE_1) | instskip(NEXT) | instid1(SALU_CYCLE_1)
	s_bitset1_b32 s0, 10
	s_mov_b32 m0, s0
	s_sendmsg sendmsg(MSG_INTERRUPT)
	s_mov_b32 m0, ttmp2
.LBB6_17029:                            ; =>This Inner Loop Header: Depth=1
	s_sethalt 5
	s_branch .LBB6_17029
.LBB6_17030:
	s_trap 2
	s_sendmsg_rtn_b32 s0, sendmsg(MSG_RTN_GET_DOORBELL)
	s_mov_b32 ttmp2, m0
	s_waitcnt lgkmcnt(0)
	s_and_b32 s0, s0, 0x3ff
	s_delay_alu instid0(SALU_CYCLE_1) | instskip(NEXT) | instid1(SALU_CYCLE_1)
	s_bitset1_b32 s0, 10
	s_mov_b32 m0, s0
	s_sendmsg sendmsg(MSG_INTERRUPT)
	s_mov_b32 m0, ttmp2
.LBB6_17031:                            ; =>This Inner Loop Header: Depth=1
	s_sethalt 5
	s_branch .LBB6_17031
.LBB6_17032:
	s_trap 2
	s_sendmsg_rtn_b32 s0, sendmsg(MSG_RTN_GET_DOORBELL)
	s_mov_b32 ttmp2, m0
	s_waitcnt lgkmcnt(0)
	s_and_b32 s0, s0, 0x3ff
	s_delay_alu instid0(SALU_CYCLE_1) | instskip(NEXT) | instid1(SALU_CYCLE_1)
	s_bitset1_b32 s0, 10
	s_mov_b32 m0, s0
	s_sendmsg sendmsg(MSG_INTERRUPT)
	s_mov_b32 m0, ttmp2
.LBB6_17033:                            ; =>This Inner Loop Header: Depth=1
	s_sethalt 5
	s_branch .LBB6_17033
.LBB6_17034:
	s_trap 2
	s_sendmsg_rtn_b32 s0, sendmsg(MSG_RTN_GET_DOORBELL)
	s_mov_b32 ttmp2, m0
	s_waitcnt lgkmcnt(0)
	s_and_b32 s0, s0, 0x3ff
	s_delay_alu instid0(SALU_CYCLE_1) | instskip(NEXT) | instid1(SALU_CYCLE_1)
	s_bitset1_b32 s0, 10
	s_mov_b32 m0, s0
	s_sendmsg sendmsg(MSG_INTERRUPT)
	s_mov_b32 m0, ttmp2
.LBB6_17035:                            ; =>This Inner Loop Header: Depth=1
	s_sethalt 5
	s_branch .LBB6_17035
.LBB6_17036:
	s_trap 2
	s_sendmsg_rtn_b32 s0, sendmsg(MSG_RTN_GET_DOORBELL)
	s_mov_b32 ttmp2, m0
	s_waitcnt lgkmcnt(0)
	s_and_b32 s0, s0, 0x3ff
	s_delay_alu instid0(SALU_CYCLE_1) | instskip(NEXT) | instid1(SALU_CYCLE_1)
	s_bitset1_b32 s0, 10
	s_mov_b32 m0, s0
	s_sendmsg sendmsg(MSG_INTERRUPT)
	s_mov_b32 m0, ttmp2
.LBB6_17037:                            ; =>This Inner Loop Header: Depth=1
	s_sethalt 5
	s_branch .LBB6_17037
.LBB6_17038:
	s_trap 2
	s_sendmsg_rtn_b32 s0, sendmsg(MSG_RTN_GET_DOORBELL)
	s_mov_b32 ttmp2, m0
	s_waitcnt lgkmcnt(0)
	s_and_b32 s0, s0, 0x3ff
	s_delay_alu instid0(SALU_CYCLE_1) | instskip(NEXT) | instid1(SALU_CYCLE_1)
	s_bitset1_b32 s0, 10
	s_mov_b32 m0, s0
	s_sendmsg sendmsg(MSG_INTERRUPT)
	s_mov_b32 m0, ttmp2
.LBB6_17039:                            ; =>This Inner Loop Header: Depth=1
	s_sethalt 5
	s_branch .LBB6_17039
.LBB6_17040:
	s_trap 2
	s_sendmsg_rtn_b32 s0, sendmsg(MSG_RTN_GET_DOORBELL)
	s_mov_b32 ttmp2, m0
	s_waitcnt lgkmcnt(0)
	s_and_b32 s0, s0, 0x3ff
	s_delay_alu instid0(SALU_CYCLE_1) | instskip(NEXT) | instid1(SALU_CYCLE_1)
	s_bitset1_b32 s0, 10
	s_mov_b32 m0, s0
	s_sendmsg sendmsg(MSG_INTERRUPT)
	s_mov_b32 m0, ttmp2
.LBB6_17041:                            ; =>This Inner Loop Header: Depth=1
	s_sethalt 5
	s_branch .LBB6_17041
.LBB6_17042:
	s_trap 2
	s_sendmsg_rtn_b32 s0, sendmsg(MSG_RTN_GET_DOORBELL)
	s_mov_b32 ttmp2, m0
	s_waitcnt lgkmcnt(0)
	s_and_b32 s0, s0, 0x3ff
	s_delay_alu instid0(SALU_CYCLE_1) | instskip(NEXT) | instid1(SALU_CYCLE_1)
	s_bitset1_b32 s0, 10
	s_mov_b32 m0, s0
	s_sendmsg sendmsg(MSG_INTERRUPT)
	s_mov_b32 m0, ttmp2
.LBB6_17043:                            ; =>This Inner Loop Header: Depth=1
	s_sethalt 5
	s_branch .LBB6_17043
.LBB6_17044:
	s_trap 2
	s_sendmsg_rtn_b32 s0, sendmsg(MSG_RTN_GET_DOORBELL)
	s_mov_b32 ttmp2, m0
	s_waitcnt lgkmcnt(0)
	s_and_b32 s0, s0, 0x3ff
	s_delay_alu instid0(SALU_CYCLE_1) | instskip(NEXT) | instid1(SALU_CYCLE_1)
	s_bitset1_b32 s0, 10
	s_mov_b32 m0, s0
	s_sendmsg sendmsg(MSG_INTERRUPT)
	s_mov_b32 m0, ttmp2
.LBB6_17045:                            ; =>This Inner Loop Header: Depth=1
	s_sethalt 5
	s_branch .LBB6_17045
.LBB6_17046:
	s_trap 2
	s_sendmsg_rtn_b32 s0, sendmsg(MSG_RTN_GET_DOORBELL)
	s_mov_b32 ttmp2, m0
	s_waitcnt lgkmcnt(0)
	s_and_b32 s0, s0, 0x3ff
	s_delay_alu instid0(SALU_CYCLE_1) | instskip(NEXT) | instid1(SALU_CYCLE_1)
	s_bitset1_b32 s0, 10
	s_mov_b32 m0, s0
	s_sendmsg sendmsg(MSG_INTERRUPT)
	s_mov_b32 m0, ttmp2
.LBB6_17047:                            ; =>This Inner Loop Header: Depth=1
	s_sethalt 5
	s_branch .LBB6_17047
.LBB6_17048:
	s_trap 2
	s_sendmsg_rtn_b32 s0, sendmsg(MSG_RTN_GET_DOORBELL)
	s_mov_b32 ttmp2, m0
	s_waitcnt lgkmcnt(0)
	s_and_b32 s0, s0, 0x3ff
	s_delay_alu instid0(SALU_CYCLE_1) | instskip(NEXT) | instid1(SALU_CYCLE_1)
	s_bitset1_b32 s0, 10
	s_mov_b32 m0, s0
	s_sendmsg sendmsg(MSG_INTERRUPT)
	s_mov_b32 m0, ttmp2
.LBB6_17049:                            ; =>This Inner Loop Header: Depth=1
	s_sethalt 5
	s_branch .LBB6_17049
.LBB6_17050:
	s_trap 2
	s_sendmsg_rtn_b32 s0, sendmsg(MSG_RTN_GET_DOORBELL)
	s_mov_b32 ttmp2, m0
	s_waitcnt lgkmcnt(0)
	s_and_b32 s0, s0, 0x3ff
	s_delay_alu instid0(SALU_CYCLE_1) | instskip(NEXT) | instid1(SALU_CYCLE_1)
	s_bitset1_b32 s0, 10
	s_mov_b32 m0, s0
	s_sendmsg sendmsg(MSG_INTERRUPT)
	s_mov_b32 m0, ttmp2
.LBB6_17051:                            ; =>This Inner Loop Header: Depth=1
	s_sethalt 5
	s_branch .LBB6_17051
.LBB6_17052:
	s_trap 2
	s_sendmsg_rtn_b32 s0, sendmsg(MSG_RTN_GET_DOORBELL)
	s_mov_b32 ttmp2, m0
	s_waitcnt lgkmcnt(0)
	s_and_b32 s0, s0, 0x3ff
	s_delay_alu instid0(SALU_CYCLE_1) | instskip(NEXT) | instid1(SALU_CYCLE_1)
	s_bitset1_b32 s0, 10
	s_mov_b32 m0, s0
	s_sendmsg sendmsg(MSG_INTERRUPT)
	s_mov_b32 m0, ttmp2
.LBB6_17053:                            ; =>This Inner Loop Header: Depth=1
	s_sethalt 5
	s_branch .LBB6_17053
.LBB6_17054:
	s_trap 2
	s_sendmsg_rtn_b32 s0, sendmsg(MSG_RTN_GET_DOORBELL)
	s_mov_b32 ttmp2, m0
	s_waitcnt lgkmcnt(0)
	s_and_b32 s0, s0, 0x3ff
	s_delay_alu instid0(SALU_CYCLE_1) | instskip(NEXT) | instid1(SALU_CYCLE_1)
	s_bitset1_b32 s0, 10
	s_mov_b32 m0, s0
	s_sendmsg sendmsg(MSG_INTERRUPT)
	s_mov_b32 m0, ttmp2
.LBB6_17055:                            ; =>This Inner Loop Header: Depth=1
	s_sethalt 5
	s_branch .LBB6_17055
.LBB6_17056:
	s_trap 2
	s_sendmsg_rtn_b32 s0, sendmsg(MSG_RTN_GET_DOORBELL)
	s_mov_b32 ttmp2, m0
	s_waitcnt lgkmcnt(0)
	s_and_b32 s0, s0, 0x3ff
	s_delay_alu instid0(SALU_CYCLE_1) | instskip(NEXT) | instid1(SALU_CYCLE_1)
	s_bitset1_b32 s0, 10
	s_mov_b32 m0, s0
	s_sendmsg sendmsg(MSG_INTERRUPT)
	s_mov_b32 m0, ttmp2
.LBB6_17057:                            ; =>This Inner Loop Header: Depth=1
	s_sethalt 5
	s_branch .LBB6_17057
.LBB6_17058:
	s_trap 2
	s_sendmsg_rtn_b32 s0, sendmsg(MSG_RTN_GET_DOORBELL)
	s_mov_b32 ttmp2, m0
	s_waitcnt lgkmcnt(0)
	s_and_b32 s0, s0, 0x3ff
	s_delay_alu instid0(SALU_CYCLE_1) | instskip(NEXT) | instid1(SALU_CYCLE_1)
	s_bitset1_b32 s0, 10
	s_mov_b32 m0, s0
	s_sendmsg sendmsg(MSG_INTERRUPT)
	s_mov_b32 m0, ttmp2
.LBB6_17059:                            ; =>This Inner Loop Header: Depth=1
	s_sethalt 5
	s_branch .LBB6_17059
.LBB6_17060:
	s_trap 2
	s_sendmsg_rtn_b32 s0, sendmsg(MSG_RTN_GET_DOORBELL)
	s_mov_b32 ttmp2, m0
	s_waitcnt lgkmcnt(0)
	s_and_b32 s0, s0, 0x3ff
	s_delay_alu instid0(SALU_CYCLE_1) | instskip(NEXT) | instid1(SALU_CYCLE_1)
	s_bitset1_b32 s0, 10
	s_mov_b32 m0, s0
	s_sendmsg sendmsg(MSG_INTERRUPT)
	s_mov_b32 m0, ttmp2
.LBB6_17061:                            ; =>This Inner Loop Header: Depth=1
	s_sethalt 5
	s_branch .LBB6_17061
.LBB6_17062:
	s_trap 2
	s_sendmsg_rtn_b32 s0, sendmsg(MSG_RTN_GET_DOORBELL)
	s_mov_b32 ttmp2, m0
	s_waitcnt lgkmcnt(0)
	s_and_b32 s0, s0, 0x3ff
	s_delay_alu instid0(SALU_CYCLE_1) | instskip(NEXT) | instid1(SALU_CYCLE_1)
	s_bitset1_b32 s0, 10
	s_mov_b32 m0, s0
	s_sendmsg sendmsg(MSG_INTERRUPT)
	s_mov_b32 m0, ttmp2
.LBB6_17063:                            ; =>This Inner Loop Header: Depth=1
	s_sethalt 5
	s_branch .LBB6_17063
.LBB6_17064:
	s_trap 2
	s_sendmsg_rtn_b32 s0, sendmsg(MSG_RTN_GET_DOORBELL)
	s_mov_b32 ttmp2, m0
	s_waitcnt lgkmcnt(0)
	s_and_b32 s0, s0, 0x3ff
	s_delay_alu instid0(SALU_CYCLE_1) | instskip(NEXT) | instid1(SALU_CYCLE_1)
	s_bitset1_b32 s0, 10
	s_mov_b32 m0, s0
	s_sendmsg sendmsg(MSG_INTERRUPT)
	s_mov_b32 m0, ttmp2
.LBB6_17065:                            ; =>This Inner Loop Header: Depth=1
	s_sethalt 5
	s_branch .LBB6_17065
.LBB6_17066:
	s_trap 2
	s_sendmsg_rtn_b32 s0, sendmsg(MSG_RTN_GET_DOORBELL)
	s_mov_b32 ttmp2, m0
	s_waitcnt lgkmcnt(0)
	s_and_b32 s0, s0, 0x3ff
	s_delay_alu instid0(SALU_CYCLE_1) | instskip(NEXT) | instid1(SALU_CYCLE_1)
	s_bitset1_b32 s0, 10
	s_mov_b32 m0, s0
	s_sendmsg sendmsg(MSG_INTERRUPT)
	s_mov_b32 m0, ttmp2
.LBB6_17067:                            ; =>This Inner Loop Header: Depth=1
	s_sethalt 5
	s_branch .LBB6_17067
.LBB6_17068:
	s_trap 2
	s_sendmsg_rtn_b32 s0, sendmsg(MSG_RTN_GET_DOORBELL)
	s_mov_b32 ttmp2, m0
	s_waitcnt lgkmcnt(0)
	s_and_b32 s0, s0, 0x3ff
	s_delay_alu instid0(SALU_CYCLE_1) | instskip(NEXT) | instid1(SALU_CYCLE_1)
	s_bitset1_b32 s0, 10
	s_mov_b32 m0, s0
	s_sendmsg sendmsg(MSG_INTERRUPT)
	s_mov_b32 m0, ttmp2
.LBB6_17069:                            ; =>This Inner Loop Header: Depth=1
	s_sethalt 5
	s_branch .LBB6_17069
.LBB6_17070:
	s_trap 2
	s_sendmsg_rtn_b32 s0, sendmsg(MSG_RTN_GET_DOORBELL)
	s_mov_b32 ttmp2, m0
	s_waitcnt lgkmcnt(0)
	s_and_b32 s0, s0, 0x3ff
	s_delay_alu instid0(SALU_CYCLE_1) | instskip(NEXT) | instid1(SALU_CYCLE_1)
	s_bitset1_b32 s0, 10
	s_mov_b32 m0, s0
	s_sendmsg sendmsg(MSG_INTERRUPT)
	s_mov_b32 m0, ttmp2
.LBB6_17071:                            ; =>This Inner Loop Header: Depth=1
	s_sethalt 5
	s_branch .LBB6_17071
.LBB6_17072:
	s_trap 2
	s_sendmsg_rtn_b32 s0, sendmsg(MSG_RTN_GET_DOORBELL)
	s_mov_b32 ttmp2, m0
	s_waitcnt lgkmcnt(0)
	s_and_b32 s0, s0, 0x3ff
	s_delay_alu instid0(SALU_CYCLE_1) | instskip(NEXT) | instid1(SALU_CYCLE_1)
	s_bitset1_b32 s0, 10
	s_mov_b32 m0, s0
	s_sendmsg sendmsg(MSG_INTERRUPT)
	s_mov_b32 m0, ttmp2
.LBB6_17073:                            ; =>This Inner Loop Header: Depth=1
	s_sethalt 5
	s_branch .LBB6_17073
.LBB6_17074:
	s_trap 2
	s_sendmsg_rtn_b32 s0, sendmsg(MSG_RTN_GET_DOORBELL)
	s_mov_b32 ttmp2, m0
	s_waitcnt lgkmcnt(0)
	s_and_b32 s0, s0, 0x3ff
	s_delay_alu instid0(SALU_CYCLE_1) | instskip(NEXT) | instid1(SALU_CYCLE_1)
	s_bitset1_b32 s0, 10
	s_mov_b32 m0, s0
	s_sendmsg sendmsg(MSG_INTERRUPT)
	s_mov_b32 m0, ttmp2
.LBB6_17075:                            ; =>This Inner Loop Header: Depth=1
	s_sethalt 5
	s_branch .LBB6_17075
.LBB6_17076:
	s_trap 2
	s_sendmsg_rtn_b32 s0, sendmsg(MSG_RTN_GET_DOORBELL)
	s_mov_b32 ttmp2, m0
	s_waitcnt lgkmcnt(0)
	s_and_b32 s0, s0, 0x3ff
	s_delay_alu instid0(SALU_CYCLE_1) | instskip(NEXT) | instid1(SALU_CYCLE_1)
	s_bitset1_b32 s0, 10
	s_mov_b32 m0, s0
	s_sendmsg sendmsg(MSG_INTERRUPT)
	s_mov_b32 m0, ttmp2
.LBB6_17077:                            ; =>This Inner Loop Header: Depth=1
	s_sethalt 5
	s_branch .LBB6_17077
.LBB6_17078:
	s_trap 2
	s_sendmsg_rtn_b32 s0, sendmsg(MSG_RTN_GET_DOORBELL)
	s_mov_b32 ttmp2, m0
	s_waitcnt lgkmcnt(0)
	s_and_b32 s0, s0, 0x3ff
	s_delay_alu instid0(SALU_CYCLE_1) | instskip(NEXT) | instid1(SALU_CYCLE_1)
	s_bitset1_b32 s0, 10
	s_mov_b32 m0, s0
	s_sendmsg sendmsg(MSG_INTERRUPT)
	s_mov_b32 m0, ttmp2
.LBB6_17079:                            ; =>This Inner Loop Header: Depth=1
	s_sethalt 5
	s_branch .LBB6_17079
.LBB6_17080:
	s_trap 2
	s_sendmsg_rtn_b32 s0, sendmsg(MSG_RTN_GET_DOORBELL)
	s_mov_b32 ttmp2, m0
	s_waitcnt lgkmcnt(0)
	s_and_b32 s0, s0, 0x3ff
	s_delay_alu instid0(SALU_CYCLE_1) | instskip(NEXT) | instid1(SALU_CYCLE_1)
	s_bitset1_b32 s0, 10
	s_mov_b32 m0, s0
	s_sendmsg sendmsg(MSG_INTERRUPT)
	s_mov_b32 m0, ttmp2
.LBB6_17081:                            ; =>This Inner Loop Header: Depth=1
	s_sethalt 5
	s_branch .LBB6_17081
.LBB6_17082:
	s_trap 2
	s_sendmsg_rtn_b32 s0, sendmsg(MSG_RTN_GET_DOORBELL)
	s_mov_b32 ttmp2, m0
	s_waitcnt lgkmcnt(0)
	s_and_b32 s0, s0, 0x3ff
	s_delay_alu instid0(SALU_CYCLE_1) | instskip(NEXT) | instid1(SALU_CYCLE_1)
	s_bitset1_b32 s0, 10
	s_mov_b32 m0, s0
	s_sendmsg sendmsg(MSG_INTERRUPT)
	s_mov_b32 m0, ttmp2
.LBB6_17083:                            ; =>This Inner Loop Header: Depth=1
	s_sethalt 5
	s_branch .LBB6_17083
.LBB6_17084:
	s_trap 2
	s_sendmsg_rtn_b32 s0, sendmsg(MSG_RTN_GET_DOORBELL)
	s_mov_b32 ttmp2, m0
	s_waitcnt lgkmcnt(0)
	s_and_b32 s0, s0, 0x3ff
	s_delay_alu instid0(SALU_CYCLE_1) | instskip(NEXT) | instid1(SALU_CYCLE_1)
	s_bitset1_b32 s0, 10
	s_mov_b32 m0, s0
	s_sendmsg sendmsg(MSG_INTERRUPT)
	s_mov_b32 m0, ttmp2
.LBB6_17085:                            ; =>This Inner Loop Header: Depth=1
	s_sethalt 5
	s_branch .LBB6_17085
.LBB6_17086:
	s_trap 2
	s_sendmsg_rtn_b32 s0, sendmsg(MSG_RTN_GET_DOORBELL)
	s_mov_b32 ttmp2, m0
	s_waitcnt lgkmcnt(0)
	s_and_b32 s0, s0, 0x3ff
	s_delay_alu instid0(SALU_CYCLE_1) | instskip(NEXT) | instid1(SALU_CYCLE_1)
	s_bitset1_b32 s0, 10
	s_mov_b32 m0, s0
	s_sendmsg sendmsg(MSG_INTERRUPT)
	s_mov_b32 m0, ttmp2
.LBB6_17087:                            ; =>This Inner Loop Header: Depth=1
	s_sethalt 5
	s_branch .LBB6_17087
.LBB6_17088:
	s_trap 2
	s_sendmsg_rtn_b32 s0, sendmsg(MSG_RTN_GET_DOORBELL)
	s_mov_b32 ttmp2, m0
	s_waitcnt lgkmcnt(0)
	s_and_b32 s0, s0, 0x3ff
	s_delay_alu instid0(SALU_CYCLE_1) | instskip(NEXT) | instid1(SALU_CYCLE_1)
	s_bitset1_b32 s0, 10
	s_mov_b32 m0, s0
	s_sendmsg sendmsg(MSG_INTERRUPT)
	s_mov_b32 m0, ttmp2
.LBB6_17089:                            ; =>This Inner Loop Header: Depth=1
	s_sethalt 5
	s_branch .LBB6_17089
.LBB6_17090:
	s_trap 2
	s_sendmsg_rtn_b32 s0, sendmsg(MSG_RTN_GET_DOORBELL)
	s_mov_b32 ttmp2, m0
	s_waitcnt lgkmcnt(0)
	s_and_b32 s0, s0, 0x3ff
	s_delay_alu instid0(SALU_CYCLE_1) | instskip(NEXT) | instid1(SALU_CYCLE_1)
	s_bitset1_b32 s0, 10
	s_mov_b32 m0, s0
	s_sendmsg sendmsg(MSG_INTERRUPT)
	s_mov_b32 m0, ttmp2
.LBB6_17091:                            ; =>This Inner Loop Header: Depth=1
	s_sethalt 5
	s_branch .LBB6_17091
.LBB6_17092:
	s_trap 2
	s_sendmsg_rtn_b32 s0, sendmsg(MSG_RTN_GET_DOORBELL)
	s_mov_b32 ttmp2, m0
	s_waitcnt lgkmcnt(0)
	s_and_b32 s0, s0, 0x3ff
	s_delay_alu instid0(SALU_CYCLE_1) | instskip(NEXT) | instid1(SALU_CYCLE_1)
	s_bitset1_b32 s0, 10
	s_mov_b32 m0, s0
	s_sendmsg sendmsg(MSG_INTERRUPT)
	s_mov_b32 m0, ttmp2
.LBB6_17093:                            ; =>This Inner Loop Header: Depth=1
	s_sethalt 5
	s_branch .LBB6_17093
.LBB6_17094:
	s_trap 2
	s_sendmsg_rtn_b32 s0, sendmsg(MSG_RTN_GET_DOORBELL)
	s_mov_b32 ttmp2, m0
	s_waitcnt lgkmcnt(0)
	s_and_b32 s0, s0, 0x3ff
	s_delay_alu instid0(SALU_CYCLE_1) | instskip(NEXT) | instid1(SALU_CYCLE_1)
	s_bitset1_b32 s0, 10
	s_mov_b32 m0, s0
	s_sendmsg sendmsg(MSG_INTERRUPT)
	s_mov_b32 m0, ttmp2
.LBB6_17095:                            ; =>This Inner Loop Header: Depth=1
	s_sethalt 5
	s_branch .LBB6_17095
.LBB6_17096:
	s_trap 2
	s_sendmsg_rtn_b32 s0, sendmsg(MSG_RTN_GET_DOORBELL)
	s_mov_b32 ttmp2, m0
	s_waitcnt lgkmcnt(0)
	s_and_b32 s0, s0, 0x3ff
	s_delay_alu instid0(SALU_CYCLE_1) | instskip(NEXT) | instid1(SALU_CYCLE_1)
	s_bitset1_b32 s0, 10
	s_mov_b32 m0, s0
	s_sendmsg sendmsg(MSG_INTERRUPT)
	s_mov_b32 m0, ttmp2
.LBB6_17097:                            ; =>This Inner Loop Header: Depth=1
	s_sethalt 5
	s_branch .LBB6_17097
.LBB6_17098:
	s_trap 2
	s_sendmsg_rtn_b32 s0, sendmsg(MSG_RTN_GET_DOORBELL)
	s_mov_b32 ttmp2, m0
	s_waitcnt lgkmcnt(0)
	s_and_b32 s0, s0, 0x3ff
	s_delay_alu instid0(SALU_CYCLE_1) | instskip(NEXT) | instid1(SALU_CYCLE_1)
	s_bitset1_b32 s0, 10
	s_mov_b32 m0, s0
	s_sendmsg sendmsg(MSG_INTERRUPT)
	s_mov_b32 m0, ttmp2
.LBB6_17099:                            ; =>This Inner Loop Header: Depth=1
	s_sethalt 5
	s_branch .LBB6_17099
.LBB6_17100:
	s_trap 2
	s_sendmsg_rtn_b32 s0, sendmsg(MSG_RTN_GET_DOORBELL)
	s_mov_b32 ttmp2, m0
	s_waitcnt lgkmcnt(0)
	s_and_b32 s0, s0, 0x3ff
	s_delay_alu instid0(SALU_CYCLE_1) | instskip(NEXT) | instid1(SALU_CYCLE_1)
	s_bitset1_b32 s0, 10
	s_mov_b32 m0, s0
	s_sendmsg sendmsg(MSG_INTERRUPT)
	s_mov_b32 m0, ttmp2
.LBB6_17101:                            ; =>This Inner Loop Header: Depth=1
	s_sethalt 5
	s_branch .LBB6_17101
.LBB6_17102:
	s_trap 2
	s_sendmsg_rtn_b32 s0, sendmsg(MSG_RTN_GET_DOORBELL)
	s_mov_b32 ttmp2, m0
	s_waitcnt lgkmcnt(0)
	s_and_b32 s0, s0, 0x3ff
	s_delay_alu instid0(SALU_CYCLE_1) | instskip(NEXT) | instid1(SALU_CYCLE_1)
	s_bitset1_b32 s0, 10
	s_mov_b32 m0, s0
	s_sendmsg sendmsg(MSG_INTERRUPT)
	s_mov_b32 m0, ttmp2
.LBB6_17103:                            ; =>This Inner Loop Header: Depth=1
	s_sethalt 5
	s_branch .LBB6_17103
.LBB6_17104:
	s_trap 2
	s_sendmsg_rtn_b32 s0, sendmsg(MSG_RTN_GET_DOORBELL)
	s_mov_b32 ttmp2, m0
	s_waitcnt lgkmcnt(0)
	s_and_b32 s0, s0, 0x3ff
	s_delay_alu instid0(SALU_CYCLE_1) | instskip(NEXT) | instid1(SALU_CYCLE_1)
	s_bitset1_b32 s0, 10
	s_mov_b32 m0, s0
	s_sendmsg sendmsg(MSG_INTERRUPT)
	s_mov_b32 m0, ttmp2
.LBB6_17105:                            ; =>This Inner Loop Header: Depth=1
	s_sethalt 5
	s_branch .LBB6_17105
.LBB6_17106:
	s_trap 2
	s_sendmsg_rtn_b32 s0, sendmsg(MSG_RTN_GET_DOORBELL)
	s_mov_b32 ttmp2, m0
	s_waitcnt lgkmcnt(0)
	s_and_b32 s0, s0, 0x3ff
	s_delay_alu instid0(SALU_CYCLE_1) | instskip(NEXT) | instid1(SALU_CYCLE_1)
	s_bitset1_b32 s0, 10
	s_mov_b32 m0, s0
	s_sendmsg sendmsg(MSG_INTERRUPT)
	s_mov_b32 m0, ttmp2
.LBB6_17107:                            ; =>This Inner Loop Header: Depth=1
	s_sethalt 5
	s_branch .LBB6_17107
.LBB6_17108:
	s_trap 2
	s_sendmsg_rtn_b32 s0, sendmsg(MSG_RTN_GET_DOORBELL)
	s_mov_b32 ttmp2, m0
	s_waitcnt lgkmcnt(0)
	s_and_b32 s0, s0, 0x3ff
	s_delay_alu instid0(SALU_CYCLE_1) | instskip(NEXT) | instid1(SALU_CYCLE_1)
	s_bitset1_b32 s0, 10
	s_mov_b32 m0, s0
	s_sendmsg sendmsg(MSG_INTERRUPT)
	s_mov_b32 m0, ttmp2
.LBB6_17109:                            ; =>This Inner Loop Header: Depth=1
	s_sethalt 5
	s_branch .LBB6_17109
.LBB6_17110:
	s_trap 2
	s_sendmsg_rtn_b32 s0, sendmsg(MSG_RTN_GET_DOORBELL)
	s_mov_b32 ttmp2, m0
	s_waitcnt lgkmcnt(0)
	s_and_b32 s0, s0, 0x3ff
	s_delay_alu instid0(SALU_CYCLE_1) | instskip(NEXT) | instid1(SALU_CYCLE_1)
	s_bitset1_b32 s0, 10
	s_mov_b32 m0, s0
	s_sendmsg sendmsg(MSG_INTERRUPT)
	s_mov_b32 m0, ttmp2
.LBB6_17111:                            ; =>This Inner Loop Header: Depth=1
	s_sethalt 5
	s_branch .LBB6_17111
.LBB6_17112:
	s_trap 2
	s_sendmsg_rtn_b32 s0, sendmsg(MSG_RTN_GET_DOORBELL)
	s_mov_b32 ttmp2, m0
	s_waitcnt lgkmcnt(0)
	s_and_b32 s0, s0, 0x3ff
	s_delay_alu instid0(SALU_CYCLE_1) | instskip(NEXT) | instid1(SALU_CYCLE_1)
	s_bitset1_b32 s0, 10
	s_mov_b32 m0, s0
	s_sendmsg sendmsg(MSG_INTERRUPT)
	s_mov_b32 m0, ttmp2
.LBB6_17113:                            ; =>This Inner Loop Header: Depth=1
	s_sethalt 5
	s_branch .LBB6_17113
.LBB6_17114:
	s_trap 2
	s_sendmsg_rtn_b32 s0, sendmsg(MSG_RTN_GET_DOORBELL)
	s_mov_b32 ttmp2, m0
	s_waitcnt lgkmcnt(0)
	s_and_b32 s0, s0, 0x3ff
	s_delay_alu instid0(SALU_CYCLE_1) | instskip(NEXT) | instid1(SALU_CYCLE_1)
	s_bitset1_b32 s0, 10
	s_mov_b32 m0, s0
	s_sendmsg sendmsg(MSG_INTERRUPT)
	s_mov_b32 m0, ttmp2
.LBB6_17115:                            ; =>This Inner Loop Header: Depth=1
	s_sethalt 5
	s_branch .LBB6_17115
.LBB6_17116:
	s_trap 2
	s_sendmsg_rtn_b32 s0, sendmsg(MSG_RTN_GET_DOORBELL)
	s_mov_b32 ttmp2, m0
	s_waitcnt lgkmcnt(0)
	s_and_b32 s0, s0, 0x3ff
	s_delay_alu instid0(SALU_CYCLE_1) | instskip(NEXT) | instid1(SALU_CYCLE_1)
	s_bitset1_b32 s0, 10
	s_mov_b32 m0, s0
	s_sendmsg sendmsg(MSG_INTERRUPT)
	s_mov_b32 m0, ttmp2
.LBB6_17117:                            ; =>This Inner Loop Header: Depth=1
	s_sethalt 5
	s_branch .LBB6_17117
.LBB6_17118:
	s_trap 2
	s_sendmsg_rtn_b32 s0, sendmsg(MSG_RTN_GET_DOORBELL)
	s_mov_b32 ttmp2, m0
	s_waitcnt lgkmcnt(0)
	s_and_b32 s0, s0, 0x3ff
	s_delay_alu instid0(SALU_CYCLE_1) | instskip(NEXT) | instid1(SALU_CYCLE_1)
	s_bitset1_b32 s0, 10
	s_mov_b32 m0, s0
	s_sendmsg sendmsg(MSG_INTERRUPT)
	s_mov_b32 m0, ttmp2
.LBB6_17119:                            ; =>This Inner Loop Header: Depth=1
	s_sethalt 5
	s_branch .LBB6_17119
.LBB6_17120:
	s_trap 2
	s_sendmsg_rtn_b32 s0, sendmsg(MSG_RTN_GET_DOORBELL)
	s_mov_b32 ttmp2, m0
	s_waitcnt lgkmcnt(0)
	s_and_b32 s0, s0, 0x3ff
	s_delay_alu instid0(SALU_CYCLE_1) | instskip(NEXT) | instid1(SALU_CYCLE_1)
	s_bitset1_b32 s0, 10
	s_mov_b32 m0, s0
	s_sendmsg sendmsg(MSG_INTERRUPT)
	s_mov_b32 m0, ttmp2
.LBB6_17121:                            ; =>This Inner Loop Header: Depth=1
	s_sethalt 5
	s_branch .LBB6_17121
.LBB6_17122:
	s_trap 2
	s_sendmsg_rtn_b32 s0, sendmsg(MSG_RTN_GET_DOORBELL)
	s_mov_b32 ttmp2, m0
	s_waitcnt lgkmcnt(0)
	s_and_b32 s0, s0, 0x3ff
	s_delay_alu instid0(SALU_CYCLE_1) | instskip(NEXT) | instid1(SALU_CYCLE_1)
	s_bitset1_b32 s0, 10
	s_mov_b32 m0, s0
	s_sendmsg sendmsg(MSG_INTERRUPT)
	s_mov_b32 m0, ttmp2
.LBB6_17123:                            ; =>This Inner Loop Header: Depth=1
	s_sethalt 5
	s_branch .LBB6_17123
.LBB6_17124:
	s_trap 2
	s_sendmsg_rtn_b32 s0, sendmsg(MSG_RTN_GET_DOORBELL)
	s_mov_b32 ttmp2, m0
	s_waitcnt lgkmcnt(0)
	s_and_b32 s0, s0, 0x3ff
	s_delay_alu instid0(SALU_CYCLE_1) | instskip(NEXT) | instid1(SALU_CYCLE_1)
	s_bitset1_b32 s0, 10
	s_mov_b32 m0, s0
	s_sendmsg sendmsg(MSG_INTERRUPT)
	s_mov_b32 m0, ttmp2
.LBB6_17125:                            ; =>This Inner Loop Header: Depth=1
	s_sethalt 5
	s_branch .LBB6_17125
.LBB6_17126:
	s_trap 2
	s_sendmsg_rtn_b32 s0, sendmsg(MSG_RTN_GET_DOORBELL)
	s_mov_b32 ttmp2, m0
	s_waitcnt lgkmcnt(0)
	s_and_b32 s0, s0, 0x3ff
	s_delay_alu instid0(SALU_CYCLE_1) | instskip(NEXT) | instid1(SALU_CYCLE_1)
	s_bitset1_b32 s0, 10
	s_mov_b32 m0, s0
	s_sendmsg sendmsg(MSG_INTERRUPT)
	s_mov_b32 m0, ttmp2
.LBB6_17127:                            ; =>This Inner Loop Header: Depth=1
	s_sethalt 5
	s_branch .LBB6_17127
.LBB6_17128:
	s_trap 2
	s_sendmsg_rtn_b32 s0, sendmsg(MSG_RTN_GET_DOORBELL)
	s_mov_b32 ttmp2, m0
	s_waitcnt lgkmcnt(0)
	s_and_b32 s0, s0, 0x3ff
	s_delay_alu instid0(SALU_CYCLE_1) | instskip(NEXT) | instid1(SALU_CYCLE_1)
	s_bitset1_b32 s0, 10
	s_mov_b32 m0, s0
	s_sendmsg sendmsg(MSG_INTERRUPT)
	s_mov_b32 m0, ttmp2
.LBB6_17129:                            ; =>This Inner Loop Header: Depth=1
	s_sethalt 5
	s_branch .LBB6_17129
.LBB6_17130:
	s_trap 2
	s_sendmsg_rtn_b32 s0, sendmsg(MSG_RTN_GET_DOORBELL)
	s_mov_b32 ttmp2, m0
	s_waitcnt lgkmcnt(0)
	s_and_b32 s0, s0, 0x3ff
	s_delay_alu instid0(SALU_CYCLE_1) | instskip(NEXT) | instid1(SALU_CYCLE_1)
	s_bitset1_b32 s0, 10
	s_mov_b32 m0, s0
	s_sendmsg sendmsg(MSG_INTERRUPT)
	s_mov_b32 m0, ttmp2
.LBB6_17131:                            ; =>This Inner Loop Header: Depth=1
	s_sethalt 5
	s_branch .LBB6_17131
.LBB6_17132:
	s_trap 2
	s_sendmsg_rtn_b32 s0, sendmsg(MSG_RTN_GET_DOORBELL)
	s_mov_b32 ttmp2, m0
	s_waitcnt lgkmcnt(0)
	s_and_b32 s0, s0, 0x3ff
	s_delay_alu instid0(SALU_CYCLE_1) | instskip(NEXT) | instid1(SALU_CYCLE_1)
	s_bitset1_b32 s0, 10
	s_mov_b32 m0, s0
	s_sendmsg sendmsg(MSG_INTERRUPT)
	s_mov_b32 m0, ttmp2
.LBB6_17133:                            ; =>This Inner Loop Header: Depth=1
	s_sethalt 5
	s_branch .LBB6_17133
.LBB6_17134:
	s_trap 2
	s_sendmsg_rtn_b32 s0, sendmsg(MSG_RTN_GET_DOORBELL)
	s_mov_b32 ttmp2, m0
	s_waitcnt lgkmcnt(0)
	s_and_b32 s0, s0, 0x3ff
	s_delay_alu instid0(SALU_CYCLE_1) | instskip(NEXT) | instid1(SALU_CYCLE_1)
	s_bitset1_b32 s0, 10
	s_mov_b32 m0, s0
	s_sendmsg sendmsg(MSG_INTERRUPT)
	s_mov_b32 m0, ttmp2
.LBB6_17135:                            ; =>This Inner Loop Header: Depth=1
	s_sethalt 5
	s_branch .LBB6_17135
.LBB6_17136:
	s_trap 2
	s_sendmsg_rtn_b32 s0, sendmsg(MSG_RTN_GET_DOORBELL)
	s_mov_b32 ttmp2, m0
	s_waitcnt lgkmcnt(0)
	s_and_b32 s0, s0, 0x3ff
	s_delay_alu instid0(SALU_CYCLE_1) | instskip(NEXT) | instid1(SALU_CYCLE_1)
	s_bitset1_b32 s0, 10
	s_mov_b32 m0, s0
	s_sendmsg sendmsg(MSG_INTERRUPT)
	s_mov_b32 m0, ttmp2
.LBB6_17137:                            ; =>This Inner Loop Header: Depth=1
	s_sethalt 5
	s_branch .LBB6_17137
.LBB6_17138:
	s_trap 2
	s_sendmsg_rtn_b32 s0, sendmsg(MSG_RTN_GET_DOORBELL)
	s_mov_b32 ttmp2, m0
	s_waitcnt lgkmcnt(0)
	s_and_b32 s0, s0, 0x3ff
	s_delay_alu instid0(SALU_CYCLE_1) | instskip(NEXT) | instid1(SALU_CYCLE_1)
	s_bitset1_b32 s0, 10
	s_mov_b32 m0, s0
	s_sendmsg sendmsg(MSG_INTERRUPT)
	s_mov_b32 m0, ttmp2
.LBB6_17139:                            ; =>This Inner Loop Header: Depth=1
	s_sethalt 5
	s_branch .LBB6_17139
.LBB6_17140:
	s_trap 2
	s_sendmsg_rtn_b32 s0, sendmsg(MSG_RTN_GET_DOORBELL)
	s_mov_b32 ttmp2, m0
	s_waitcnt lgkmcnt(0)
	s_and_b32 s0, s0, 0x3ff
	s_delay_alu instid0(SALU_CYCLE_1) | instskip(NEXT) | instid1(SALU_CYCLE_1)
	s_bitset1_b32 s0, 10
	s_mov_b32 m0, s0
	s_sendmsg sendmsg(MSG_INTERRUPT)
	s_mov_b32 m0, ttmp2
.LBB6_17141:                            ; =>This Inner Loop Header: Depth=1
	s_sethalt 5
	s_branch .LBB6_17141
.LBB6_17142:
	s_trap 2
	s_sendmsg_rtn_b32 s0, sendmsg(MSG_RTN_GET_DOORBELL)
	s_mov_b32 ttmp2, m0
	s_waitcnt lgkmcnt(0)
	s_and_b32 s0, s0, 0x3ff
	s_delay_alu instid0(SALU_CYCLE_1) | instskip(NEXT) | instid1(SALU_CYCLE_1)
	s_bitset1_b32 s0, 10
	s_mov_b32 m0, s0
	s_sendmsg sendmsg(MSG_INTERRUPT)
	s_mov_b32 m0, ttmp2
.LBB6_17143:                            ; =>This Inner Loop Header: Depth=1
	s_sethalt 5
	s_branch .LBB6_17143
.LBB6_17144:
	s_trap 2
	s_sendmsg_rtn_b32 s0, sendmsg(MSG_RTN_GET_DOORBELL)
	s_mov_b32 ttmp2, m0
	s_waitcnt lgkmcnt(0)
	s_and_b32 s0, s0, 0x3ff
	s_delay_alu instid0(SALU_CYCLE_1) | instskip(NEXT) | instid1(SALU_CYCLE_1)
	s_bitset1_b32 s0, 10
	s_mov_b32 m0, s0
	s_sendmsg sendmsg(MSG_INTERRUPT)
	s_mov_b32 m0, ttmp2
.LBB6_17145:                            ; =>This Inner Loop Header: Depth=1
	s_sethalt 5
	s_branch .LBB6_17145
.LBB6_17146:
	s_trap 2
	s_sendmsg_rtn_b32 s0, sendmsg(MSG_RTN_GET_DOORBELL)
	s_mov_b32 ttmp2, m0
	s_waitcnt lgkmcnt(0)
	s_and_b32 s0, s0, 0x3ff
	s_delay_alu instid0(SALU_CYCLE_1) | instskip(NEXT) | instid1(SALU_CYCLE_1)
	s_bitset1_b32 s0, 10
	s_mov_b32 m0, s0
	s_sendmsg sendmsg(MSG_INTERRUPT)
	s_mov_b32 m0, ttmp2
.LBB6_17147:                            ; =>This Inner Loop Header: Depth=1
	s_sethalt 5
	s_branch .LBB6_17147
.LBB6_17148:
	s_trap 2
	s_sendmsg_rtn_b32 s0, sendmsg(MSG_RTN_GET_DOORBELL)
	s_mov_b32 ttmp2, m0
	s_waitcnt lgkmcnt(0)
	s_and_b32 s0, s0, 0x3ff
	s_delay_alu instid0(SALU_CYCLE_1) | instskip(NEXT) | instid1(SALU_CYCLE_1)
	s_bitset1_b32 s0, 10
	s_mov_b32 m0, s0
	s_sendmsg sendmsg(MSG_INTERRUPT)
	s_mov_b32 m0, ttmp2
.LBB6_17149:                            ; =>This Inner Loop Header: Depth=1
	s_sethalt 5
	s_branch .LBB6_17149
.LBB6_17150:
	s_trap 2
	s_sendmsg_rtn_b32 s0, sendmsg(MSG_RTN_GET_DOORBELL)
	s_mov_b32 ttmp2, m0
	s_waitcnt lgkmcnt(0)
	s_and_b32 s0, s0, 0x3ff
	s_delay_alu instid0(SALU_CYCLE_1) | instskip(NEXT) | instid1(SALU_CYCLE_1)
	s_bitset1_b32 s0, 10
	s_mov_b32 m0, s0
	s_sendmsg sendmsg(MSG_INTERRUPT)
	s_mov_b32 m0, ttmp2
.LBB6_17151:                            ; =>This Inner Loop Header: Depth=1
	s_sethalt 5
	s_branch .LBB6_17151
.LBB6_17152:
	s_trap 2
	s_sendmsg_rtn_b32 s0, sendmsg(MSG_RTN_GET_DOORBELL)
	s_mov_b32 ttmp2, m0
	s_waitcnt lgkmcnt(0)
	s_and_b32 s0, s0, 0x3ff
	s_delay_alu instid0(SALU_CYCLE_1) | instskip(NEXT) | instid1(SALU_CYCLE_1)
	s_bitset1_b32 s0, 10
	s_mov_b32 m0, s0
	s_sendmsg sendmsg(MSG_INTERRUPT)
	s_mov_b32 m0, ttmp2
.LBB6_17153:                            ; =>This Inner Loop Header: Depth=1
	s_sethalt 5
	s_branch .LBB6_17153
.LBB6_17154:
	s_trap 2
	s_sendmsg_rtn_b32 s0, sendmsg(MSG_RTN_GET_DOORBELL)
	s_mov_b32 ttmp2, m0
	s_waitcnt lgkmcnt(0)
	s_and_b32 s0, s0, 0x3ff
	s_delay_alu instid0(SALU_CYCLE_1) | instskip(NEXT) | instid1(SALU_CYCLE_1)
	s_bitset1_b32 s0, 10
	s_mov_b32 m0, s0
	s_sendmsg sendmsg(MSG_INTERRUPT)
	s_mov_b32 m0, ttmp2
.LBB6_17155:                            ; =>This Inner Loop Header: Depth=1
	s_sethalt 5
	s_branch .LBB6_17155
.LBB6_17156:
	s_trap 2
	s_sendmsg_rtn_b32 s0, sendmsg(MSG_RTN_GET_DOORBELL)
	s_mov_b32 ttmp2, m0
	s_waitcnt lgkmcnt(0)
	s_and_b32 s0, s0, 0x3ff
	s_delay_alu instid0(SALU_CYCLE_1) | instskip(NEXT) | instid1(SALU_CYCLE_1)
	s_bitset1_b32 s0, 10
	s_mov_b32 m0, s0
	s_sendmsg sendmsg(MSG_INTERRUPT)
	s_mov_b32 m0, ttmp2
.LBB6_17157:                            ; =>This Inner Loop Header: Depth=1
	s_sethalt 5
	s_branch .LBB6_17157
.LBB6_17158:
	s_trap 2
	s_sendmsg_rtn_b32 s0, sendmsg(MSG_RTN_GET_DOORBELL)
	s_mov_b32 ttmp2, m0
	s_waitcnt lgkmcnt(0)
	s_and_b32 s0, s0, 0x3ff
	s_delay_alu instid0(SALU_CYCLE_1) | instskip(NEXT) | instid1(SALU_CYCLE_1)
	s_bitset1_b32 s0, 10
	s_mov_b32 m0, s0
	s_sendmsg sendmsg(MSG_INTERRUPT)
	s_mov_b32 m0, ttmp2
.LBB6_17159:                            ; =>This Inner Loop Header: Depth=1
	s_sethalt 5
	s_branch .LBB6_17159
.LBB6_17160:
	s_trap 2
	s_sendmsg_rtn_b32 s0, sendmsg(MSG_RTN_GET_DOORBELL)
	s_mov_b32 ttmp2, m0
	s_waitcnt lgkmcnt(0)
	s_and_b32 s0, s0, 0x3ff
	s_delay_alu instid0(SALU_CYCLE_1) | instskip(NEXT) | instid1(SALU_CYCLE_1)
	s_bitset1_b32 s0, 10
	s_mov_b32 m0, s0
	s_sendmsg sendmsg(MSG_INTERRUPT)
	s_mov_b32 m0, ttmp2
.LBB6_17161:                            ; =>This Inner Loop Header: Depth=1
	s_sethalt 5
	s_branch .LBB6_17161
.LBB6_17162:
	s_trap 2
	s_sendmsg_rtn_b32 s0, sendmsg(MSG_RTN_GET_DOORBELL)
	s_mov_b32 ttmp2, m0
	s_waitcnt lgkmcnt(0)
	s_and_b32 s0, s0, 0x3ff
	s_delay_alu instid0(SALU_CYCLE_1) | instskip(NEXT) | instid1(SALU_CYCLE_1)
	s_bitset1_b32 s0, 10
	s_mov_b32 m0, s0
	s_sendmsg sendmsg(MSG_INTERRUPT)
	s_mov_b32 m0, ttmp2
.LBB6_17163:                            ; =>This Inner Loop Header: Depth=1
	s_sethalt 5
	s_branch .LBB6_17163
.LBB6_17164:
	s_trap 2
	s_sendmsg_rtn_b32 s0, sendmsg(MSG_RTN_GET_DOORBELL)
	s_mov_b32 ttmp2, m0
	s_waitcnt lgkmcnt(0)
	s_and_b32 s0, s0, 0x3ff
	s_delay_alu instid0(SALU_CYCLE_1) | instskip(NEXT) | instid1(SALU_CYCLE_1)
	s_bitset1_b32 s0, 10
	s_mov_b32 m0, s0
	s_sendmsg sendmsg(MSG_INTERRUPT)
	s_mov_b32 m0, ttmp2
.LBB6_17165:                            ; =>This Inner Loop Header: Depth=1
	s_sethalt 5
	s_branch .LBB6_17165
.LBB6_17166:
	s_trap 2
	s_sendmsg_rtn_b32 s0, sendmsg(MSG_RTN_GET_DOORBELL)
	s_mov_b32 ttmp2, m0
	s_waitcnt lgkmcnt(0)
	s_and_b32 s0, s0, 0x3ff
	s_delay_alu instid0(SALU_CYCLE_1) | instskip(NEXT) | instid1(SALU_CYCLE_1)
	s_bitset1_b32 s0, 10
	s_mov_b32 m0, s0
	s_sendmsg sendmsg(MSG_INTERRUPT)
	s_mov_b32 m0, ttmp2
.LBB6_17167:                            ; =>This Inner Loop Header: Depth=1
	s_sethalt 5
	s_branch .LBB6_17167
.LBB6_17168:
	s_trap 2
	s_sendmsg_rtn_b32 s0, sendmsg(MSG_RTN_GET_DOORBELL)
	s_mov_b32 ttmp2, m0
	s_waitcnt lgkmcnt(0)
	s_and_b32 s0, s0, 0x3ff
	s_delay_alu instid0(SALU_CYCLE_1) | instskip(NEXT) | instid1(SALU_CYCLE_1)
	s_bitset1_b32 s0, 10
	s_mov_b32 m0, s0
	s_sendmsg sendmsg(MSG_INTERRUPT)
	s_mov_b32 m0, ttmp2
.LBB6_17169:                            ; =>This Inner Loop Header: Depth=1
	s_sethalt 5
	s_branch .LBB6_17169
.LBB6_17170:
	s_trap 2
	s_sendmsg_rtn_b32 s0, sendmsg(MSG_RTN_GET_DOORBELL)
	s_mov_b32 ttmp2, m0
	s_waitcnt lgkmcnt(0)
	s_and_b32 s0, s0, 0x3ff
	s_delay_alu instid0(SALU_CYCLE_1) | instskip(NEXT) | instid1(SALU_CYCLE_1)
	s_bitset1_b32 s0, 10
	s_mov_b32 m0, s0
	s_sendmsg sendmsg(MSG_INTERRUPT)
	s_mov_b32 m0, ttmp2
.LBB6_17171:                            ; =>This Inner Loop Header: Depth=1
	s_sethalt 5
	s_branch .LBB6_17171
.LBB6_17172:
	s_trap 2
	s_sendmsg_rtn_b32 s0, sendmsg(MSG_RTN_GET_DOORBELL)
	s_mov_b32 ttmp2, m0
	s_waitcnt lgkmcnt(0)
	s_and_b32 s0, s0, 0x3ff
	s_delay_alu instid0(SALU_CYCLE_1) | instskip(NEXT) | instid1(SALU_CYCLE_1)
	s_bitset1_b32 s0, 10
	s_mov_b32 m0, s0
	s_sendmsg sendmsg(MSG_INTERRUPT)
	s_mov_b32 m0, ttmp2
.LBB6_17173:                            ; =>This Inner Loop Header: Depth=1
	s_sethalt 5
	s_branch .LBB6_17173
.LBB6_17174:
	s_trap 2
	s_sendmsg_rtn_b32 s0, sendmsg(MSG_RTN_GET_DOORBELL)
	s_mov_b32 ttmp2, m0
	s_waitcnt lgkmcnt(0)
	s_and_b32 s0, s0, 0x3ff
	s_delay_alu instid0(SALU_CYCLE_1) | instskip(NEXT) | instid1(SALU_CYCLE_1)
	s_bitset1_b32 s0, 10
	s_mov_b32 m0, s0
	s_sendmsg sendmsg(MSG_INTERRUPT)
	s_mov_b32 m0, ttmp2
.LBB6_17175:                            ; =>This Inner Loop Header: Depth=1
	s_sethalt 5
	s_branch .LBB6_17175
.LBB6_17176:
	s_trap 2
	s_sendmsg_rtn_b32 s0, sendmsg(MSG_RTN_GET_DOORBELL)
	s_mov_b32 ttmp2, m0
	s_waitcnt lgkmcnt(0)
	s_and_b32 s0, s0, 0x3ff
	s_delay_alu instid0(SALU_CYCLE_1) | instskip(NEXT) | instid1(SALU_CYCLE_1)
	s_bitset1_b32 s0, 10
	s_mov_b32 m0, s0
	s_sendmsg sendmsg(MSG_INTERRUPT)
	s_mov_b32 m0, ttmp2
.LBB6_17177:                            ; =>This Inner Loop Header: Depth=1
	s_sethalt 5
	s_branch .LBB6_17177
.LBB6_17178:
	s_trap 2
	s_sendmsg_rtn_b32 s0, sendmsg(MSG_RTN_GET_DOORBELL)
	s_mov_b32 ttmp2, m0
	s_waitcnt lgkmcnt(0)
	s_and_b32 s0, s0, 0x3ff
	s_delay_alu instid0(SALU_CYCLE_1) | instskip(NEXT) | instid1(SALU_CYCLE_1)
	s_bitset1_b32 s0, 10
	s_mov_b32 m0, s0
	s_sendmsg sendmsg(MSG_INTERRUPT)
	s_mov_b32 m0, ttmp2
.LBB6_17179:                            ; =>This Inner Loop Header: Depth=1
	s_sethalt 5
	s_branch .LBB6_17179
.LBB6_17180:
	s_trap 2
	s_sendmsg_rtn_b32 s0, sendmsg(MSG_RTN_GET_DOORBELL)
	s_mov_b32 ttmp2, m0
	s_waitcnt lgkmcnt(0)
	s_and_b32 s0, s0, 0x3ff
	s_delay_alu instid0(SALU_CYCLE_1) | instskip(NEXT) | instid1(SALU_CYCLE_1)
	s_bitset1_b32 s0, 10
	s_mov_b32 m0, s0
	s_sendmsg sendmsg(MSG_INTERRUPT)
	s_mov_b32 m0, ttmp2
.LBB6_17181:                            ; =>This Inner Loop Header: Depth=1
	s_sethalt 5
	s_branch .LBB6_17181
.LBB6_17182:
	s_trap 2
	s_sendmsg_rtn_b32 s0, sendmsg(MSG_RTN_GET_DOORBELL)
	s_mov_b32 ttmp2, m0
	s_waitcnt lgkmcnt(0)
	s_and_b32 s0, s0, 0x3ff
	s_delay_alu instid0(SALU_CYCLE_1) | instskip(NEXT) | instid1(SALU_CYCLE_1)
	s_bitset1_b32 s0, 10
	s_mov_b32 m0, s0
	s_sendmsg sendmsg(MSG_INTERRUPT)
	s_mov_b32 m0, ttmp2
.LBB6_17183:                            ; =>This Inner Loop Header: Depth=1
	s_sethalt 5
	s_branch .LBB6_17183
.LBB6_17184:
	s_trap 2
	s_sendmsg_rtn_b32 s0, sendmsg(MSG_RTN_GET_DOORBELL)
	s_mov_b32 ttmp2, m0
	s_waitcnt lgkmcnt(0)
	s_and_b32 s0, s0, 0x3ff
	s_delay_alu instid0(SALU_CYCLE_1) | instskip(NEXT) | instid1(SALU_CYCLE_1)
	s_bitset1_b32 s0, 10
	s_mov_b32 m0, s0
	s_sendmsg sendmsg(MSG_INTERRUPT)
	s_mov_b32 m0, ttmp2
.LBB6_17185:                            ; =>This Inner Loop Header: Depth=1
	s_sethalt 5
	s_branch .LBB6_17185
.LBB6_17186:
	s_trap 2
	s_sendmsg_rtn_b32 s0, sendmsg(MSG_RTN_GET_DOORBELL)
	s_mov_b32 ttmp2, m0
	s_waitcnt lgkmcnt(0)
	s_and_b32 s0, s0, 0x3ff
	s_delay_alu instid0(SALU_CYCLE_1) | instskip(NEXT) | instid1(SALU_CYCLE_1)
	s_bitset1_b32 s0, 10
	s_mov_b32 m0, s0
	s_sendmsg sendmsg(MSG_INTERRUPT)
	s_mov_b32 m0, ttmp2
.LBB6_17187:                            ; =>This Inner Loop Header: Depth=1
	s_sethalt 5
	s_branch .LBB6_17187
.Lfunc_end6:
	.size	_ZN12_GLOBAL__N_17runRingI11rccl_float810FuncMinMaxIS1_E11ProtoSimpleILi2ELi2ELi0ELi4ELi0ELi0EELi0ELi0ELi4ELi0EEEviiP15ncclDevWorkColl, .Lfunc_end6-_ZN12_GLOBAL__N_17runRingI11rccl_float810FuncMinMaxIS1_E11ProtoSimpleILi2ELi2ELi0ELi4ELi0ELi0EELi0ELi0ELi4ELi0EEEviiP15ncclDevWorkColl
                                        ; -- End function
	.section	.AMDGPU.csdata,"",@progbits
; Function info:
; codeLenInByte = 598652
; NumSgprs: 52
; NumVgprs: 184
; ScratchSize: 240
; MemoryBound: 1
	.text
	.p2align	2                               ; -- Begin function _Z53ncclDevFunc_AllReduce_RING_SIMPLE_MinMax_f8e4m3_0_0_4v
	.type	_Z53ncclDevFunc_AllReduce_RING_SIMPLE_MinMax_f8e4m3_0_0_4v,@function
_Z53ncclDevFunc_AllReduce_RING_SIMPLE_MinMax_f8e4m3_0_0_4v: ; @_Z53ncclDevFunc_AllReduce_RING_SIMPLE_MinMax_f8e4m3_0_0_4v
; %bb.0:
	s_waitcnt vmcnt(0) expcnt(0) lgkmcnt(0)
	s_mov_b32 s0, s33
	s_mov_b32 s33, s32
	s_or_saveexec_b32 s1, -1
	scratch_store_b32 off, v42, s33 offset:16 ; 4-byte Folded Spill
	s_mov_b32 exec_lo, s1
	v_writelane_b32 v42, s0, 23
	s_add_i32 s32, s32, 32
	s_clause 0x3
	scratch_store_b32 off, v40, s33 offset:12
	; meta instruction
	scratch_store_b32 off, v41, s33 offset:8
	; meta instruction
	scratch_store_b32 off, v121, s33 offset:4
	; meta instruction
	scratch_store_b32 off, v122, s33
	v_writelane_b32 v42, s34, 0
	v_writelane_b32 v42, s35, 1
	;; [unrolled: 1-line block ×23, first 2 shown]
	s_cbranch_execnz .LBB7_7
; %bb.1:
	ds_load_b32 v0, v0
	v_and_b32_e32 v40, 0x3ff, v31
	s_mov_b32 s0, exec_lo
	s_waitcnt lgkmcnt(0)
	s_delay_alu instid0(VALU_DEP_1)
	v_cmpx_lt_i32_e64 v40, v0
	s_cbranch_execz .LBB7_9
; %bb.2:
	s_load_b32 s1, s[8:9], 0x0
	v_mov_b32_e32 v1, 0
	s_waitcnt lgkmcnt(0)
	s_cmp_lt_u32 s12, s1
	s_cselect_b32 s1, 12, 18
	s_delay_alu instid0(SALU_CYCLE_1)
	s_add_u32 s2, s8, s1
	s_addc_u32 s3, s9, 0
	s_mov_b32 s1, 0
	global_load_u16 v1, v1, s[2:3]
	s_cbranch_execnz .LBB7_24
; %bb.3:
	ds_load_b32 v2, v0
	v_mov_b32_e32 v3, v40
	s_mov_b32 s2, 0
                                        ; implicit-def: $vgpr4
	s_waitcnt vmcnt(0) lgkmcnt(0)
	v_mul_lo_u32 v2, v2, v1
	s_branch .LBB7_5
	.p2align	6
.LBB7_4:                                ;   in Loop: Header=BB7_5 Depth=1
	s_or_b32 exec_lo, exec_lo, s3
	v_add_nc_u32_e32 v3, v3, v1
	v_add_nc_u32_e32 v4, v4, v2
	s_delay_alu instid0(VALU_DEP_2) | instskip(SKIP_1) | instid1(SALU_CYCLE_1)
	v_cmp_ge_i32_e32 vcc_lo, v3, v0
	s_or_b32 s1, vcc_lo, s1
	s_and_not1_b32 exec_lo, exec_lo, s1
	s_cbranch_execz .LBB7_9
.LBB7_5:                                ; =>This Inner Loop Header: Depth=1
	ds_load_b32 v5, v4
	s_mov_b32 s3, exec_lo
	s_waitcnt lgkmcnt(0)
	v_and_b32_e32 v5, 0x1000000, v5
	s_delay_alu instid0(VALU_DEP_1)
	v_cmpx_ne_u32_e32 0, v5
	s_cbranch_execz .LBB7_4
; %bb.6:                                ;   in Loop: Header=BB7_5 Depth=1
	ds_load_b64 v[5:6], v4 offset:104
	s_waitcnt lgkmcnt(0)
	flat_load_u8 v5, v[5:6]
	s_waitcnt vmcnt(0) lgkmcnt(0)
	v_dual_mov_b32 v6, s2 :: v_dual_and_b32 v5, 0xffff, v5
	ds_store_b64 v4, v[5:6] offset:104
	s_branch .LBB7_4
.LBB7_7:
	s_trap 2
	s_sendmsg_rtn_b32 s0, sendmsg(MSG_RTN_GET_DOORBELL)
	s_mov_b32 ttmp2, m0
	s_waitcnt lgkmcnt(0)
	s_and_b32 s0, s0, 0x3ff
	s_delay_alu instid0(SALU_CYCLE_1) | instskip(NEXT) | instid1(SALU_CYCLE_1)
	s_bitset1_b32 s0, 10
	s_mov_b32 m0, s0
	s_sendmsg sendmsg(MSG_INTERRUPT)
	s_mov_b32 m0, ttmp2
.LBB7_8:                                ; =>This Inner Loop Header: Depth=1
	s_sethalt 5
	s_branch .LBB7_8
.LBB7_9:
	s_or_b32 exec_lo, exec_lo, s0
	s_waitcnt lgkmcnt(0)
	s_waitcnt_vscnt null, 0x0
	s_barrier
	buffer_gl0_inv
	s_cbranch_execnz .LBB7_22
; %bb.10:
	ds_load_b32 v0, v0
	s_waitcnt lgkmcnt(0)
	v_cmp_gt_i32_e32 vcc_lo, 1, v0
	s_cbranch_vccnz .LBB7_21
; %bb.11:
	s_mov_b32 s54, 0
	s_mov_b64 s[52:53], src_shared_base
.LBB7_12:                               ; =>This Inner Loop Header: Depth=1
	s_cbranch_execnz .LBB7_26
; %bb.13:                               ;   in Loop: Header=BB7_12 Depth=1
	ds_load_b32 v0, v0
	s_cmp_eq_u32 s54, 0
	s_cbranch_scc1 .LBB7_17
; %bb.14:                               ;   in Loop: Header=BB7_12 Depth=1
	s_cbranch_execnz .LBB7_30
; %bb.15:                               ;   in Loop: Header=BB7_12 Depth=1
	s_waitcnt lgkmcnt(0)
	ds_load_b32 v1, v0
	s_waitcnt lgkmcnt(0)
	v_xor_b32_e32 v1, v1, v0
	s_delay_alu instid0(VALU_DEP_1) | instskip(NEXT) | instid1(VALU_DEP_1)
	v_and_b32_e32 v1, 0xff0000, v1
	v_cmp_eq_u32_e32 vcc_lo, 0, v1
	s_cbranch_vccnz .LBB7_17
; %bb.16:                               ;   in Loop: Header=BB7_12 Depth=1
	s_waitcnt_vscnt null, 0x0
	s_barrier
	buffer_gl0_inv
	ds_load_b32 v0, v0
.LBB7_17:                               ;   in Loop: Header=BB7_12 Depth=1
	s_waitcnt lgkmcnt(0)
	v_lshrrev_b32_e32 v0, 11, v0
	s_mov_b32 s52, exec_lo
	s_delay_alu instid0(VALU_DEP_1) | instskip(NEXT) | instid1(VALU_DEP_1)
	v_and_b32_e32 v1, 0x1fe0, v0
	v_cmpx_lt_u32_e64 v40, v1
	s_cbranch_execz .LBB7_19
; %bb.18:                               ;   in Loop: Header=BB7_12 Depth=1
	v_dual_mov_b32 v41, v31 :: v_dual_mov_b32 v0, v40
	v_mov_b32_e32 v3, s53
	s_getpc_b64 s[0:1]
	s_add_u32 s0, s0, _ZN12_GLOBAL__N_17runRingI11rccl_float810FuncMinMaxIS1_E11ProtoSimpleILi2ELi2ELi0ELi4ELi0ELi0EELi0ELi0ELi4ELi0EEEviiP15ncclDevWorkColl@rel32@lo+4
	s_addc_u32 s1, s1, _ZN12_GLOBAL__N_17runRingI11rccl_float810FuncMinMaxIS1_E11ProtoSimpleILi2ELi2ELi0ELi4ELi0ELi0EELi0ELi0ELi4ELi0EEEviiP15ncclDevWorkColl@rel32@hi+12
	s_mov_b64 s[50:51], s[8:9]
	s_mov_b32 s47, s12
	s_swappc_b64 s[30:31], s[0:1]
	v_mov_b32_e32 v31, v41
	s_mov_b32 s12, s47
	s_mov_b64 s[8:9], s[50:51]
.LBB7_19:                               ;   in Loop: Header=BB7_12 Depth=1
	s_or_b32 exec_lo, exec_lo, s52
	s_cbranch_execnz .LBB7_28
; %bb.20:                               ;   in Loop: Header=BB7_12 Depth=1
	ds_load_b32 v0, v0
	s_add_i32 s54, s54, 1
	s_waitcnt lgkmcnt(0)
	v_cmp_lt_i32_e32 vcc_lo, s54, v0
	s_cbranch_vccnz .LBB7_12
.LBB7_21:
	s_clause 0x3
	scratch_load_b32 v122, off, s33
	scratch_load_b32 v121, off, s33 offset:4
	scratch_load_b32 v41, off, s33 offset:8
	;; [unrolled: 1-line block ×3, first 2 shown]
	v_readlane_b32 s30, v42, 21
	v_readlane_b32 s31, v42, 22
	v_readlane_b32 s54, v42, 20
	v_readlane_b32 s53, v42, 19
	v_readlane_b32 s52, v42, 18
	v_readlane_b32 s51, v42, 17
	v_readlane_b32 s50, v42, 16
	v_readlane_b32 s49, v42, 15
	v_readlane_b32 s48, v42, 14
	v_readlane_b32 s47, v42, 13
	v_readlane_b32 s46, v42, 12
	v_readlane_b32 s45, v42, 11
	v_readlane_b32 s44, v42, 10
	v_readlane_b32 s43, v42, 9
	v_readlane_b32 s42, v42, 8
	v_readlane_b32 s41, v42, 7
	v_readlane_b32 s40, v42, 6
	v_readlane_b32 s39, v42, 5
	v_readlane_b32 s38, v42, 4
	v_readlane_b32 s37, v42, 3
	v_readlane_b32 s36, v42, 2
	v_readlane_b32 s35, v42, 1
	v_readlane_b32 s34, v42, 0
	v_readlane_b32 s0, v42, 23
	s_or_saveexec_b32 s1, -1
	scratch_load_b32 v42, off, s33 offset:16 ; 4-byte Folded Reload
	s_mov_b32 exec_lo, s1
	s_addk_i32 s32, 0xffe0
	s_mov_b32 s33, s0
	s_waitcnt vmcnt(0)
	s_setpc_b64 s[30:31]
.LBB7_22:
	s_trap 2
	s_sendmsg_rtn_b32 s0, sendmsg(MSG_RTN_GET_DOORBELL)
	s_mov_b32 ttmp2, m0
	s_waitcnt lgkmcnt(0)
	s_and_b32 s0, s0, 0x3ff
	s_delay_alu instid0(SALU_CYCLE_1) | instskip(NEXT) | instid1(SALU_CYCLE_1)
	s_bitset1_b32 s0, 10
	s_mov_b32 m0, s0
	s_sendmsg sendmsg(MSG_INTERRUPT)
	s_mov_b32 m0, ttmp2
.LBB7_23:                               ; =>This Inner Loop Header: Depth=1
	s_sethalt 5
	s_branch .LBB7_23
.LBB7_24:
	s_trap 2
	s_sendmsg_rtn_b32 s0, sendmsg(MSG_RTN_GET_DOORBELL)
	s_mov_b32 ttmp2, m0
	s_waitcnt lgkmcnt(0)
	s_and_b32 s0, s0, 0x3ff
	s_delay_alu instid0(SALU_CYCLE_1) | instskip(NEXT) | instid1(SALU_CYCLE_1)
	s_bitset1_b32 s0, 10
	s_mov_b32 m0, s0
	s_sendmsg sendmsg(MSG_INTERRUPT)
	s_mov_b32 m0, ttmp2
.LBB7_25:                               ; =>This Inner Loop Header: Depth=1
	s_sethalt 5
	s_branch .LBB7_25
.LBB7_26:
	s_trap 2
	s_sendmsg_rtn_b32 s0, sendmsg(MSG_RTN_GET_DOORBELL)
	s_mov_b32 ttmp2, m0
	s_waitcnt lgkmcnt(0)
	s_and_b32 s0, s0, 0x3ff
	s_delay_alu instid0(SALU_CYCLE_1) | instskip(NEXT) | instid1(SALU_CYCLE_1)
	s_bitset1_b32 s0, 10
	s_mov_b32 m0, s0
	s_sendmsg sendmsg(MSG_INTERRUPT)
	s_mov_b32 m0, ttmp2
.LBB7_27:                               ; =>This Inner Loop Header: Depth=1
	s_sethalt 5
	s_branch .LBB7_27
.LBB7_28:
	s_trap 2
	s_sendmsg_rtn_b32 s0, sendmsg(MSG_RTN_GET_DOORBELL)
	s_mov_b32 ttmp2, m0
	s_waitcnt lgkmcnt(0)
	s_and_b32 s0, s0, 0x3ff
	s_delay_alu instid0(SALU_CYCLE_1) | instskip(NEXT) | instid1(SALU_CYCLE_1)
	s_bitset1_b32 s0, 10
	s_mov_b32 m0, s0
	s_sendmsg sendmsg(MSG_INTERRUPT)
	s_mov_b32 m0, ttmp2
.LBB7_29:                               ; =>This Inner Loop Header: Depth=1
	s_sethalt 5
	s_branch .LBB7_29
.LBB7_30:
	s_trap 2
	s_sendmsg_rtn_b32 s0, sendmsg(MSG_RTN_GET_DOORBELL)
	s_mov_b32 ttmp2, m0
	s_waitcnt lgkmcnt(0)
	s_and_b32 s0, s0, 0x3ff
	s_delay_alu instid0(SALU_CYCLE_1) | instskip(NEXT) | instid1(SALU_CYCLE_1)
	s_bitset1_b32 s0, 10
	s_mov_b32 m0, s0
	s_sendmsg sendmsg(MSG_INTERRUPT)
	s_mov_b32 m0, ttmp2
.LBB7_31:                               ; =>This Inner Loop Header: Depth=1
	s_sethalt 5
	s_branch .LBB7_31
.Lfunc_end7:
	.size	_Z53ncclDevFunc_AllReduce_RING_SIMPLE_MinMax_f8e4m3_0_0_4v, .Lfunc_end7-_Z53ncclDevFunc_AllReduce_RING_SIMPLE_MinMax_f8e4m3_0_0_4v
                                        ; -- End function
	.section	.AMDGPU.csdata,"",@progbits
; Function info:
; codeLenInByte = 1344
; NumSgprs: 57
; NumVgprs: 184
; ScratchSize: 272
; MemoryBound: 0
	.text
	.p2alignl 7, 3214868480
	.fill 96, 4, 3214868480
	.type	__const.__assert_fail.fmt,@object ; @__const.__assert_fail.fmt
	.section	.rodata.str1.16,"aMS",@progbits,1
	.p2align	4, 0x0
__const.__assert_fail.fmt:
	.asciz	"%s:%u: %s: Device-side assertion `%s' failed.\n"
	.size	__const.__assert_fail.fmt, 47

	.type	.str.1,@object                  ; @.str.1
	.section	.rodata.str1.1,"aMS",@progbits,1
.str.1:
	.asciz	"2*(nrecv+nsend) <= nthreads"
	.size	.str.1, 28

	.type	.str.2,@object                  ; @.str.2
.str.2:
	.asciz	"/root/src/amdgpu-assembly/repos/ROCm__rccl/hipify/src/device/prims_simple.h"
	.size	.str.2, 76

	.type	__PRETTY_FUNCTION__._ZN10PrimitivesI11rccl_float810FuncMinMaxIS0_E12FanSymmetricILi1EELi0E11ProtoSimpleILi2ELi2ELi0ELi1ELi0ELi0EELi0ELb0ELi0ELi0ELi0EEC2EiiPKiS9_PKvPvmhhhP15ncclDevWorkCollP14ncclDevWorkP2pii,@object ; @__PRETTY_FUNCTION__._ZN10PrimitivesI11rccl_float810FuncMinMaxIS0_E12FanSymmetricILi1EELi0E11ProtoSimpleILi2ELi2ELi0ELi1ELi0ELi0EELi0ELb0ELi0ELi0ELi0EEC2EiiPKiS9_PKvPvmhhhP15ncclDevWorkCollP14ncclDevWorkP2pii
__PRETTY_FUNCTION__._ZN10PrimitivesI11rccl_float810FuncMinMaxIS0_E12FanSymmetricILi1EELi0E11ProtoSimpleILi2ELi2ELi0ELi1ELi0ELi0EELi0ELb0ELi0ELi0ELi0EEC2EiiPKiS9_PKvPvmhhhP15ncclDevWorkCollP14ncclDevWorkP2pii:
	.asciz	"Primitives<rccl_float8, FuncMinMax<rccl_float8>, FanSymmetric<1>, 0, ProtoSimple<2, 2, 0, 1>, 0>::Primitives(int, int, const int *, const int *, const void *, void *, uint64_t, uint8_t, uint8_t, uint8_t, struct ncclDevWorkColl *, struct ncclDevWorkP2p *, int, int) [T = rccl_float8, RedOp = FuncMinMax<rccl_float8>, Fan = FanSymmetric<1>, Direct = 0, Proto = ProtoSimple<2, 2, 0, 1>, P2p = 0, isNetOffload = false, Metadata = 0, Pipeline = 0, useAcc = 0]"
	.size	__PRETTY_FUNCTION__._ZN10PrimitivesI11rccl_float810FuncMinMaxIS0_E12FanSymmetricILi1EELi0E11ProtoSimpleILi2ELi2ELi0ELi1ELi0ELi0EELi0ELb0ELi0ELi0ELi0EEC2EiiPKiS9_PKvPvmhhhP15ncclDevWorkCollP14ncclDevWorkP2pii, 455

	.type	__PRETTY_FUNCTION__._ZN10PrimitivesI11rccl_float810FuncMinMaxIS0_E12FanSymmetricILi1EELi0E11ProtoSimpleILi2ELi2ELi0ELi2ELi0ELi0EELi0ELb0ELi0ELi0ELi0EEC2EiiPKiS9_PKvPvmhhhP15ncclDevWorkCollP14ncclDevWorkP2pii,@object ; @__PRETTY_FUNCTION__._ZN10PrimitivesI11rccl_float810FuncMinMaxIS0_E12FanSymmetricILi1EELi0E11ProtoSimpleILi2ELi2ELi0ELi2ELi0ELi0EELi0ELb0ELi0ELi0ELi0EEC2EiiPKiS9_PKvPvmhhhP15ncclDevWorkCollP14ncclDevWorkP2pii
__PRETTY_FUNCTION__._ZN10PrimitivesI11rccl_float810FuncMinMaxIS0_E12FanSymmetricILi1EELi0E11ProtoSimpleILi2ELi2ELi0ELi2ELi0ELi0EELi0ELb0ELi0ELi0ELi0EEC2EiiPKiS9_PKvPvmhhhP15ncclDevWorkCollP14ncclDevWorkP2pii:
	.asciz	"Primitives<rccl_float8, FuncMinMax<rccl_float8>, FanSymmetric<1>, 0, ProtoSimple<2, 2, 0, 2>, 0>::Primitives(int, int, const int *, const int *, const void *, void *, uint64_t, uint8_t, uint8_t, uint8_t, struct ncclDevWorkColl *, struct ncclDevWorkP2p *, int, int) [T = rccl_float8, RedOp = FuncMinMax<rccl_float8>, Fan = FanSymmetric<1>, Direct = 0, Proto = ProtoSimple<2, 2, 0, 2>, P2p = 0, isNetOffload = false, Metadata = 0, Pipeline = 0, useAcc = 0]"
	.size	__PRETTY_FUNCTION__._ZN10PrimitivesI11rccl_float810FuncMinMaxIS0_E12FanSymmetricILi1EELi0E11ProtoSimpleILi2ELi2ELi0ELi2ELi0ELi0EELi0ELb0ELi0ELi0ELi0EEC2EiiPKiS9_PKvPvmhhhP15ncclDevWorkCollP14ncclDevWorkP2pii, 455

	.type	__PRETTY_FUNCTION__._ZN10PrimitivesI11rccl_float810FuncMinMaxIS0_E12FanSymmetricILi1EELi0E11ProtoSimpleILi2ELi2ELi0ELi4ELi0ELi0EELi0ELb0ELi0ELi0ELi0EEC2EiiPKiS9_PKvPvmhhhP15ncclDevWorkCollP14ncclDevWorkP2pii,@object ; @__PRETTY_FUNCTION__._ZN10PrimitivesI11rccl_float810FuncMinMaxIS0_E12FanSymmetricILi1EELi0E11ProtoSimpleILi2ELi2ELi0ELi4ELi0ELi0EELi0ELb0ELi0ELi0ELi0EEC2EiiPKiS9_PKvPvmhhhP15ncclDevWorkCollP14ncclDevWorkP2pii
__PRETTY_FUNCTION__._ZN10PrimitivesI11rccl_float810FuncMinMaxIS0_E12FanSymmetricILi1EELi0E11ProtoSimpleILi2ELi2ELi0ELi4ELi0ELi0EELi0ELb0ELi0ELi0ELi0EEC2EiiPKiS9_PKvPvmhhhP15ncclDevWorkCollP14ncclDevWorkP2pii:
	.asciz	"Primitives<rccl_float8, FuncMinMax<rccl_float8>, FanSymmetric<1>, 0, ProtoSimple<2, 2, 0, 4>, 0>::Primitives(int, int, const int *, const int *, const void *, void *, uint64_t, uint8_t, uint8_t, uint8_t, struct ncclDevWorkColl *, struct ncclDevWorkP2p *, int, int) [T = rccl_float8, RedOp = FuncMinMax<rccl_float8>, Fan = FanSymmetric<1>, Direct = 0, Proto = ProtoSimple<2, 2, 0, 4>, P2p = 0, isNetOffload = false, Metadata = 0, Pipeline = 0, useAcc = 0]"
	.size	__PRETTY_FUNCTION__._ZN10PrimitivesI11rccl_float810FuncMinMaxIS0_E12FanSymmetricILi1EELi0E11ProtoSimpleILi2ELi2ELi0ELi4ELi0ELi0EELi0ELb0ELi0ELi0ELi0EEC2EiiPKiS9_PKvPvmhhhP15ncclDevWorkCollP14ncclDevWorkP2pii, 455

	.type	__hip_cuid_394ee9e7c28a0f63,@object ; @__hip_cuid_394ee9e7c28a0f63
	.section	.bss,"aw",@nobits
	.globl	__hip_cuid_394ee9e7c28a0f63
__hip_cuid_394ee9e7c28a0f63:
	.byte	0                               ; 0x0
	.size	__hip_cuid_394ee9e7c28a0f63, 1

	.ident	"AMD clang version 19.0.0git (https://github.com/RadeonOpenCompute/llvm-project roc-6.4.0 25133 c7fe45cf4b819c5991fe208aaa96edf142730f1d)"
	.section	".note.GNU-stack","",@progbits
	.addrsig
	.addrsig_sym _Z53ncclDevFunc_AllReduce_RING_SIMPLE_MinMax_f8e4m3_0_0_1v
	.addrsig_sym _Z53ncclDevFunc_AllReduce_RING_SIMPLE_MinMax_f8e4m3_0_0_2v
	.addrsig_sym _Z53ncclDevFunc_AllReduce_RING_SIMPLE_MinMax_f8e4m3_0_0_4v
	.addrsig_sym ncclShmem
	.addrsig_sym __hip_cuid_394ee9e7c28a0f63
	.amdgpu_metadata
---
amdhsa.kernels:  []
amdhsa.target:   amdgcn-amd-amdhsa--gfx1100
amdhsa.version:
  - 1
  - 2
...

	.end_amdgpu_metadata
